;; amdgpu-corpus repo=pytorch/pytorch kind=compiled arch=gfx906 opt=O3
	.amdgcn_target "amdgcn-amd-amdhsa--gfx906"
	.amdhsa_code_object_version 6
	.section	.text._ZN2at6native29vectorized_elementwise_kernelILi16EZZZNS0_12_GLOBAL__N_117hardshrink_kernelERNS_18TensorIteratorBaseERKN3c106ScalarEENKUlvE_clEvENKUlvE_clEvEUldE_St5arrayIPcLm2EEEEviT0_T1_,"axG",@progbits,_ZN2at6native29vectorized_elementwise_kernelILi16EZZZNS0_12_GLOBAL__N_117hardshrink_kernelERNS_18TensorIteratorBaseERKN3c106ScalarEENKUlvE_clEvENKUlvE_clEvEUldE_St5arrayIPcLm2EEEEviT0_T1_,comdat
	.globl	_ZN2at6native29vectorized_elementwise_kernelILi16EZZZNS0_12_GLOBAL__N_117hardshrink_kernelERNS_18TensorIteratorBaseERKN3c106ScalarEENKUlvE_clEvENKUlvE_clEvEUldE_St5arrayIPcLm2EEEEviT0_T1_ ; -- Begin function _ZN2at6native29vectorized_elementwise_kernelILi16EZZZNS0_12_GLOBAL__N_117hardshrink_kernelERNS_18TensorIteratorBaseERKN3c106ScalarEENKUlvE_clEvENKUlvE_clEvEUldE_St5arrayIPcLm2EEEEviT0_T1_
	.p2align	8
	.type	_ZN2at6native29vectorized_elementwise_kernelILi16EZZZNS0_12_GLOBAL__N_117hardshrink_kernelERNS_18TensorIteratorBaseERKN3c106ScalarEENKUlvE_clEvENKUlvE_clEvEUldE_St5arrayIPcLm2EEEEviT0_T1_,@function
_ZN2at6native29vectorized_elementwise_kernelILi16EZZZNS0_12_GLOBAL__N_117hardshrink_kernelERNS_18TensorIteratorBaseERKN3c106ScalarEENKUlvE_clEvENKUlvE_clEvEUldE_St5arrayIPcLm2EEEEviT0_T1_: ; @_ZN2at6native29vectorized_elementwise_kernelILi16EZZZNS0_12_GLOBAL__N_117hardshrink_kernelERNS_18TensorIteratorBaseERKN3c106ScalarEENKUlvE_clEvENKUlvE_clEvEUldE_St5arrayIPcLm2EEEEviT0_T1_
; %bb.0:
	s_load_dword s0, s[4:5], 0x0
	s_load_dwordx4 s[8:11], s[4:5], 0x8
	s_load_dwordx2 s[12:13], s[4:5], 0x18
	s_lshl_b32 s6, s6, 10
	s_waitcnt lgkmcnt(0)
	s_sub_i32 s14, s0, s6
	s_cmpk_gt_i32 s14, 0x3ff
	s_mov_b64 s[0:1], -1
	s_cbranch_scc0 .LBB0_2
; %bb.1:
	s_ashr_i32 s7, s6, 31
	s_lshl_b64 s[16:17], s[6:7], 3
	s_add_u32 s0, s12, s16
	s_addc_u32 s1, s13, s17
	v_lshlrev_b32_e32 v9, 5, v0
	global_load_dwordx4 v[1:4], v9, s[0:1]
	global_load_dwordx4 v[5:8], v9, s[0:1] offset:16
	s_waitcnt vmcnt(1)
	v_cmp_nge_f64_e64 s[18:19], v[1:2], -s[8:9]
	v_cmp_nge_f64_e32 vcc, s[8:9], v[1:2]
	v_cmp_nge_f64_e64 s[20:21], v[3:4], -s[8:9]
	v_cmp_nge_f64_e64 s[0:1], s[8:9], v[3:4]
	s_waitcnt vmcnt(0)
	v_cmp_nge_f64_e64 s[22:23], v[5:6], -s[8:9]
	v_cmp_nge_f64_e64 s[2:3], s[8:9], v[5:6]
	v_cmp_nge_f64_e64 s[24:25], v[7:8], -s[8:9]
	v_cmp_nge_f64_e64 s[4:5], s[8:9], v[7:8]
	s_or_b64 vcc, s[18:19], vcc
	v_cndmask_b32_e32 v2, 0, v2, vcc
	s_or_b64 s[0:1], s[20:21], s[0:1]
	v_cndmask_b32_e64 v4, 0, v4, s[0:1]
	s_or_b64 s[2:3], s[22:23], s[2:3]
	v_cndmask_b32_e64 v3, 0, v3, s[0:1]
	s_or_b64 s[4:5], s[24:25], s[4:5]
	s_add_u32 s0, s10, s16
	v_cndmask_b32_e32 v1, 0, v1, vcc
	s_addc_u32 s1, s11, s17
	v_cndmask_b32_e64 v6, 0, v6, s[2:3]
	v_cndmask_b32_e64 v8, 0, v8, s[4:5]
	;; [unrolled: 1-line block ×4, first 2 shown]
	global_store_dwordx4 v9, v[1:4], s[0:1]
	global_store_dwordx4 v9, v[5:8], s[0:1] offset:16
	s_mov_b64 s[0:1], 0
.LBB0_2:
	s_andn2_b64 vcc, exec, s[0:1]
	s_cbranch_vccnz .LBB0_16
; %bb.3:
	v_mov_b32_e32 v3, 0
	v_mov_b32_e32 v5, 0
	v_cmp_gt_i32_e32 vcc, s14, v0
	v_mov_b32_e32 v4, 0
	v_or_b32_e32 v1, s6, v0
	v_mov_b32_e32 v6, 0
	v_mov_b32_e32 v2, v0
	s_and_saveexec_b64 s[2:3], vcc
	s_cbranch_execz .LBB0_5
; %bb.4:
	v_mov_b32_e32 v2, 0
	v_lshlrev_b64 v[5:6], 3, v[1:2]
	v_mov_b32_e32 v2, s13
	v_add_co_u32_e64 v5, s[0:1], s12, v5
	v_addc_co_u32_e64 v6, s[0:1], v2, v6, s[0:1]
	global_load_dwordx2 v[5:6], v[5:6], off
	v_or_b32_e32 v2, 0x100, v0
.LBB0_5:
	s_or_b64 exec, exec, s[2:3]
	v_cmp_gt_i32_e64 s[0:1], s14, v2
	s_and_saveexec_b64 s[2:3], s[0:1]
	s_cbranch_execz .LBB0_7
; %bb.6:
	v_add_u32_e32 v3, s6, v2
	v_mov_b32_e32 v4, 0
	v_lshlrev_b64 v[3:4], 3, v[3:4]
	v_mov_b32_e32 v7, s13
	v_add_co_u32_e64 v3, s[0:1], s12, v3
	v_addc_co_u32_e64 v4, s[0:1], v7, v4, s[0:1]
	global_load_dwordx2 v[3:4], v[3:4], off
	v_add_u32_e32 v2, 0x100, v2
.LBB0_7:
	s_or_b64 exec, exec, s[2:3]
	v_mov_b32_e32 v7, 0
	v_mov_b32_e32 v9, 0
	;; [unrolled: 1-line block ×4, first 2 shown]
	v_cmp_gt_i32_e64 s[0:1], s14, v2
	s_and_saveexec_b64 s[2:3], s[0:1]
	s_cbranch_execz .LBB0_9
; %bb.8:
	v_add_u32_e32 v9, s6, v2
	v_mov_b32_e32 v10, 0
	v_lshlrev_b64 v[9:10], 3, v[9:10]
	v_mov_b32_e32 v11, s13
	v_add_co_u32_e64 v9, s[0:1], s12, v9
	v_addc_co_u32_e64 v10, s[0:1], v11, v10, s[0:1]
	global_load_dwordx2 v[9:10], v[9:10], off
	v_add_u32_e32 v2, 0x100, v2
.LBB0_9:
	s_or_b64 exec, exec, s[2:3]
	v_cmp_gt_i32_e64 s[0:1], s14, v2
	s_and_saveexec_b64 s[2:3], s[0:1]
	s_cbranch_execz .LBB0_11
; %bb.10:
	v_add_u32_e32 v7, s6, v2
	v_mov_b32_e32 v8, 0
	v_lshlrev_b64 v[7:8], 3, v[7:8]
	v_mov_b32_e32 v2, s13
	v_add_co_u32_e64 v7, s[0:1], s12, v7
	v_addc_co_u32_e64 v8, s[0:1], v2, v8, s[0:1]
	global_load_dwordx2 v[7:8], v[7:8], off
.LBB0_11:
	s_or_b64 exec, exec, s[2:3]
	s_waitcnt vmcnt(0)
	v_cmp_nge_f64_e64 s[12:13], v[5:6], -s[8:9]
	v_cmp_nge_f64_e64 s[0:1], s[8:9], v[5:6]
	v_cmp_nge_f64_e64 s[16:17], v[3:4], -s[8:9]
	v_cmp_nge_f64_e64 s[2:3], s[8:9], v[3:4]
	v_or_b32_e32 v15, 0x100, v0
	v_cmp_gt_i32_e64 s[4:5], s14, v15
	v_or_b32_e32 v2, 0x200, v0
	s_or_b64 s[0:1], s[12:13], s[0:1]
	s_and_b64 s[0:1], vcc, s[0:1]
	s_or_b64 s[2:3], s[16:17], s[2:3]
	v_cndmask_b32_e64 v14, 0, v6, s[0:1]
	v_cndmask_b32_e64 v13, 0, v5, s[0:1]
	v_cmp_nge_f64_e64 s[12:13], v[9:10], -s[8:9]
	v_cmp_nge_f64_e64 s[0:1], s[8:9], v[9:10]
	s_and_b64 s[2:3], s[4:5], s[2:3]
	v_cndmask_b32_e64 v12, 0, v4, s[2:3]
	v_cndmask_b32_e64 v11, 0, v3, s[2:3]
	v_cmp_nge_f64_e64 s[16:17], v[7:8], -s[8:9]
	v_cmp_nge_f64_e64 s[2:3], s[8:9], v[7:8]
	v_cmp_gt_i32_e64 s[4:5], s14, v2
	v_or_b32_e32 v2, 0x300, v0
	s_or_b64 s[0:1], s[12:13], s[0:1]
	s_and_b64 s[0:1], s[4:5], s[0:1]
	v_cndmask_b32_e64 v6, 0, v10, s[0:1]
	v_cndmask_b32_e64 v5, 0, v9, s[0:1]
	v_cmp_gt_i32_e64 s[0:1], s14, v2
	s_or_b64 s[2:3], s[16:17], s[2:3]
	s_and_b64 s[0:1], s[0:1], s[2:3]
	v_cndmask_b32_e64 v4, 0, v8, s[0:1]
	v_cndmask_b32_e64 v3, 0, v7, s[0:1]
	s_and_saveexec_b64 s[0:1], vcc
	s_cbranch_execnz .LBB0_17
; %bb.12:
	s_or_b64 exec, exec, s[0:1]
	v_cmp_gt_i32_e32 vcc, s14, v0
	s_and_saveexec_b64 s[0:1], vcc
	s_cbranch_execnz .LBB0_18
.LBB0_13:
	s_or_b64 exec, exec, s[0:1]
	v_cmp_gt_i32_e32 vcc, s14, v0
	s_and_saveexec_b64 s[0:1], vcc
	s_cbranch_execnz .LBB0_19
.LBB0_14:
	s_or_b64 exec, exec, s[0:1]
	v_cmp_gt_i32_e32 vcc, s14, v0
	s_and_saveexec_b64 s[0:1], vcc
	s_cbranch_execz .LBB0_16
.LBB0_15:
	v_add_u32_e32 v0, s6, v0
	v_mov_b32_e32 v1, 0
	v_lshlrev_b64 v[0:1], 3, v[0:1]
	v_mov_b32_e32 v2, s11
	v_add_co_u32_e32 v0, vcc, s10, v0
	v_addc_co_u32_e32 v1, vcc, v2, v1, vcc
	global_store_dwordx2 v[0:1], v[3:4], off
.LBB0_16:
	s_endpgm
.LBB0_17:
	v_mov_b32_e32 v2, 0
	v_lshlrev_b64 v[0:1], 3, v[1:2]
	v_mov_b32_e32 v2, s11
	v_add_co_u32_e32 v0, vcc, s10, v0
	v_addc_co_u32_e32 v1, vcc, v2, v1, vcc
	global_store_dwordx2 v[0:1], v[13:14], off
	v_mov_b32_e32 v0, v15
	s_or_b64 exec, exec, s[0:1]
	v_cmp_gt_i32_e32 vcc, s14, v0
	s_and_saveexec_b64 s[0:1], vcc
	s_cbranch_execz .LBB0_13
.LBB0_18:
	v_add_u32_e32 v1, s6, v0
	v_mov_b32_e32 v2, 0
	v_lshlrev_b64 v[1:2], 3, v[1:2]
	v_mov_b32_e32 v7, s11
	v_add_co_u32_e32 v1, vcc, s10, v1
	v_addc_co_u32_e32 v2, vcc, v7, v2, vcc
	v_add_u32_e32 v0, 0x100, v0
	global_store_dwordx2 v[1:2], v[11:12], off
	s_or_b64 exec, exec, s[0:1]
	v_cmp_gt_i32_e32 vcc, s14, v0
	s_and_saveexec_b64 s[0:1], vcc
	s_cbranch_execz .LBB0_14
.LBB0_19:
	v_add_u32_e32 v1, s6, v0
	v_mov_b32_e32 v2, 0
	v_lshlrev_b64 v[1:2], 3, v[1:2]
	v_mov_b32_e32 v7, s11
	v_add_co_u32_e32 v1, vcc, s10, v1
	v_addc_co_u32_e32 v2, vcc, v7, v2, vcc
	v_add_u32_e32 v0, 0x100, v0
	global_store_dwordx2 v[1:2], v[5:6], off
	s_or_b64 exec, exec, s[0:1]
	v_cmp_gt_i32_e32 vcc, s14, v0
	s_and_saveexec_b64 s[0:1], vcc
	s_cbranch_execnz .LBB0_15
	s_branch .LBB0_16
	.section	.rodata,"a",@progbits
	.p2align	6, 0x0
	.amdhsa_kernel _ZN2at6native29vectorized_elementwise_kernelILi16EZZZNS0_12_GLOBAL__N_117hardshrink_kernelERNS_18TensorIteratorBaseERKN3c106ScalarEENKUlvE_clEvENKUlvE_clEvEUldE_St5arrayIPcLm2EEEEviT0_T1_
		.amdhsa_group_segment_fixed_size 0
		.amdhsa_private_segment_fixed_size 0
		.amdhsa_kernarg_size 32
		.amdhsa_user_sgpr_count 6
		.amdhsa_user_sgpr_private_segment_buffer 1
		.amdhsa_user_sgpr_dispatch_ptr 0
		.amdhsa_user_sgpr_queue_ptr 0
		.amdhsa_user_sgpr_kernarg_segment_ptr 1
		.amdhsa_user_sgpr_dispatch_id 0
		.amdhsa_user_sgpr_flat_scratch_init 0
		.amdhsa_user_sgpr_private_segment_size 0
		.amdhsa_uses_dynamic_stack 0
		.amdhsa_system_sgpr_private_segment_wavefront_offset 0
		.amdhsa_system_sgpr_workgroup_id_x 1
		.amdhsa_system_sgpr_workgroup_id_y 0
		.amdhsa_system_sgpr_workgroup_id_z 0
		.amdhsa_system_sgpr_workgroup_info 0
		.amdhsa_system_vgpr_workitem_id 0
		.amdhsa_next_free_vgpr 16
		.amdhsa_next_free_sgpr 26
		.amdhsa_reserve_vcc 1
		.amdhsa_reserve_flat_scratch 0
		.amdhsa_float_round_mode_32 0
		.amdhsa_float_round_mode_16_64 0
		.amdhsa_float_denorm_mode_32 3
		.amdhsa_float_denorm_mode_16_64 3
		.amdhsa_dx10_clamp 1
		.amdhsa_ieee_mode 1
		.amdhsa_fp16_overflow 0
		.amdhsa_exception_fp_ieee_invalid_op 0
		.amdhsa_exception_fp_denorm_src 0
		.amdhsa_exception_fp_ieee_div_zero 0
		.amdhsa_exception_fp_ieee_overflow 0
		.amdhsa_exception_fp_ieee_underflow 0
		.amdhsa_exception_fp_ieee_inexact 0
		.amdhsa_exception_int_div_zero 0
	.end_amdhsa_kernel
	.section	.text._ZN2at6native29vectorized_elementwise_kernelILi16EZZZNS0_12_GLOBAL__N_117hardshrink_kernelERNS_18TensorIteratorBaseERKN3c106ScalarEENKUlvE_clEvENKUlvE_clEvEUldE_St5arrayIPcLm2EEEEviT0_T1_,"axG",@progbits,_ZN2at6native29vectorized_elementwise_kernelILi16EZZZNS0_12_GLOBAL__N_117hardshrink_kernelERNS_18TensorIteratorBaseERKN3c106ScalarEENKUlvE_clEvENKUlvE_clEvEUldE_St5arrayIPcLm2EEEEviT0_T1_,comdat
.Lfunc_end0:
	.size	_ZN2at6native29vectorized_elementwise_kernelILi16EZZZNS0_12_GLOBAL__N_117hardshrink_kernelERNS_18TensorIteratorBaseERKN3c106ScalarEENKUlvE_clEvENKUlvE_clEvEUldE_St5arrayIPcLm2EEEEviT0_T1_, .Lfunc_end0-_ZN2at6native29vectorized_elementwise_kernelILi16EZZZNS0_12_GLOBAL__N_117hardshrink_kernelERNS_18TensorIteratorBaseERKN3c106ScalarEENKUlvE_clEvENKUlvE_clEvEUldE_St5arrayIPcLm2EEEEviT0_T1_
                                        ; -- End function
	.set _ZN2at6native29vectorized_elementwise_kernelILi16EZZZNS0_12_GLOBAL__N_117hardshrink_kernelERNS_18TensorIteratorBaseERKN3c106ScalarEENKUlvE_clEvENKUlvE_clEvEUldE_St5arrayIPcLm2EEEEviT0_T1_.num_vgpr, 16
	.set _ZN2at6native29vectorized_elementwise_kernelILi16EZZZNS0_12_GLOBAL__N_117hardshrink_kernelERNS_18TensorIteratorBaseERKN3c106ScalarEENKUlvE_clEvENKUlvE_clEvEUldE_St5arrayIPcLm2EEEEviT0_T1_.num_agpr, 0
	.set _ZN2at6native29vectorized_elementwise_kernelILi16EZZZNS0_12_GLOBAL__N_117hardshrink_kernelERNS_18TensorIteratorBaseERKN3c106ScalarEENKUlvE_clEvENKUlvE_clEvEUldE_St5arrayIPcLm2EEEEviT0_T1_.numbered_sgpr, 26
	.set _ZN2at6native29vectorized_elementwise_kernelILi16EZZZNS0_12_GLOBAL__N_117hardshrink_kernelERNS_18TensorIteratorBaseERKN3c106ScalarEENKUlvE_clEvENKUlvE_clEvEUldE_St5arrayIPcLm2EEEEviT0_T1_.num_named_barrier, 0
	.set _ZN2at6native29vectorized_elementwise_kernelILi16EZZZNS0_12_GLOBAL__N_117hardshrink_kernelERNS_18TensorIteratorBaseERKN3c106ScalarEENKUlvE_clEvENKUlvE_clEvEUldE_St5arrayIPcLm2EEEEviT0_T1_.private_seg_size, 0
	.set _ZN2at6native29vectorized_elementwise_kernelILi16EZZZNS0_12_GLOBAL__N_117hardshrink_kernelERNS_18TensorIteratorBaseERKN3c106ScalarEENKUlvE_clEvENKUlvE_clEvEUldE_St5arrayIPcLm2EEEEviT0_T1_.uses_vcc, 1
	.set _ZN2at6native29vectorized_elementwise_kernelILi16EZZZNS0_12_GLOBAL__N_117hardshrink_kernelERNS_18TensorIteratorBaseERKN3c106ScalarEENKUlvE_clEvENKUlvE_clEvEUldE_St5arrayIPcLm2EEEEviT0_T1_.uses_flat_scratch, 0
	.set _ZN2at6native29vectorized_elementwise_kernelILi16EZZZNS0_12_GLOBAL__N_117hardshrink_kernelERNS_18TensorIteratorBaseERKN3c106ScalarEENKUlvE_clEvENKUlvE_clEvEUldE_St5arrayIPcLm2EEEEviT0_T1_.has_dyn_sized_stack, 0
	.set _ZN2at6native29vectorized_elementwise_kernelILi16EZZZNS0_12_GLOBAL__N_117hardshrink_kernelERNS_18TensorIteratorBaseERKN3c106ScalarEENKUlvE_clEvENKUlvE_clEvEUldE_St5arrayIPcLm2EEEEviT0_T1_.has_recursion, 0
	.set _ZN2at6native29vectorized_elementwise_kernelILi16EZZZNS0_12_GLOBAL__N_117hardshrink_kernelERNS_18TensorIteratorBaseERKN3c106ScalarEENKUlvE_clEvENKUlvE_clEvEUldE_St5arrayIPcLm2EEEEviT0_T1_.has_indirect_call, 0
	.section	.AMDGPU.csdata,"",@progbits
; Kernel info:
; codeLenInByte = 1056
; TotalNumSgprs: 30
; NumVgprs: 16
; ScratchSize: 0
; MemoryBound: 0
; FloatMode: 240
; IeeeMode: 1
; LDSByteSize: 0 bytes/workgroup (compile time only)
; SGPRBlocks: 3
; VGPRBlocks: 3
; NumSGPRsForWavesPerEU: 30
; NumVGPRsForWavesPerEU: 16
; Occupancy: 10
; WaveLimiterHint : 0
; COMPUTE_PGM_RSRC2:SCRATCH_EN: 0
; COMPUTE_PGM_RSRC2:USER_SGPR: 6
; COMPUTE_PGM_RSRC2:TRAP_HANDLER: 0
; COMPUTE_PGM_RSRC2:TGID_X_EN: 1
; COMPUTE_PGM_RSRC2:TGID_Y_EN: 0
; COMPUTE_PGM_RSRC2:TGID_Z_EN: 0
; COMPUTE_PGM_RSRC2:TIDIG_COMP_CNT: 0
	.section	.text._ZN2at6native29vectorized_elementwise_kernelILi8EZZZNS0_12_GLOBAL__N_117hardshrink_kernelERNS_18TensorIteratorBaseERKN3c106ScalarEENKUlvE_clEvENKUlvE_clEvEUldE_St5arrayIPcLm2EEEEviT0_T1_,"axG",@progbits,_ZN2at6native29vectorized_elementwise_kernelILi8EZZZNS0_12_GLOBAL__N_117hardshrink_kernelERNS_18TensorIteratorBaseERKN3c106ScalarEENKUlvE_clEvENKUlvE_clEvEUldE_St5arrayIPcLm2EEEEviT0_T1_,comdat
	.globl	_ZN2at6native29vectorized_elementwise_kernelILi8EZZZNS0_12_GLOBAL__N_117hardshrink_kernelERNS_18TensorIteratorBaseERKN3c106ScalarEENKUlvE_clEvENKUlvE_clEvEUldE_St5arrayIPcLm2EEEEviT0_T1_ ; -- Begin function _ZN2at6native29vectorized_elementwise_kernelILi8EZZZNS0_12_GLOBAL__N_117hardshrink_kernelERNS_18TensorIteratorBaseERKN3c106ScalarEENKUlvE_clEvENKUlvE_clEvEUldE_St5arrayIPcLm2EEEEviT0_T1_
	.p2align	8
	.type	_ZN2at6native29vectorized_elementwise_kernelILi8EZZZNS0_12_GLOBAL__N_117hardshrink_kernelERNS_18TensorIteratorBaseERKN3c106ScalarEENKUlvE_clEvENKUlvE_clEvEUldE_St5arrayIPcLm2EEEEviT0_T1_,@function
_ZN2at6native29vectorized_elementwise_kernelILi8EZZZNS0_12_GLOBAL__N_117hardshrink_kernelERNS_18TensorIteratorBaseERKN3c106ScalarEENKUlvE_clEvENKUlvE_clEvEUldE_St5arrayIPcLm2EEEEviT0_T1_: ; @_ZN2at6native29vectorized_elementwise_kernelILi8EZZZNS0_12_GLOBAL__N_117hardshrink_kernelERNS_18TensorIteratorBaseERKN3c106ScalarEENKUlvE_clEvENKUlvE_clEvEUldE_St5arrayIPcLm2EEEEviT0_T1_
; %bb.0:
	s_load_dword s0, s[4:5], 0x0
	s_load_dwordx4 s[8:11], s[4:5], 0x8
	s_load_dwordx2 s[12:13], s[4:5], 0x18
	s_lshl_b32 s6, s6, 10
	s_waitcnt lgkmcnt(0)
	s_sub_i32 s14, s0, s6
	s_cmpk_gt_i32 s14, 0x3ff
	s_mov_b64 s[0:1], -1
	s_cbranch_scc0 .LBB1_2
; %bb.1:
	s_ashr_i32 s7, s6, 31
	s_lshl_b64 s[16:17], s[6:7], 3
	s_add_u32 s0, s12, s16
	s_addc_u32 s1, s13, s17
	v_lshlrev_b32_e32 v9, 5, v0
	global_load_dwordx4 v[1:4], v9, s[0:1]
	global_load_dwordx4 v[5:8], v9, s[0:1] offset:16
	s_waitcnt vmcnt(1)
	v_cmp_nge_f64_e64 s[18:19], v[1:2], -s[8:9]
	v_cmp_nge_f64_e32 vcc, s[8:9], v[1:2]
	v_cmp_nge_f64_e64 s[20:21], v[3:4], -s[8:9]
	v_cmp_nge_f64_e64 s[0:1], s[8:9], v[3:4]
	s_waitcnt vmcnt(0)
	v_cmp_nge_f64_e64 s[22:23], v[5:6], -s[8:9]
	v_cmp_nge_f64_e64 s[2:3], s[8:9], v[5:6]
	v_cmp_nge_f64_e64 s[24:25], v[7:8], -s[8:9]
	v_cmp_nge_f64_e64 s[4:5], s[8:9], v[7:8]
	s_or_b64 vcc, s[18:19], vcc
	v_cndmask_b32_e32 v2, 0, v2, vcc
	s_or_b64 s[0:1], s[20:21], s[0:1]
	v_cndmask_b32_e64 v4, 0, v4, s[0:1]
	s_or_b64 s[2:3], s[22:23], s[2:3]
	v_cndmask_b32_e64 v3, 0, v3, s[0:1]
	s_or_b64 s[4:5], s[24:25], s[4:5]
	s_add_u32 s0, s10, s16
	v_cndmask_b32_e32 v1, 0, v1, vcc
	s_addc_u32 s1, s11, s17
	v_cndmask_b32_e64 v6, 0, v6, s[2:3]
	v_cndmask_b32_e64 v8, 0, v8, s[4:5]
	;; [unrolled: 1-line block ×4, first 2 shown]
	global_store_dwordx4 v9, v[1:4], s[0:1]
	global_store_dwordx4 v9, v[5:8], s[0:1] offset:16
	s_mov_b64 s[0:1], 0
.LBB1_2:
	s_andn2_b64 vcc, exec, s[0:1]
	s_cbranch_vccnz .LBB1_16
; %bb.3:
	v_mov_b32_e32 v3, 0
	v_mov_b32_e32 v5, 0
	v_cmp_gt_i32_e32 vcc, s14, v0
	v_mov_b32_e32 v4, 0
	v_or_b32_e32 v1, s6, v0
	v_mov_b32_e32 v6, 0
	v_mov_b32_e32 v2, v0
	s_and_saveexec_b64 s[2:3], vcc
	s_cbranch_execz .LBB1_5
; %bb.4:
	v_mov_b32_e32 v2, 0
	v_lshlrev_b64 v[5:6], 3, v[1:2]
	v_mov_b32_e32 v2, s13
	v_add_co_u32_e64 v5, s[0:1], s12, v5
	v_addc_co_u32_e64 v6, s[0:1], v2, v6, s[0:1]
	global_load_dwordx2 v[5:6], v[5:6], off
	v_or_b32_e32 v2, 0x100, v0
.LBB1_5:
	s_or_b64 exec, exec, s[2:3]
	v_cmp_gt_i32_e64 s[0:1], s14, v2
	s_and_saveexec_b64 s[2:3], s[0:1]
	s_cbranch_execz .LBB1_7
; %bb.6:
	v_add_u32_e32 v3, s6, v2
	v_mov_b32_e32 v4, 0
	v_lshlrev_b64 v[3:4], 3, v[3:4]
	v_mov_b32_e32 v7, s13
	v_add_co_u32_e64 v3, s[0:1], s12, v3
	v_addc_co_u32_e64 v4, s[0:1], v7, v4, s[0:1]
	global_load_dwordx2 v[3:4], v[3:4], off
	v_add_u32_e32 v2, 0x100, v2
.LBB1_7:
	s_or_b64 exec, exec, s[2:3]
	v_mov_b32_e32 v7, 0
	v_mov_b32_e32 v9, 0
	;; [unrolled: 1-line block ×4, first 2 shown]
	v_cmp_gt_i32_e64 s[0:1], s14, v2
	s_and_saveexec_b64 s[2:3], s[0:1]
	s_cbranch_execz .LBB1_9
; %bb.8:
	v_add_u32_e32 v9, s6, v2
	v_mov_b32_e32 v10, 0
	v_lshlrev_b64 v[9:10], 3, v[9:10]
	v_mov_b32_e32 v11, s13
	v_add_co_u32_e64 v9, s[0:1], s12, v9
	v_addc_co_u32_e64 v10, s[0:1], v11, v10, s[0:1]
	global_load_dwordx2 v[9:10], v[9:10], off
	v_add_u32_e32 v2, 0x100, v2
.LBB1_9:
	s_or_b64 exec, exec, s[2:3]
	v_cmp_gt_i32_e64 s[0:1], s14, v2
	s_and_saveexec_b64 s[2:3], s[0:1]
	s_cbranch_execz .LBB1_11
; %bb.10:
	v_add_u32_e32 v7, s6, v2
	v_mov_b32_e32 v8, 0
	v_lshlrev_b64 v[7:8], 3, v[7:8]
	v_mov_b32_e32 v2, s13
	v_add_co_u32_e64 v7, s[0:1], s12, v7
	v_addc_co_u32_e64 v8, s[0:1], v2, v8, s[0:1]
	global_load_dwordx2 v[7:8], v[7:8], off
.LBB1_11:
	s_or_b64 exec, exec, s[2:3]
	s_waitcnt vmcnt(0)
	v_cmp_nge_f64_e64 s[12:13], v[5:6], -s[8:9]
	v_cmp_nge_f64_e64 s[0:1], s[8:9], v[5:6]
	v_cmp_nge_f64_e64 s[16:17], v[3:4], -s[8:9]
	v_cmp_nge_f64_e64 s[2:3], s[8:9], v[3:4]
	v_or_b32_e32 v15, 0x100, v0
	v_cmp_gt_i32_e64 s[4:5], s14, v15
	v_or_b32_e32 v2, 0x200, v0
	s_or_b64 s[0:1], s[12:13], s[0:1]
	s_and_b64 s[0:1], vcc, s[0:1]
	s_or_b64 s[2:3], s[16:17], s[2:3]
	v_cndmask_b32_e64 v14, 0, v6, s[0:1]
	v_cndmask_b32_e64 v13, 0, v5, s[0:1]
	v_cmp_nge_f64_e64 s[12:13], v[9:10], -s[8:9]
	v_cmp_nge_f64_e64 s[0:1], s[8:9], v[9:10]
	s_and_b64 s[2:3], s[4:5], s[2:3]
	v_cndmask_b32_e64 v12, 0, v4, s[2:3]
	v_cndmask_b32_e64 v11, 0, v3, s[2:3]
	v_cmp_nge_f64_e64 s[16:17], v[7:8], -s[8:9]
	v_cmp_nge_f64_e64 s[2:3], s[8:9], v[7:8]
	v_cmp_gt_i32_e64 s[4:5], s14, v2
	v_or_b32_e32 v2, 0x300, v0
	s_or_b64 s[0:1], s[12:13], s[0:1]
	s_and_b64 s[0:1], s[4:5], s[0:1]
	v_cndmask_b32_e64 v6, 0, v10, s[0:1]
	v_cndmask_b32_e64 v5, 0, v9, s[0:1]
	v_cmp_gt_i32_e64 s[0:1], s14, v2
	s_or_b64 s[2:3], s[16:17], s[2:3]
	s_and_b64 s[0:1], s[0:1], s[2:3]
	v_cndmask_b32_e64 v4, 0, v8, s[0:1]
	v_cndmask_b32_e64 v3, 0, v7, s[0:1]
	s_and_saveexec_b64 s[0:1], vcc
	s_cbranch_execnz .LBB1_17
; %bb.12:
	s_or_b64 exec, exec, s[0:1]
	v_cmp_gt_i32_e32 vcc, s14, v0
	s_and_saveexec_b64 s[0:1], vcc
	s_cbranch_execnz .LBB1_18
.LBB1_13:
	s_or_b64 exec, exec, s[0:1]
	v_cmp_gt_i32_e32 vcc, s14, v0
	s_and_saveexec_b64 s[0:1], vcc
	s_cbranch_execnz .LBB1_19
.LBB1_14:
	s_or_b64 exec, exec, s[0:1]
	v_cmp_gt_i32_e32 vcc, s14, v0
	s_and_saveexec_b64 s[0:1], vcc
	s_cbranch_execz .LBB1_16
.LBB1_15:
	v_add_u32_e32 v0, s6, v0
	v_mov_b32_e32 v1, 0
	v_lshlrev_b64 v[0:1], 3, v[0:1]
	v_mov_b32_e32 v2, s11
	v_add_co_u32_e32 v0, vcc, s10, v0
	v_addc_co_u32_e32 v1, vcc, v2, v1, vcc
	global_store_dwordx2 v[0:1], v[3:4], off
.LBB1_16:
	s_endpgm
.LBB1_17:
	v_mov_b32_e32 v2, 0
	v_lshlrev_b64 v[0:1], 3, v[1:2]
	v_mov_b32_e32 v2, s11
	v_add_co_u32_e32 v0, vcc, s10, v0
	v_addc_co_u32_e32 v1, vcc, v2, v1, vcc
	global_store_dwordx2 v[0:1], v[13:14], off
	v_mov_b32_e32 v0, v15
	s_or_b64 exec, exec, s[0:1]
	v_cmp_gt_i32_e32 vcc, s14, v0
	s_and_saveexec_b64 s[0:1], vcc
	s_cbranch_execz .LBB1_13
.LBB1_18:
	v_add_u32_e32 v1, s6, v0
	v_mov_b32_e32 v2, 0
	v_lshlrev_b64 v[1:2], 3, v[1:2]
	v_mov_b32_e32 v7, s11
	v_add_co_u32_e32 v1, vcc, s10, v1
	v_addc_co_u32_e32 v2, vcc, v7, v2, vcc
	v_add_u32_e32 v0, 0x100, v0
	global_store_dwordx2 v[1:2], v[11:12], off
	s_or_b64 exec, exec, s[0:1]
	v_cmp_gt_i32_e32 vcc, s14, v0
	s_and_saveexec_b64 s[0:1], vcc
	s_cbranch_execz .LBB1_14
.LBB1_19:
	v_add_u32_e32 v1, s6, v0
	v_mov_b32_e32 v2, 0
	v_lshlrev_b64 v[1:2], 3, v[1:2]
	v_mov_b32_e32 v7, s11
	v_add_co_u32_e32 v1, vcc, s10, v1
	v_addc_co_u32_e32 v2, vcc, v7, v2, vcc
	v_add_u32_e32 v0, 0x100, v0
	global_store_dwordx2 v[1:2], v[5:6], off
	s_or_b64 exec, exec, s[0:1]
	v_cmp_gt_i32_e32 vcc, s14, v0
	s_and_saveexec_b64 s[0:1], vcc
	s_cbranch_execnz .LBB1_15
	s_branch .LBB1_16
	.section	.rodata,"a",@progbits
	.p2align	6, 0x0
	.amdhsa_kernel _ZN2at6native29vectorized_elementwise_kernelILi8EZZZNS0_12_GLOBAL__N_117hardshrink_kernelERNS_18TensorIteratorBaseERKN3c106ScalarEENKUlvE_clEvENKUlvE_clEvEUldE_St5arrayIPcLm2EEEEviT0_T1_
		.amdhsa_group_segment_fixed_size 0
		.amdhsa_private_segment_fixed_size 0
		.amdhsa_kernarg_size 32
		.amdhsa_user_sgpr_count 6
		.amdhsa_user_sgpr_private_segment_buffer 1
		.amdhsa_user_sgpr_dispatch_ptr 0
		.amdhsa_user_sgpr_queue_ptr 0
		.amdhsa_user_sgpr_kernarg_segment_ptr 1
		.amdhsa_user_sgpr_dispatch_id 0
		.amdhsa_user_sgpr_flat_scratch_init 0
		.amdhsa_user_sgpr_private_segment_size 0
		.amdhsa_uses_dynamic_stack 0
		.amdhsa_system_sgpr_private_segment_wavefront_offset 0
		.amdhsa_system_sgpr_workgroup_id_x 1
		.amdhsa_system_sgpr_workgroup_id_y 0
		.amdhsa_system_sgpr_workgroup_id_z 0
		.amdhsa_system_sgpr_workgroup_info 0
		.amdhsa_system_vgpr_workitem_id 0
		.amdhsa_next_free_vgpr 16
		.amdhsa_next_free_sgpr 26
		.amdhsa_reserve_vcc 1
		.amdhsa_reserve_flat_scratch 0
		.amdhsa_float_round_mode_32 0
		.amdhsa_float_round_mode_16_64 0
		.amdhsa_float_denorm_mode_32 3
		.amdhsa_float_denorm_mode_16_64 3
		.amdhsa_dx10_clamp 1
		.amdhsa_ieee_mode 1
		.amdhsa_fp16_overflow 0
		.amdhsa_exception_fp_ieee_invalid_op 0
		.amdhsa_exception_fp_denorm_src 0
		.amdhsa_exception_fp_ieee_div_zero 0
		.amdhsa_exception_fp_ieee_overflow 0
		.amdhsa_exception_fp_ieee_underflow 0
		.amdhsa_exception_fp_ieee_inexact 0
		.amdhsa_exception_int_div_zero 0
	.end_amdhsa_kernel
	.section	.text._ZN2at6native29vectorized_elementwise_kernelILi8EZZZNS0_12_GLOBAL__N_117hardshrink_kernelERNS_18TensorIteratorBaseERKN3c106ScalarEENKUlvE_clEvENKUlvE_clEvEUldE_St5arrayIPcLm2EEEEviT0_T1_,"axG",@progbits,_ZN2at6native29vectorized_elementwise_kernelILi8EZZZNS0_12_GLOBAL__N_117hardshrink_kernelERNS_18TensorIteratorBaseERKN3c106ScalarEENKUlvE_clEvENKUlvE_clEvEUldE_St5arrayIPcLm2EEEEviT0_T1_,comdat
.Lfunc_end1:
	.size	_ZN2at6native29vectorized_elementwise_kernelILi8EZZZNS0_12_GLOBAL__N_117hardshrink_kernelERNS_18TensorIteratorBaseERKN3c106ScalarEENKUlvE_clEvENKUlvE_clEvEUldE_St5arrayIPcLm2EEEEviT0_T1_, .Lfunc_end1-_ZN2at6native29vectorized_elementwise_kernelILi8EZZZNS0_12_GLOBAL__N_117hardshrink_kernelERNS_18TensorIteratorBaseERKN3c106ScalarEENKUlvE_clEvENKUlvE_clEvEUldE_St5arrayIPcLm2EEEEviT0_T1_
                                        ; -- End function
	.set _ZN2at6native29vectorized_elementwise_kernelILi8EZZZNS0_12_GLOBAL__N_117hardshrink_kernelERNS_18TensorIteratorBaseERKN3c106ScalarEENKUlvE_clEvENKUlvE_clEvEUldE_St5arrayIPcLm2EEEEviT0_T1_.num_vgpr, 16
	.set _ZN2at6native29vectorized_elementwise_kernelILi8EZZZNS0_12_GLOBAL__N_117hardshrink_kernelERNS_18TensorIteratorBaseERKN3c106ScalarEENKUlvE_clEvENKUlvE_clEvEUldE_St5arrayIPcLm2EEEEviT0_T1_.num_agpr, 0
	.set _ZN2at6native29vectorized_elementwise_kernelILi8EZZZNS0_12_GLOBAL__N_117hardshrink_kernelERNS_18TensorIteratorBaseERKN3c106ScalarEENKUlvE_clEvENKUlvE_clEvEUldE_St5arrayIPcLm2EEEEviT0_T1_.numbered_sgpr, 26
	.set _ZN2at6native29vectorized_elementwise_kernelILi8EZZZNS0_12_GLOBAL__N_117hardshrink_kernelERNS_18TensorIteratorBaseERKN3c106ScalarEENKUlvE_clEvENKUlvE_clEvEUldE_St5arrayIPcLm2EEEEviT0_T1_.num_named_barrier, 0
	.set _ZN2at6native29vectorized_elementwise_kernelILi8EZZZNS0_12_GLOBAL__N_117hardshrink_kernelERNS_18TensorIteratorBaseERKN3c106ScalarEENKUlvE_clEvENKUlvE_clEvEUldE_St5arrayIPcLm2EEEEviT0_T1_.private_seg_size, 0
	.set _ZN2at6native29vectorized_elementwise_kernelILi8EZZZNS0_12_GLOBAL__N_117hardshrink_kernelERNS_18TensorIteratorBaseERKN3c106ScalarEENKUlvE_clEvENKUlvE_clEvEUldE_St5arrayIPcLm2EEEEviT0_T1_.uses_vcc, 1
	.set _ZN2at6native29vectorized_elementwise_kernelILi8EZZZNS0_12_GLOBAL__N_117hardshrink_kernelERNS_18TensorIteratorBaseERKN3c106ScalarEENKUlvE_clEvENKUlvE_clEvEUldE_St5arrayIPcLm2EEEEviT0_T1_.uses_flat_scratch, 0
	.set _ZN2at6native29vectorized_elementwise_kernelILi8EZZZNS0_12_GLOBAL__N_117hardshrink_kernelERNS_18TensorIteratorBaseERKN3c106ScalarEENKUlvE_clEvENKUlvE_clEvEUldE_St5arrayIPcLm2EEEEviT0_T1_.has_dyn_sized_stack, 0
	.set _ZN2at6native29vectorized_elementwise_kernelILi8EZZZNS0_12_GLOBAL__N_117hardshrink_kernelERNS_18TensorIteratorBaseERKN3c106ScalarEENKUlvE_clEvENKUlvE_clEvEUldE_St5arrayIPcLm2EEEEviT0_T1_.has_recursion, 0
	.set _ZN2at6native29vectorized_elementwise_kernelILi8EZZZNS0_12_GLOBAL__N_117hardshrink_kernelERNS_18TensorIteratorBaseERKN3c106ScalarEENKUlvE_clEvENKUlvE_clEvEUldE_St5arrayIPcLm2EEEEviT0_T1_.has_indirect_call, 0
	.section	.AMDGPU.csdata,"",@progbits
; Kernel info:
; codeLenInByte = 1056
; TotalNumSgprs: 30
; NumVgprs: 16
; ScratchSize: 0
; MemoryBound: 0
; FloatMode: 240
; IeeeMode: 1
; LDSByteSize: 0 bytes/workgroup (compile time only)
; SGPRBlocks: 3
; VGPRBlocks: 3
; NumSGPRsForWavesPerEU: 30
; NumVGPRsForWavesPerEU: 16
; Occupancy: 10
; WaveLimiterHint : 0
; COMPUTE_PGM_RSRC2:SCRATCH_EN: 0
; COMPUTE_PGM_RSRC2:USER_SGPR: 6
; COMPUTE_PGM_RSRC2:TRAP_HANDLER: 0
; COMPUTE_PGM_RSRC2:TGID_X_EN: 1
; COMPUTE_PGM_RSRC2:TGID_Y_EN: 0
; COMPUTE_PGM_RSRC2:TGID_Z_EN: 0
; COMPUTE_PGM_RSRC2:TIDIG_COMP_CNT: 0
	.section	.text._ZN2at6native29vectorized_elementwise_kernelILi4EZZZNS0_12_GLOBAL__N_117hardshrink_kernelERNS_18TensorIteratorBaseERKN3c106ScalarEENKUlvE_clEvENKUlvE_clEvEUldE_St5arrayIPcLm2EEEEviT0_T1_,"axG",@progbits,_ZN2at6native29vectorized_elementwise_kernelILi4EZZZNS0_12_GLOBAL__N_117hardshrink_kernelERNS_18TensorIteratorBaseERKN3c106ScalarEENKUlvE_clEvENKUlvE_clEvEUldE_St5arrayIPcLm2EEEEviT0_T1_,comdat
	.globl	_ZN2at6native29vectorized_elementwise_kernelILi4EZZZNS0_12_GLOBAL__N_117hardshrink_kernelERNS_18TensorIteratorBaseERKN3c106ScalarEENKUlvE_clEvENKUlvE_clEvEUldE_St5arrayIPcLm2EEEEviT0_T1_ ; -- Begin function _ZN2at6native29vectorized_elementwise_kernelILi4EZZZNS0_12_GLOBAL__N_117hardshrink_kernelERNS_18TensorIteratorBaseERKN3c106ScalarEENKUlvE_clEvENKUlvE_clEvEUldE_St5arrayIPcLm2EEEEviT0_T1_
	.p2align	8
	.type	_ZN2at6native29vectorized_elementwise_kernelILi4EZZZNS0_12_GLOBAL__N_117hardshrink_kernelERNS_18TensorIteratorBaseERKN3c106ScalarEENKUlvE_clEvENKUlvE_clEvEUldE_St5arrayIPcLm2EEEEviT0_T1_,@function
_ZN2at6native29vectorized_elementwise_kernelILi4EZZZNS0_12_GLOBAL__N_117hardshrink_kernelERNS_18TensorIteratorBaseERKN3c106ScalarEENKUlvE_clEvENKUlvE_clEvEUldE_St5arrayIPcLm2EEEEviT0_T1_: ; @_ZN2at6native29vectorized_elementwise_kernelILi4EZZZNS0_12_GLOBAL__N_117hardshrink_kernelERNS_18TensorIteratorBaseERKN3c106ScalarEENKUlvE_clEvENKUlvE_clEvEUldE_St5arrayIPcLm2EEEEviT0_T1_
; %bb.0:
	s_load_dword s0, s[4:5], 0x0
	s_load_dwordx4 s[8:11], s[4:5], 0x8
	s_load_dwordx2 s[12:13], s[4:5], 0x18
	s_lshl_b32 s6, s6, 10
	s_waitcnt lgkmcnt(0)
	s_sub_i32 s14, s0, s6
	s_cmpk_gt_i32 s14, 0x3ff
	s_mov_b64 s[0:1], -1
	s_cbranch_scc0 .LBB2_2
; %bb.1:
	s_ashr_i32 s7, s6, 31
	s_lshl_b64 s[16:17], s[6:7], 3
	s_add_u32 s0, s12, s16
	s_addc_u32 s1, s13, s17
	v_lshlrev_b32_e32 v9, 5, v0
	global_load_dwordx4 v[1:4], v9, s[0:1]
	global_load_dwordx4 v[5:8], v9, s[0:1] offset:16
	s_waitcnt vmcnt(1)
	v_cmp_nge_f64_e64 s[18:19], v[1:2], -s[8:9]
	v_cmp_nge_f64_e32 vcc, s[8:9], v[1:2]
	v_cmp_nge_f64_e64 s[20:21], v[3:4], -s[8:9]
	v_cmp_nge_f64_e64 s[0:1], s[8:9], v[3:4]
	s_waitcnt vmcnt(0)
	v_cmp_nge_f64_e64 s[22:23], v[5:6], -s[8:9]
	v_cmp_nge_f64_e64 s[2:3], s[8:9], v[5:6]
	v_cmp_nge_f64_e64 s[24:25], v[7:8], -s[8:9]
	v_cmp_nge_f64_e64 s[4:5], s[8:9], v[7:8]
	s_or_b64 vcc, s[18:19], vcc
	v_cndmask_b32_e32 v2, 0, v2, vcc
	s_or_b64 s[0:1], s[20:21], s[0:1]
	v_cndmask_b32_e64 v4, 0, v4, s[0:1]
	s_or_b64 s[2:3], s[22:23], s[2:3]
	v_cndmask_b32_e64 v3, 0, v3, s[0:1]
	s_or_b64 s[4:5], s[24:25], s[4:5]
	s_add_u32 s0, s10, s16
	v_cndmask_b32_e32 v1, 0, v1, vcc
	s_addc_u32 s1, s11, s17
	v_cndmask_b32_e64 v6, 0, v6, s[2:3]
	v_cndmask_b32_e64 v8, 0, v8, s[4:5]
	;; [unrolled: 1-line block ×4, first 2 shown]
	global_store_dwordx4 v9, v[1:4], s[0:1]
	global_store_dwordx4 v9, v[5:8], s[0:1] offset:16
	s_mov_b64 s[0:1], 0
.LBB2_2:
	s_andn2_b64 vcc, exec, s[0:1]
	s_cbranch_vccnz .LBB2_16
; %bb.3:
	v_mov_b32_e32 v3, 0
	v_mov_b32_e32 v5, 0
	v_cmp_gt_i32_e32 vcc, s14, v0
	v_mov_b32_e32 v4, 0
	v_or_b32_e32 v1, s6, v0
	v_mov_b32_e32 v6, 0
	v_mov_b32_e32 v2, v0
	s_and_saveexec_b64 s[2:3], vcc
	s_cbranch_execz .LBB2_5
; %bb.4:
	v_mov_b32_e32 v2, 0
	v_lshlrev_b64 v[5:6], 3, v[1:2]
	v_mov_b32_e32 v2, s13
	v_add_co_u32_e64 v5, s[0:1], s12, v5
	v_addc_co_u32_e64 v6, s[0:1], v2, v6, s[0:1]
	global_load_dwordx2 v[5:6], v[5:6], off
	v_or_b32_e32 v2, 0x100, v0
.LBB2_5:
	s_or_b64 exec, exec, s[2:3]
	v_cmp_gt_i32_e64 s[0:1], s14, v2
	s_and_saveexec_b64 s[2:3], s[0:1]
	s_cbranch_execz .LBB2_7
; %bb.6:
	v_add_u32_e32 v3, s6, v2
	v_mov_b32_e32 v4, 0
	v_lshlrev_b64 v[3:4], 3, v[3:4]
	v_mov_b32_e32 v7, s13
	v_add_co_u32_e64 v3, s[0:1], s12, v3
	v_addc_co_u32_e64 v4, s[0:1], v7, v4, s[0:1]
	global_load_dwordx2 v[3:4], v[3:4], off
	v_add_u32_e32 v2, 0x100, v2
.LBB2_7:
	s_or_b64 exec, exec, s[2:3]
	v_mov_b32_e32 v7, 0
	v_mov_b32_e32 v9, 0
	;; [unrolled: 1-line block ×4, first 2 shown]
	v_cmp_gt_i32_e64 s[0:1], s14, v2
	s_and_saveexec_b64 s[2:3], s[0:1]
	s_cbranch_execz .LBB2_9
; %bb.8:
	v_add_u32_e32 v9, s6, v2
	v_mov_b32_e32 v10, 0
	v_lshlrev_b64 v[9:10], 3, v[9:10]
	v_mov_b32_e32 v11, s13
	v_add_co_u32_e64 v9, s[0:1], s12, v9
	v_addc_co_u32_e64 v10, s[0:1], v11, v10, s[0:1]
	global_load_dwordx2 v[9:10], v[9:10], off
	v_add_u32_e32 v2, 0x100, v2
.LBB2_9:
	s_or_b64 exec, exec, s[2:3]
	v_cmp_gt_i32_e64 s[0:1], s14, v2
	s_and_saveexec_b64 s[2:3], s[0:1]
	s_cbranch_execz .LBB2_11
; %bb.10:
	v_add_u32_e32 v7, s6, v2
	v_mov_b32_e32 v8, 0
	v_lshlrev_b64 v[7:8], 3, v[7:8]
	v_mov_b32_e32 v2, s13
	v_add_co_u32_e64 v7, s[0:1], s12, v7
	v_addc_co_u32_e64 v8, s[0:1], v2, v8, s[0:1]
	global_load_dwordx2 v[7:8], v[7:8], off
.LBB2_11:
	s_or_b64 exec, exec, s[2:3]
	s_waitcnt vmcnt(0)
	v_cmp_nge_f64_e64 s[12:13], v[5:6], -s[8:9]
	v_cmp_nge_f64_e64 s[0:1], s[8:9], v[5:6]
	v_cmp_nge_f64_e64 s[16:17], v[3:4], -s[8:9]
	v_cmp_nge_f64_e64 s[2:3], s[8:9], v[3:4]
	v_or_b32_e32 v15, 0x100, v0
	v_cmp_gt_i32_e64 s[4:5], s14, v15
	v_or_b32_e32 v2, 0x200, v0
	s_or_b64 s[0:1], s[12:13], s[0:1]
	s_and_b64 s[0:1], vcc, s[0:1]
	s_or_b64 s[2:3], s[16:17], s[2:3]
	v_cndmask_b32_e64 v14, 0, v6, s[0:1]
	v_cndmask_b32_e64 v13, 0, v5, s[0:1]
	v_cmp_nge_f64_e64 s[12:13], v[9:10], -s[8:9]
	v_cmp_nge_f64_e64 s[0:1], s[8:9], v[9:10]
	s_and_b64 s[2:3], s[4:5], s[2:3]
	v_cndmask_b32_e64 v12, 0, v4, s[2:3]
	v_cndmask_b32_e64 v11, 0, v3, s[2:3]
	v_cmp_nge_f64_e64 s[16:17], v[7:8], -s[8:9]
	v_cmp_nge_f64_e64 s[2:3], s[8:9], v[7:8]
	v_cmp_gt_i32_e64 s[4:5], s14, v2
	v_or_b32_e32 v2, 0x300, v0
	s_or_b64 s[0:1], s[12:13], s[0:1]
	s_and_b64 s[0:1], s[4:5], s[0:1]
	v_cndmask_b32_e64 v6, 0, v10, s[0:1]
	v_cndmask_b32_e64 v5, 0, v9, s[0:1]
	v_cmp_gt_i32_e64 s[0:1], s14, v2
	s_or_b64 s[2:3], s[16:17], s[2:3]
	s_and_b64 s[0:1], s[0:1], s[2:3]
	v_cndmask_b32_e64 v4, 0, v8, s[0:1]
	v_cndmask_b32_e64 v3, 0, v7, s[0:1]
	s_and_saveexec_b64 s[0:1], vcc
	s_cbranch_execnz .LBB2_17
; %bb.12:
	s_or_b64 exec, exec, s[0:1]
	v_cmp_gt_i32_e32 vcc, s14, v0
	s_and_saveexec_b64 s[0:1], vcc
	s_cbranch_execnz .LBB2_18
.LBB2_13:
	s_or_b64 exec, exec, s[0:1]
	v_cmp_gt_i32_e32 vcc, s14, v0
	s_and_saveexec_b64 s[0:1], vcc
	s_cbranch_execnz .LBB2_19
.LBB2_14:
	s_or_b64 exec, exec, s[0:1]
	v_cmp_gt_i32_e32 vcc, s14, v0
	s_and_saveexec_b64 s[0:1], vcc
	s_cbranch_execz .LBB2_16
.LBB2_15:
	v_add_u32_e32 v0, s6, v0
	v_mov_b32_e32 v1, 0
	v_lshlrev_b64 v[0:1], 3, v[0:1]
	v_mov_b32_e32 v2, s11
	v_add_co_u32_e32 v0, vcc, s10, v0
	v_addc_co_u32_e32 v1, vcc, v2, v1, vcc
	global_store_dwordx2 v[0:1], v[3:4], off
.LBB2_16:
	s_endpgm
.LBB2_17:
	v_mov_b32_e32 v2, 0
	v_lshlrev_b64 v[0:1], 3, v[1:2]
	v_mov_b32_e32 v2, s11
	v_add_co_u32_e32 v0, vcc, s10, v0
	v_addc_co_u32_e32 v1, vcc, v2, v1, vcc
	global_store_dwordx2 v[0:1], v[13:14], off
	v_mov_b32_e32 v0, v15
	s_or_b64 exec, exec, s[0:1]
	v_cmp_gt_i32_e32 vcc, s14, v0
	s_and_saveexec_b64 s[0:1], vcc
	s_cbranch_execz .LBB2_13
.LBB2_18:
	v_add_u32_e32 v1, s6, v0
	v_mov_b32_e32 v2, 0
	v_lshlrev_b64 v[1:2], 3, v[1:2]
	v_mov_b32_e32 v7, s11
	v_add_co_u32_e32 v1, vcc, s10, v1
	v_addc_co_u32_e32 v2, vcc, v7, v2, vcc
	v_add_u32_e32 v0, 0x100, v0
	global_store_dwordx2 v[1:2], v[11:12], off
	s_or_b64 exec, exec, s[0:1]
	v_cmp_gt_i32_e32 vcc, s14, v0
	s_and_saveexec_b64 s[0:1], vcc
	s_cbranch_execz .LBB2_14
.LBB2_19:
	v_add_u32_e32 v1, s6, v0
	v_mov_b32_e32 v2, 0
	v_lshlrev_b64 v[1:2], 3, v[1:2]
	v_mov_b32_e32 v7, s11
	v_add_co_u32_e32 v1, vcc, s10, v1
	v_addc_co_u32_e32 v2, vcc, v7, v2, vcc
	v_add_u32_e32 v0, 0x100, v0
	global_store_dwordx2 v[1:2], v[5:6], off
	s_or_b64 exec, exec, s[0:1]
	v_cmp_gt_i32_e32 vcc, s14, v0
	s_and_saveexec_b64 s[0:1], vcc
	s_cbranch_execnz .LBB2_15
	s_branch .LBB2_16
	.section	.rodata,"a",@progbits
	.p2align	6, 0x0
	.amdhsa_kernel _ZN2at6native29vectorized_elementwise_kernelILi4EZZZNS0_12_GLOBAL__N_117hardshrink_kernelERNS_18TensorIteratorBaseERKN3c106ScalarEENKUlvE_clEvENKUlvE_clEvEUldE_St5arrayIPcLm2EEEEviT0_T1_
		.amdhsa_group_segment_fixed_size 0
		.amdhsa_private_segment_fixed_size 0
		.amdhsa_kernarg_size 32
		.amdhsa_user_sgpr_count 6
		.amdhsa_user_sgpr_private_segment_buffer 1
		.amdhsa_user_sgpr_dispatch_ptr 0
		.amdhsa_user_sgpr_queue_ptr 0
		.amdhsa_user_sgpr_kernarg_segment_ptr 1
		.amdhsa_user_sgpr_dispatch_id 0
		.amdhsa_user_sgpr_flat_scratch_init 0
		.amdhsa_user_sgpr_private_segment_size 0
		.amdhsa_uses_dynamic_stack 0
		.amdhsa_system_sgpr_private_segment_wavefront_offset 0
		.amdhsa_system_sgpr_workgroup_id_x 1
		.amdhsa_system_sgpr_workgroup_id_y 0
		.amdhsa_system_sgpr_workgroup_id_z 0
		.amdhsa_system_sgpr_workgroup_info 0
		.amdhsa_system_vgpr_workitem_id 0
		.amdhsa_next_free_vgpr 16
		.amdhsa_next_free_sgpr 26
		.amdhsa_reserve_vcc 1
		.amdhsa_reserve_flat_scratch 0
		.amdhsa_float_round_mode_32 0
		.amdhsa_float_round_mode_16_64 0
		.amdhsa_float_denorm_mode_32 3
		.amdhsa_float_denorm_mode_16_64 3
		.amdhsa_dx10_clamp 1
		.amdhsa_ieee_mode 1
		.amdhsa_fp16_overflow 0
		.amdhsa_exception_fp_ieee_invalid_op 0
		.amdhsa_exception_fp_denorm_src 0
		.amdhsa_exception_fp_ieee_div_zero 0
		.amdhsa_exception_fp_ieee_overflow 0
		.amdhsa_exception_fp_ieee_underflow 0
		.amdhsa_exception_fp_ieee_inexact 0
		.amdhsa_exception_int_div_zero 0
	.end_amdhsa_kernel
	.section	.text._ZN2at6native29vectorized_elementwise_kernelILi4EZZZNS0_12_GLOBAL__N_117hardshrink_kernelERNS_18TensorIteratorBaseERKN3c106ScalarEENKUlvE_clEvENKUlvE_clEvEUldE_St5arrayIPcLm2EEEEviT0_T1_,"axG",@progbits,_ZN2at6native29vectorized_elementwise_kernelILi4EZZZNS0_12_GLOBAL__N_117hardshrink_kernelERNS_18TensorIteratorBaseERKN3c106ScalarEENKUlvE_clEvENKUlvE_clEvEUldE_St5arrayIPcLm2EEEEviT0_T1_,comdat
.Lfunc_end2:
	.size	_ZN2at6native29vectorized_elementwise_kernelILi4EZZZNS0_12_GLOBAL__N_117hardshrink_kernelERNS_18TensorIteratorBaseERKN3c106ScalarEENKUlvE_clEvENKUlvE_clEvEUldE_St5arrayIPcLm2EEEEviT0_T1_, .Lfunc_end2-_ZN2at6native29vectorized_elementwise_kernelILi4EZZZNS0_12_GLOBAL__N_117hardshrink_kernelERNS_18TensorIteratorBaseERKN3c106ScalarEENKUlvE_clEvENKUlvE_clEvEUldE_St5arrayIPcLm2EEEEviT0_T1_
                                        ; -- End function
	.set _ZN2at6native29vectorized_elementwise_kernelILi4EZZZNS0_12_GLOBAL__N_117hardshrink_kernelERNS_18TensorIteratorBaseERKN3c106ScalarEENKUlvE_clEvENKUlvE_clEvEUldE_St5arrayIPcLm2EEEEviT0_T1_.num_vgpr, 16
	.set _ZN2at6native29vectorized_elementwise_kernelILi4EZZZNS0_12_GLOBAL__N_117hardshrink_kernelERNS_18TensorIteratorBaseERKN3c106ScalarEENKUlvE_clEvENKUlvE_clEvEUldE_St5arrayIPcLm2EEEEviT0_T1_.num_agpr, 0
	.set _ZN2at6native29vectorized_elementwise_kernelILi4EZZZNS0_12_GLOBAL__N_117hardshrink_kernelERNS_18TensorIteratorBaseERKN3c106ScalarEENKUlvE_clEvENKUlvE_clEvEUldE_St5arrayIPcLm2EEEEviT0_T1_.numbered_sgpr, 26
	.set _ZN2at6native29vectorized_elementwise_kernelILi4EZZZNS0_12_GLOBAL__N_117hardshrink_kernelERNS_18TensorIteratorBaseERKN3c106ScalarEENKUlvE_clEvENKUlvE_clEvEUldE_St5arrayIPcLm2EEEEviT0_T1_.num_named_barrier, 0
	.set _ZN2at6native29vectorized_elementwise_kernelILi4EZZZNS0_12_GLOBAL__N_117hardshrink_kernelERNS_18TensorIteratorBaseERKN3c106ScalarEENKUlvE_clEvENKUlvE_clEvEUldE_St5arrayIPcLm2EEEEviT0_T1_.private_seg_size, 0
	.set _ZN2at6native29vectorized_elementwise_kernelILi4EZZZNS0_12_GLOBAL__N_117hardshrink_kernelERNS_18TensorIteratorBaseERKN3c106ScalarEENKUlvE_clEvENKUlvE_clEvEUldE_St5arrayIPcLm2EEEEviT0_T1_.uses_vcc, 1
	.set _ZN2at6native29vectorized_elementwise_kernelILi4EZZZNS0_12_GLOBAL__N_117hardshrink_kernelERNS_18TensorIteratorBaseERKN3c106ScalarEENKUlvE_clEvENKUlvE_clEvEUldE_St5arrayIPcLm2EEEEviT0_T1_.uses_flat_scratch, 0
	.set _ZN2at6native29vectorized_elementwise_kernelILi4EZZZNS0_12_GLOBAL__N_117hardshrink_kernelERNS_18TensorIteratorBaseERKN3c106ScalarEENKUlvE_clEvENKUlvE_clEvEUldE_St5arrayIPcLm2EEEEviT0_T1_.has_dyn_sized_stack, 0
	.set _ZN2at6native29vectorized_elementwise_kernelILi4EZZZNS0_12_GLOBAL__N_117hardshrink_kernelERNS_18TensorIteratorBaseERKN3c106ScalarEENKUlvE_clEvENKUlvE_clEvEUldE_St5arrayIPcLm2EEEEviT0_T1_.has_recursion, 0
	.set _ZN2at6native29vectorized_elementwise_kernelILi4EZZZNS0_12_GLOBAL__N_117hardshrink_kernelERNS_18TensorIteratorBaseERKN3c106ScalarEENKUlvE_clEvENKUlvE_clEvEUldE_St5arrayIPcLm2EEEEviT0_T1_.has_indirect_call, 0
	.section	.AMDGPU.csdata,"",@progbits
; Kernel info:
; codeLenInByte = 1056
; TotalNumSgprs: 30
; NumVgprs: 16
; ScratchSize: 0
; MemoryBound: 0
; FloatMode: 240
; IeeeMode: 1
; LDSByteSize: 0 bytes/workgroup (compile time only)
; SGPRBlocks: 3
; VGPRBlocks: 3
; NumSGPRsForWavesPerEU: 30
; NumVGPRsForWavesPerEU: 16
; Occupancy: 10
; WaveLimiterHint : 0
; COMPUTE_PGM_RSRC2:SCRATCH_EN: 0
; COMPUTE_PGM_RSRC2:USER_SGPR: 6
; COMPUTE_PGM_RSRC2:TRAP_HANDLER: 0
; COMPUTE_PGM_RSRC2:TGID_X_EN: 1
; COMPUTE_PGM_RSRC2:TGID_Y_EN: 0
; COMPUTE_PGM_RSRC2:TGID_Z_EN: 0
; COMPUTE_PGM_RSRC2:TIDIG_COMP_CNT: 0
	.section	.text._ZN2at6native29vectorized_elementwise_kernelILi2EZZZNS0_12_GLOBAL__N_117hardshrink_kernelERNS_18TensorIteratorBaseERKN3c106ScalarEENKUlvE_clEvENKUlvE_clEvEUldE_St5arrayIPcLm2EEEEviT0_T1_,"axG",@progbits,_ZN2at6native29vectorized_elementwise_kernelILi2EZZZNS0_12_GLOBAL__N_117hardshrink_kernelERNS_18TensorIteratorBaseERKN3c106ScalarEENKUlvE_clEvENKUlvE_clEvEUldE_St5arrayIPcLm2EEEEviT0_T1_,comdat
	.globl	_ZN2at6native29vectorized_elementwise_kernelILi2EZZZNS0_12_GLOBAL__N_117hardshrink_kernelERNS_18TensorIteratorBaseERKN3c106ScalarEENKUlvE_clEvENKUlvE_clEvEUldE_St5arrayIPcLm2EEEEviT0_T1_ ; -- Begin function _ZN2at6native29vectorized_elementwise_kernelILi2EZZZNS0_12_GLOBAL__N_117hardshrink_kernelERNS_18TensorIteratorBaseERKN3c106ScalarEENKUlvE_clEvENKUlvE_clEvEUldE_St5arrayIPcLm2EEEEviT0_T1_
	.p2align	8
	.type	_ZN2at6native29vectorized_elementwise_kernelILi2EZZZNS0_12_GLOBAL__N_117hardshrink_kernelERNS_18TensorIteratorBaseERKN3c106ScalarEENKUlvE_clEvENKUlvE_clEvEUldE_St5arrayIPcLm2EEEEviT0_T1_,@function
_ZN2at6native29vectorized_elementwise_kernelILi2EZZZNS0_12_GLOBAL__N_117hardshrink_kernelERNS_18TensorIteratorBaseERKN3c106ScalarEENKUlvE_clEvENKUlvE_clEvEUldE_St5arrayIPcLm2EEEEviT0_T1_: ; @_ZN2at6native29vectorized_elementwise_kernelILi2EZZZNS0_12_GLOBAL__N_117hardshrink_kernelERNS_18TensorIteratorBaseERKN3c106ScalarEENKUlvE_clEvENKUlvE_clEvEUldE_St5arrayIPcLm2EEEEviT0_T1_
; %bb.0:
	s_load_dword s0, s[4:5], 0x0
	s_load_dwordx4 s[8:11], s[4:5], 0x8
	s_load_dwordx2 s[12:13], s[4:5], 0x18
	s_lshl_b32 s6, s6, 10
	s_waitcnt lgkmcnt(0)
	s_sub_i32 s14, s0, s6
	s_cmpk_gt_i32 s14, 0x3ff
	s_mov_b64 s[0:1], -1
	s_cbranch_scc0 .LBB3_2
; %bb.1:
	s_ashr_i32 s7, s6, 31
	s_lshl_b64 s[16:17], s[6:7], 3
	s_add_u32 s0, s12, s16
	s_addc_u32 s1, s13, s17
	v_lshlrev_b32_e32 v9, 4, v0
	v_mov_b32_e32 v1, s1
	v_add_co_u32_e32 v5, vcc, s0, v9
	v_addc_co_u32_e32 v6, vcc, 0, v1, vcc
	v_add_co_u32_e32 v5, vcc, 0x1000, v5
	global_load_dwordx4 v[1:4], v9, s[0:1]
	v_addc_co_u32_e32 v6, vcc, 0, v6, vcc
	global_load_dwordx4 v[5:8], v[5:6], off
	s_waitcnt vmcnt(1)
	v_cmp_nge_f64_e64 s[18:19], v[1:2], -s[8:9]
	v_cmp_nge_f64_e32 vcc, s[8:9], v[1:2]
	v_cmp_nge_f64_e64 s[20:21], v[3:4], -s[8:9]
	v_cmp_nge_f64_e64 s[0:1], s[8:9], v[3:4]
	s_waitcnt vmcnt(0)
	v_cmp_nge_f64_e64 s[22:23], v[5:6], -s[8:9]
	v_cmp_nge_f64_e64 s[2:3], s[8:9], v[5:6]
	v_cmp_nge_f64_e64 s[24:25], v[7:8], -s[8:9]
	v_cmp_nge_f64_e64 s[4:5], s[8:9], v[7:8]
	s_or_b64 vcc, s[18:19], vcc
	v_cndmask_b32_e32 v2, 0, v2, vcc
	s_or_b64 s[0:1], s[20:21], s[0:1]
	v_cndmask_b32_e64 v4, 0, v4, s[0:1]
	v_cndmask_b32_e32 v1, 0, v1, vcc
	v_cndmask_b32_e64 v3, 0, v3, s[0:1]
	s_or_b64 vcc, s[22:23], s[2:3]
	s_or_b64 s[0:1], s[24:25], s[4:5]
	v_cndmask_b32_e64 v8, 0, v8, s[0:1]
	v_cndmask_b32_e64 v7, 0, v7, s[0:1]
	s_add_u32 s0, s10, s16
	s_addc_u32 s1, s11, s17
	v_cndmask_b32_e32 v6, 0, v6, vcc
	v_cndmask_b32_e32 v5, 0, v5, vcc
	v_mov_b32_e32 v10, s1
	global_store_dwordx4 v9, v[1:4], s[0:1]
	s_nop 0
	v_add_co_u32_e32 v1, vcc, s0, v9
	v_addc_co_u32_e32 v2, vcc, 0, v10, vcc
	v_add_co_u32_e32 v1, vcc, 0x1000, v1
	v_addc_co_u32_e32 v2, vcc, 0, v2, vcc
	global_store_dwordx4 v[1:2], v[5:8], off
	s_mov_b64 s[0:1], 0
.LBB3_2:
	s_andn2_b64 vcc, exec, s[0:1]
	s_cbranch_vccnz .LBB3_16
; %bb.3:
	v_mov_b32_e32 v3, 0
	v_mov_b32_e32 v5, 0
	v_cmp_gt_i32_e32 vcc, s14, v0
	v_mov_b32_e32 v4, 0
	v_or_b32_e32 v1, s6, v0
	v_mov_b32_e32 v6, 0
	v_mov_b32_e32 v2, v0
	s_and_saveexec_b64 s[2:3], vcc
	s_cbranch_execz .LBB3_5
; %bb.4:
	v_mov_b32_e32 v2, 0
	v_lshlrev_b64 v[5:6], 3, v[1:2]
	v_mov_b32_e32 v2, s13
	v_add_co_u32_e64 v5, s[0:1], s12, v5
	v_addc_co_u32_e64 v6, s[0:1], v2, v6, s[0:1]
	global_load_dwordx2 v[5:6], v[5:6], off
	v_or_b32_e32 v2, 0x100, v0
.LBB3_5:
	s_or_b64 exec, exec, s[2:3]
	v_cmp_gt_i32_e64 s[0:1], s14, v2
	s_and_saveexec_b64 s[2:3], s[0:1]
	s_cbranch_execz .LBB3_7
; %bb.6:
	v_add_u32_e32 v3, s6, v2
	v_mov_b32_e32 v4, 0
	v_lshlrev_b64 v[3:4], 3, v[3:4]
	v_mov_b32_e32 v7, s13
	v_add_co_u32_e64 v3, s[0:1], s12, v3
	v_addc_co_u32_e64 v4, s[0:1], v7, v4, s[0:1]
	global_load_dwordx2 v[3:4], v[3:4], off
	v_add_u32_e32 v2, 0x100, v2
.LBB3_7:
	s_or_b64 exec, exec, s[2:3]
	v_mov_b32_e32 v7, 0
	v_mov_b32_e32 v9, 0
	;; [unrolled: 1-line block ×4, first 2 shown]
	v_cmp_gt_i32_e64 s[0:1], s14, v2
	s_and_saveexec_b64 s[2:3], s[0:1]
	s_cbranch_execz .LBB3_9
; %bb.8:
	v_add_u32_e32 v9, s6, v2
	v_mov_b32_e32 v10, 0
	v_lshlrev_b64 v[9:10], 3, v[9:10]
	v_mov_b32_e32 v11, s13
	v_add_co_u32_e64 v9, s[0:1], s12, v9
	v_addc_co_u32_e64 v10, s[0:1], v11, v10, s[0:1]
	global_load_dwordx2 v[9:10], v[9:10], off
	v_add_u32_e32 v2, 0x100, v2
.LBB3_9:
	s_or_b64 exec, exec, s[2:3]
	v_cmp_gt_i32_e64 s[0:1], s14, v2
	s_and_saveexec_b64 s[2:3], s[0:1]
	s_cbranch_execz .LBB3_11
; %bb.10:
	v_add_u32_e32 v7, s6, v2
	v_mov_b32_e32 v8, 0
	v_lshlrev_b64 v[7:8], 3, v[7:8]
	v_mov_b32_e32 v2, s13
	v_add_co_u32_e64 v7, s[0:1], s12, v7
	v_addc_co_u32_e64 v8, s[0:1], v2, v8, s[0:1]
	global_load_dwordx2 v[7:8], v[7:8], off
.LBB3_11:
	s_or_b64 exec, exec, s[2:3]
	s_waitcnt vmcnt(0)
	v_cmp_nge_f64_e64 s[12:13], v[5:6], -s[8:9]
	v_cmp_nge_f64_e64 s[0:1], s[8:9], v[5:6]
	v_cmp_nge_f64_e64 s[16:17], v[3:4], -s[8:9]
	v_cmp_nge_f64_e64 s[2:3], s[8:9], v[3:4]
	v_or_b32_e32 v15, 0x100, v0
	v_cmp_gt_i32_e64 s[4:5], s14, v15
	v_or_b32_e32 v2, 0x200, v0
	s_or_b64 s[0:1], s[12:13], s[0:1]
	s_and_b64 s[0:1], vcc, s[0:1]
	s_or_b64 s[2:3], s[16:17], s[2:3]
	v_cndmask_b32_e64 v14, 0, v6, s[0:1]
	v_cndmask_b32_e64 v13, 0, v5, s[0:1]
	v_cmp_nge_f64_e64 s[12:13], v[9:10], -s[8:9]
	v_cmp_nge_f64_e64 s[0:1], s[8:9], v[9:10]
	s_and_b64 s[2:3], s[4:5], s[2:3]
	v_cndmask_b32_e64 v12, 0, v4, s[2:3]
	v_cndmask_b32_e64 v11, 0, v3, s[2:3]
	v_cmp_nge_f64_e64 s[16:17], v[7:8], -s[8:9]
	v_cmp_nge_f64_e64 s[2:3], s[8:9], v[7:8]
	v_cmp_gt_i32_e64 s[4:5], s14, v2
	v_or_b32_e32 v2, 0x300, v0
	s_or_b64 s[0:1], s[12:13], s[0:1]
	s_and_b64 s[0:1], s[4:5], s[0:1]
	v_cndmask_b32_e64 v6, 0, v10, s[0:1]
	v_cndmask_b32_e64 v5, 0, v9, s[0:1]
	v_cmp_gt_i32_e64 s[0:1], s14, v2
	s_or_b64 s[2:3], s[16:17], s[2:3]
	s_and_b64 s[0:1], s[0:1], s[2:3]
	v_cndmask_b32_e64 v4, 0, v8, s[0:1]
	v_cndmask_b32_e64 v3, 0, v7, s[0:1]
	s_and_saveexec_b64 s[0:1], vcc
	s_cbranch_execnz .LBB3_17
; %bb.12:
	s_or_b64 exec, exec, s[0:1]
	v_cmp_gt_i32_e32 vcc, s14, v0
	s_and_saveexec_b64 s[0:1], vcc
	s_cbranch_execnz .LBB3_18
.LBB3_13:
	s_or_b64 exec, exec, s[0:1]
	v_cmp_gt_i32_e32 vcc, s14, v0
	s_and_saveexec_b64 s[0:1], vcc
	s_cbranch_execnz .LBB3_19
.LBB3_14:
	s_or_b64 exec, exec, s[0:1]
	v_cmp_gt_i32_e32 vcc, s14, v0
	s_and_saveexec_b64 s[0:1], vcc
	s_cbranch_execz .LBB3_16
.LBB3_15:
	v_add_u32_e32 v0, s6, v0
	v_mov_b32_e32 v1, 0
	v_lshlrev_b64 v[0:1], 3, v[0:1]
	v_mov_b32_e32 v2, s11
	v_add_co_u32_e32 v0, vcc, s10, v0
	v_addc_co_u32_e32 v1, vcc, v2, v1, vcc
	global_store_dwordx2 v[0:1], v[3:4], off
.LBB3_16:
	s_endpgm
.LBB3_17:
	v_mov_b32_e32 v2, 0
	v_lshlrev_b64 v[0:1], 3, v[1:2]
	v_mov_b32_e32 v2, s11
	v_add_co_u32_e32 v0, vcc, s10, v0
	v_addc_co_u32_e32 v1, vcc, v2, v1, vcc
	global_store_dwordx2 v[0:1], v[13:14], off
	v_mov_b32_e32 v0, v15
	s_or_b64 exec, exec, s[0:1]
	v_cmp_gt_i32_e32 vcc, s14, v0
	s_and_saveexec_b64 s[0:1], vcc
	s_cbranch_execz .LBB3_13
.LBB3_18:
	v_add_u32_e32 v1, s6, v0
	v_mov_b32_e32 v2, 0
	v_lshlrev_b64 v[1:2], 3, v[1:2]
	v_mov_b32_e32 v7, s11
	v_add_co_u32_e32 v1, vcc, s10, v1
	v_addc_co_u32_e32 v2, vcc, v7, v2, vcc
	v_add_u32_e32 v0, 0x100, v0
	global_store_dwordx2 v[1:2], v[11:12], off
	s_or_b64 exec, exec, s[0:1]
	v_cmp_gt_i32_e32 vcc, s14, v0
	s_and_saveexec_b64 s[0:1], vcc
	s_cbranch_execz .LBB3_14
.LBB3_19:
	v_add_u32_e32 v1, s6, v0
	v_mov_b32_e32 v2, 0
	v_lshlrev_b64 v[1:2], 3, v[1:2]
	v_mov_b32_e32 v7, s11
	v_add_co_u32_e32 v1, vcc, s10, v1
	v_addc_co_u32_e32 v2, vcc, v7, v2, vcc
	v_add_u32_e32 v0, 0x100, v0
	global_store_dwordx2 v[1:2], v[5:6], off
	s_or_b64 exec, exec, s[0:1]
	v_cmp_gt_i32_e32 vcc, s14, v0
	s_and_saveexec_b64 s[0:1], vcc
	s_cbranch_execnz .LBB3_15
	s_branch .LBB3_16
	.section	.rodata,"a",@progbits
	.p2align	6, 0x0
	.amdhsa_kernel _ZN2at6native29vectorized_elementwise_kernelILi2EZZZNS0_12_GLOBAL__N_117hardshrink_kernelERNS_18TensorIteratorBaseERKN3c106ScalarEENKUlvE_clEvENKUlvE_clEvEUldE_St5arrayIPcLm2EEEEviT0_T1_
		.amdhsa_group_segment_fixed_size 0
		.amdhsa_private_segment_fixed_size 0
		.amdhsa_kernarg_size 32
		.amdhsa_user_sgpr_count 6
		.amdhsa_user_sgpr_private_segment_buffer 1
		.amdhsa_user_sgpr_dispatch_ptr 0
		.amdhsa_user_sgpr_queue_ptr 0
		.amdhsa_user_sgpr_kernarg_segment_ptr 1
		.amdhsa_user_sgpr_dispatch_id 0
		.amdhsa_user_sgpr_flat_scratch_init 0
		.amdhsa_user_sgpr_private_segment_size 0
		.amdhsa_uses_dynamic_stack 0
		.amdhsa_system_sgpr_private_segment_wavefront_offset 0
		.amdhsa_system_sgpr_workgroup_id_x 1
		.amdhsa_system_sgpr_workgroup_id_y 0
		.amdhsa_system_sgpr_workgroup_id_z 0
		.amdhsa_system_sgpr_workgroup_info 0
		.amdhsa_system_vgpr_workitem_id 0
		.amdhsa_next_free_vgpr 16
		.amdhsa_next_free_sgpr 26
		.amdhsa_reserve_vcc 1
		.amdhsa_reserve_flat_scratch 0
		.amdhsa_float_round_mode_32 0
		.amdhsa_float_round_mode_16_64 0
		.amdhsa_float_denorm_mode_32 3
		.amdhsa_float_denorm_mode_16_64 3
		.amdhsa_dx10_clamp 1
		.amdhsa_ieee_mode 1
		.amdhsa_fp16_overflow 0
		.amdhsa_exception_fp_ieee_invalid_op 0
		.amdhsa_exception_fp_denorm_src 0
		.amdhsa_exception_fp_ieee_div_zero 0
		.amdhsa_exception_fp_ieee_overflow 0
		.amdhsa_exception_fp_ieee_underflow 0
		.amdhsa_exception_fp_ieee_inexact 0
		.amdhsa_exception_int_div_zero 0
	.end_amdhsa_kernel
	.section	.text._ZN2at6native29vectorized_elementwise_kernelILi2EZZZNS0_12_GLOBAL__N_117hardshrink_kernelERNS_18TensorIteratorBaseERKN3c106ScalarEENKUlvE_clEvENKUlvE_clEvEUldE_St5arrayIPcLm2EEEEviT0_T1_,"axG",@progbits,_ZN2at6native29vectorized_elementwise_kernelILi2EZZZNS0_12_GLOBAL__N_117hardshrink_kernelERNS_18TensorIteratorBaseERKN3c106ScalarEENKUlvE_clEvENKUlvE_clEvEUldE_St5arrayIPcLm2EEEEviT0_T1_,comdat
.Lfunc_end3:
	.size	_ZN2at6native29vectorized_elementwise_kernelILi2EZZZNS0_12_GLOBAL__N_117hardshrink_kernelERNS_18TensorIteratorBaseERKN3c106ScalarEENKUlvE_clEvENKUlvE_clEvEUldE_St5arrayIPcLm2EEEEviT0_T1_, .Lfunc_end3-_ZN2at6native29vectorized_elementwise_kernelILi2EZZZNS0_12_GLOBAL__N_117hardshrink_kernelERNS_18TensorIteratorBaseERKN3c106ScalarEENKUlvE_clEvENKUlvE_clEvEUldE_St5arrayIPcLm2EEEEviT0_T1_
                                        ; -- End function
	.set _ZN2at6native29vectorized_elementwise_kernelILi2EZZZNS0_12_GLOBAL__N_117hardshrink_kernelERNS_18TensorIteratorBaseERKN3c106ScalarEENKUlvE_clEvENKUlvE_clEvEUldE_St5arrayIPcLm2EEEEviT0_T1_.num_vgpr, 16
	.set _ZN2at6native29vectorized_elementwise_kernelILi2EZZZNS0_12_GLOBAL__N_117hardshrink_kernelERNS_18TensorIteratorBaseERKN3c106ScalarEENKUlvE_clEvENKUlvE_clEvEUldE_St5arrayIPcLm2EEEEviT0_T1_.num_agpr, 0
	.set _ZN2at6native29vectorized_elementwise_kernelILi2EZZZNS0_12_GLOBAL__N_117hardshrink_kernelERNS_18TensorIteratorBaseERKN3c106ScalarEENKUlvE_clEvENKUlvE_clEvEUldE_St5arrayIPcLm2EEEEviT0_T1_.numbered_sgpr, 26
	.set _ZN2at6native29vectorized_elementwise_kernelILi2EZZZNS0_12_GLOBAL__N_117hardshrink_kernelERNS_18TensorIteratorBaseERKN3c106ScalarEENKUlvE_clEvENKUlvE_clEvEUldE_St5arrayIPcLm2EEEEviT0_T1_.num_named_barrier, 0
	.set _ZN2at6native29vectorized_elementwise_kernelILi2EZZZNS0_12_GLOBAL__N_117hardshrink_kernelERNS_18TensorIteratorBaseERKN3c106ScalarEENKUlvE_clEvENKUlvE_clEvEUldE_St5arrayIPcLm2EEEEviT0_T1_.private_seg_size, 0
	.set _ZN2at6native29vectorized_elementwise_kernelILi2EZZZNS0_12_GLOBAL__N_117hardshrink_kernelERNS_18TensorIteratorBaseERKN3c106ScalarEENKUlvE_clEvENKUlvE_clEvEUldE_St5arrayIPcLm2EEEEviT0_T1_.uses_vcc, 1
	.set _ZN2at6native29vectorized_elementwise_kernelILi2EZZZNS0_12_GLOBAL__N_117hardshrink_kernelERNS_18TensorIteratorBaseERKN3c106ScalarEENKUlvE_clEvENKUlvE_clEvEUldE_St5arrayIPcLm2EEEEviT0_T1_.uses_flat_scratch, 0
	.set _ZN2at6native29vectorized_elementwise_kernelILi2EZZZNS0_12_GLOBAL__N_117hardshrink_kernelERNS_18TensorIteratorBaseERKN3c106ScalarEENKUlvE_clEvENKUlvE_clEvEUldE_St5arrayIPcLm2EEEEviT0_T1_.has_dyn_sized_stack, 0
	.set _ZN2at6native29vectorized_elementwise_kernelILi2EZZZNS0_12_GLOBAL__N_117hardshrink_kernelERNS_18TensorIteratorBaseERKN3c106ScalarEENKUlvE_clEvENKUlvE_clEvEUldE_St5arrayIPcLm2EEEEviT0_T1_.has_recursion, 0
	.set _ZN2at6native29vectorized_elementwise_kernelILi2EZZZNS0_12_GLOBAL__N_117hardshrink_kernelERNS_18TensorIteratorBaseERKN3c106ScalarEENKUlvE_clEvENKUlvE_clEvEUldE_St5arrayIPcLm2EEEEviT0_T1_.has_indirect_call, 0
	.section	.AMDGPU.csdata,"",@progbits
; Kernel info:
; codeLenInByte = 1100
; TotalNumSgprs: 30
; NumVgprs: 16
; ScratchSize: 0
; MemoryBound: 0
; FloatMode: 240
; IeeeMode: 1
; LDSByteSize: 0 bytes/workgroup (compile time only)
; SGPRBlocks: 3
; VGPRBlocks: 3
; NumSGPRsForWavesPerEU: 30
; NumVGPRsForWavesPerEU: 16
; Occupancy: 10
; WaveLimiterHint : 1
; COMPUTE_PGM_RSRC2:SCRATCH_EN: 0
; COMPUTE_PGM_RSRC2:USER_SGPR: 6
; COMPUTE_PGM_RSRC2:TRAP_HANDLER: 0
; COMPUTE_PGM_RSRC2:TGID_X_EN: 1
; COMPUTE_PGM_RSRC2:TGID_Y_EN: 0
; COMPUTE_PGM_RSRC2:TGID_Z_EN: 0
; COMPUTE_PGM_RSRC2:TIDIG_COMP_CNT: 0
	.section	.text._ZN2at6native27unrolled_elementwise_kernelIZZZNS0_12_GLOBAL__N_117hardshrink_kernelERNS_18TensorIteratorBaseERKN3c106ScalarEENKUlvE_clEvENKUlvE_clEvEUldE_St5arrayIPcLm2EELi4E23TrivialOffsetCalculatorILi1EjESG_NS0_6memory15LoadWithoutCastENSH_16StoreWithoutCastEEEviT_T0_T2_T3_T4_T5_,"axG",@progbits,_ZN2at6native27unrolled_elementwise_kernelIZZZNS0_12_GLOBAL__N_117hardshrink_kernelERNS_18TensorIteratorBaseERKN3c106ScalarEENKUlvE_clEvENKUlvE_clEvEUldE_St5arrayIPcLm2EELi4E23TrivialOffsetCalculatorILi1EjESG_NS0_6memory15LoadWithoutCastENSH_16StoreWithoutCastEEEviT_T0_T2_T3_T4_T5_,comdat
	.globl	_ZN2at6native27unrolled_elementwise_kernelIZZZNS0_12_GLOBAL__N_117hardshrink_kernelERNS_18TensorIteratorBaseERKN3c106ScalarEENKUlvE_clEvENKUlvE_clEvEUldE_St5arrayIPcLm2EELi4E23TrivialOffsetCalculatorILi1EjESG_NS0_6memory15LoadWithoutCastENSH_16StoreWithoutCastEEEviT_T0_T2_T3_T4_T5_ ; -- Begin function _ZN2at6native27unrolled_elementwise_kernelIZZZNS0_12_GLOBAL__N_117hardshrink_kernelERNS_18TensorIteratorBaseERKN3c106ScalarEENKUlvE_clEvENKUlvE_clEvEUldE_St5arrayIPcLm2EELi4E23TrivialOffsetCalculatorILi1EjESG_NS0_6memory15LoadWithoutCastENSH_16StoreWithoutCastEEEviT_T0_T2_T3_T4_T5_
	.p2align	8
	.type	_ZN2at6native27unrolled_elementwise_kernelIZZZNS0_12_GLOBAL__N_117hardshrink_kernelERNS_18TensorIteratorBaseERKN3c106ScalarEENKUlvE_clEvENKUlvE_clEvEUldE_St5arrayIPcLm2EELi4E23TrivialOffsetCalculatorILi1EjESG_NS0_6memory15LoadWithoutCastENSH_16StoreWithoutCastEEEviT_T0_T2_T3_T4_T5_,@function
_ZN2at6native27unrolled_elementwise_kernelIZZZNS0_12_GLOBAL__N_117hardshrink_kernelERNS_18TensorIteratorBaseERKN3c106ScalarEENKUlvE_clEvENKUlvE_clEvEUldE_St5arrayIPcLm2EELi4E23TrivialOffsetCalculatorILi1EjESG_NS0_6memory15LoadWithoutCastENSH_16StoreWithoutCastEEEviT_T0_T2_T3_T4_T5_: ; @_ZN2at6native27unrolled_elementwise_kernelIZZZNS0_12_GLOBAL__N_117hardshrink_kernelERNS_18TensorIteratorBaseERKN3c106ScalarEENKUlvE_clEvENKUlvE_clEvEUldE_St5arrayIPcLm2EELi4E23TrivialOffsetCalculatorILi1EjESG_NS0_6memory15LoadWithoutCastENSH_16StoreWithoutCastEEEviT_T0_T2_T3_T4_T5_
; %bb.0:
	s_load_dword s0, s[4:5], 0x0
	s_load_dwordx2 s[2:3], s[4:5], 0x18
	s_lshl_b32 s12, s6, 10
	v_mov_b32_e32 v3, 0
	v_mov_b32_e32 v5, 0
	s_waitcnt lgkmcnt(0)
	s_sub_i32 s13, s0, s12
	v_cmp_gt_i32_e32 vcc, s13, v0
	v_mov_b32_e32 v4, 0
	v_or_b32_e32 v1, s12, v0
	v_mov_b32_e32 v6, 0
	v_mov_b32_e32 v2, v0
	s_and_saveexec_b64 s[6:7], vcc
	s_cbranch_execz .LBB4_2
; %bb.1:
	v_mov_b32_e32 v2, 0
	v_lshlrev_b64 v[5:6], 3, v[1:2]
	v_mov_b32_e32 v2, s3
	v_add_co_u32_e64 v5, s[0:1], s2, v5
	v_addc_co_u32_e64 v6, s[0:1], v2, v6, s[0:1]
	global_load_dwordx2 v[5:6], v[5:6], off
	v_or_b32_e32 v2, 0x100, v0
.LBB4_2:
	s_or_b64 exec, exec, s[6:7]
	s_load_dwordx4 s[8:11], s[4:5], 0x8
	v_cmp_gt_i32_e64 s[0:1], s13, v2
	s_and_saveexec_b64 s[4:5], s[0:1]
	s_cbranch_execz .LBB4_4
; %bb.3:
	v_add_u32_e32 v3, s12, v2
	v_mov_b32_e32 v4, 0
	v_lshlrev_b64 v[3:4], 3, v[3:4]
	v_mov_b32_e32 v7, s3
	v_add_co_u32_e64 v3, s[0:1], s2, v3
	v_addc_co_u32_e64 v4, s[0:1], v7, v4, s[0:1]
	global_load_dwordx2 v[3:4], v[3:4], off
	v_add_u32_e32 v2, 0x100, v2
.LBB4_4:
	s_or_b64 exec, exec, s[4:5]
	v_mov_b32_e32 v7, 0
	v_mov_b32_e32 v9, 0
	v_mov_b32_e32 v8, 0
	v_mov_b32_e32 v10, 0
	v_cmp_gt_i32_e64 s[0:1], s13, v2
	s_and_saveexec_b64 s[4:5], s[0:1]
	s_cbranch_execz .LBB4_6
; %bb.5:
	v_add_u32_e32 v9, s12, v2
	v_mov_b32_e32 v10, 0
	v_lshlrev_b64 v[9:10], 3, v[9:10]
	v_mov_b32_e32 v11, s3
	v_add_co_u32_e64 v9, s[0:1], s2, v9
	v_addc_co_u32_e64 v10, s[0:1], v11, v10, s[0:1]
	global_load_dwordx2 v[9:10], v[9:10], off
	v_add_u32_e32 v2, 0x100, v2
.LBB4_6:
	s_or_b64 exec, exec, s[4:5]
	v_cmp_gt_i32_e64 s[0:1], s13, v2
	s_and_saveexec_b64 s[4:5], s[0:1]
	s_cbranch_execz .LBB4_8
; %bb.7:
	v_add_u32_e32 v7, s12, v2
	v_mov_b32_e32 v8, 0
	v_lshlrev_b64 v[7:8], 3, v[7:8]
	v_mov_b32_e32 v2, s3
	v_add_co_u32_e64 v7, s[0:1], s2, v7
	v_addc_co_u32_e64 v8, s[0:1], v2, v8, s[0:1]
	global_load_dwordx2 v[7:8], v[7:8], off
.LBB4_8:
	s_or_b64 exec, exec, s[4:5]
	s_waitcnt vmcnt(0) lgkmcnt(0)
	v_cmp_nge_f64_e64 s[6:7], v[5:6], -s[8:9]
	v_cmp_nge_f64_e64 s[0:1], s[8:9], v[5:6]
	v_cmp_nge_f64_e64 s[14:15], v[3:4], -s[8:9]
	v_cmp_nge_f64_e64 s[2:3], s[8:9], v[3:4]
	v_or_b32_e32 v15, 0x100, v0
	v_cmp_gt_i32_e64 s[4:5], s13, v15
	v_or_b32_e32 v2, 0x200, v0
	s_or_b64 s[0:1], s[6:7], s[0:1]
	s_and_b64 s[0:1], vcc, s[0:1]
	s_or_b64 s[2:3], s[14:15], s[2:3]
	v_cndmask_b32_e64 v14, 0, v6, s[0:1]
	v_cndmask_b32_e64 v13, 0, v5, s[0:1]
	v_cmp_nge_f64_e64 s[6:7], v[9:10], -s[8:9]
	v_cmp_nge_f64_e64 s[0:1], s[8:9], v[9:10]
	s_and_b64 s[2:3], s[4:5], s[2:3]
	v_cndmask_b32_e64 v12, 0, v4, s[2:3]
	v_cndmask_b32_e64 v11, 0, v3, s[2:3]
	v_cmp_nge_f64_e64 s[14:15], v[7:8], -s[8:9]
	v_cmp_nge_f64_e64 s[2:3], s[8:9], v[7:8]
	v_cmp_gt_i32_e64 s[4:5], s13, v2
	v_or_b32_e32 v2, 0x300, v0
	s_or_b64 s[0:1], s[6:7], s[0:1]
	s_and_b64 s[0:1], s[4:5], s[0:1]
	v_cndmask_b32_e64 v6, 0, v10, s[0:1]
	v_cndmask_b32_e64 v5, 0, v9, s[0:1]
	v_cmp_gt_i32_e64 s[0:1], s13, v2
	s_or_b64 s[2:3], s[14:15], s[2:3]
	s_and_b64 s[0:1], s[0:1], s[2:3]
	v_cndmask_b32_e64 v4, 0, v8, s[0:1]
	v_cndmask_b32_e64 v3, 0, v7, s[0:1]
	s_and_saveexec_b64 s[0:1], vcc
	s_cbranch_execnz .LBB4_13
; %bb.9:
	s_or_b64 exec, exec, s[0:1]
	v_cmp_gt_i32_e32 vcc, s13, v0
	s_and_saveexec_b64 s[0:1], vcc
	s_cbranch_execnz .LBB4_14
.LBB4_10:
	s_or_b64 exec, exec, s[0:1]
	v_cmp_gt_i32_e32 vcc, s13, v0
	s_and_saveexec_b64 s[0:1], vcc
	s_cbranch_execnz .LBB4_15
.LBB4_11:
	s_or_b64 exec, exec, s[0:1]
	v_cmp_gt_i32_e32 vcc, s13, v0
	s_and_saveexec_b64 s[0:1], vcc
	s_cbranch_execnz .LBB4_16
.LBB4_12:
	s_endpgm
.LBB4_13:
	v_mov_b32_e32 v2, 0
	v_lshlrev_b64 v[0:1], 3, v[1:2]
	v_mov_b32_e32 v2, s11
	v_add_co_u32_e32 v0, vcc, s10, v0
	v_addc_co_u32_e32 v1, vcc, v2, v1, vcc
	global_store_dwordx2 v[0:1], v[13:14], off
	v_mov_b32_e32 v0, v15
	s_or_b64 exec, exec, s[0:1]
	v_cmp_gt_i32_e32 vcc, s13, v0
	s_and_saveexec_b64 s[0:1], vcc
	s_cbranch_execz .LBB4_10
.LBB4_14:
	v_add_u32_e32 v2, 0x100, v0
	v_add_u32_e32 v0, s12, v0
	v_mov_b32_e32 v1, 0
	v_lshlrev_b64 v[0:1], 3, v[0:1]
	v_mov_b32_e32 v7, s11
	v_add_co_u32_e32 v0, vcc, s10, v0
	v_addc_co_u32_e32 v1, vcc, v7, v1, vcc
	global_store_dwordx2 v[0:1], v[11:12], off
	v_mov_b32_e32 v0, v2
	s_or_b64 exec, exec, s[0:1]
	v_cmp_gt_i32_e32 vcc, s13, v0
	s_and_saveexec_b64 s[0:1], vcc
	s_cbranch_execz .LBB4_11
.LBB4_15:
	v_add_u32_e32 v2, 0x100, v0
	v_add_u32_e32 v0, s12, v0
	v_mov_b32_e32 v1, 0
	v_lshlrev_b64 v[0:1], 3, v[0:1]
	v_mov_b32_e32 v7, s11
	v_add_co_u32_e32 v0, vcc, s10, v0
	v_addc_co_u32_e32 v1, vcc, v7, v1, vcc
	global_store_dwordx2 v[0:1], v[5:6], off
	v_mov_b32_e32 v0, v2
	s_or_b64 exec, exec, s[0:1]
	v_cmp_gt_i32_e32 vcc, s13, v0
	s_and_saveexec_b64 s[0:1], vcc
	s_cbranch_execz .LBB4_12
.LBB4_16:
	v_add_u32_e32 v0, s12, v0
	v_mov_b32_e32 v1, 0
	v_lshlrev_b64 v[0:1], 3, v[0:1]
	v_mov_b32_e32 v2, s11
	v_add_co_u32_e32 v0, vcc, s10, v0
	v_addc_co_u32_e32 v1, vcc, v2, v1, vcc
	global_store_dwordx2 v[0:1], v[3:4], off
	s_endpgm
	.section	.rodata,"a",@progbits
	.p2align	6, 0x0
	.amdhsa_kernel _ZN2at6native27unrolled_elementwise_kernelIZZZNS0_12_GLOBAL__N_117hardshrink_kernelERNS_18TensorIteratorBaseERKN3c106ScalarEENKUlvE_clEvENKUlvE_clEvEUldE_St5arrayIPcLm2EELi4E23TrivialOffsetCalculatorILi1EjESG_NS0_6memory15LoadWithoutCastENSH_16StoreWithoutCastEEEviT_T0_T2_T3_T4_T5_
		.amdhsa_group_segment_fixed_size 0
		.amdhsa_private_segment_fixed_size 0
		.amdhsa_kernarg_size 36
		.amdhsa_user_sgpr_count 6
		.amdhsa_user_sgpr_private_segment_buffer 1
		.amdhsa_user_sgpr_dispatch_ptr 0
		.amdhsa_user_sgpr_queue_ptr 0
		.amdhsa_user_sgpr_kernarg_segment_ptr 1
		.amdhsa_user_sgpr_dispatch_id 0
		.amdhsa_user_sgpr_flat_scratch_init 0
		.amdhsa_user_sgpr_private_segment_size 0
		.amdhsa_uses_dynamic_stack 0
		.amdhsa_system_sgpr_private_segment_wavefront_offset 0
		.amdhsa_system_sgpr_workgroup_id_x 1
		.amdhsa_system_sgpr_workgroup_id_y 0
		.amdhsa_system_sgpr_workgroup_id_z 0
		.amdhsa_system_sgpr_workgroup_info 0
		.amdhsa_system_vgpr_workitem_id 0
		.amdhsa_next_free_vgpr 16
		.amdhsa_next_free_sgpr 16
		.amdhsa_reserve_vcc 1
		.amdhsa_reserve_flat_scratch 0
		.amdhsa_float_round_mode_32 0
		.amdhsa_float_round_mode_16_64 0
		.amdhsa_float_denorm_mode_32 3
		.amdhsa_float_denorm_mode_16_64 3
		.amdhsa_dx10_clamp 1
		.amdhsa_ieee_mode 1
		.amdhsa_fp16_overflow 0
		.amdhsa_exception_fp_ieee_invalid_op 0
		.amdhsa_exception_fp_denorm_src 0
		.amdhsa_exception_fp_ieee_div_zero 0
		.amdhsa_exception_fp_ieee_overflow 0
		.amdhsa_exception_fp_ieee_underflow 0
		.amdhsa_exception_fp_ieee_inexact 0
		.amdhsa_exception_int_div_zero 0
	.end_amdhsa_kernel
	.section	.text._ZN2at6native27unrolled_elementwise_kernelIZZZNS0_12_GLOBAL__N_117hardshrink_kernelERNS_18TensorIteratorBaseERKN3c106ScalarEENKUlvE_clEvENKUlvE_clEvEUldE_St5arrayIPcLm2EELi4E23TrivialOffsetCalculatorILi1EjESG_NS0_6memory15LoadWithoutCastENSH_16StoreWithoutCastEEEviT_T0_T2_T3_T4_T5_,"axG",@progbits,_ZN2at6native27unrolled_elementwise_kernelIZZZNS0_12_GLOBAL__N_117hardshrink_kernelERNS_18TensorIteratorBaseERKN3c106ScalarEENKUlvE_clEvENKUlvE_clEvEUldE_St5arrayIPcLm2EELi4E23TrivialOffsetCalculatorILi1EjESG_NS0_6memory15LoadWithoutCastENSH_16StoreWithoutCastEEEviT_T0_T2_T3_T4_T5_,comdat
.Lfunc_end4:
	.size	_ZN2at6native27unrolled_elementwise_kernelIZZZNS0_12_GLOBAL__N_117hardshrink_kernelERNS_18TensorIteratorBaseERKN3c106ScalarEENKUlvE_clEvENKUlvE_clEvEUldE_St5arrayIPcLm2EELi4E23TrivialOffsetCalculatorILi1EjESG_NS0_6memory15LoadWithoutCastENSH_16StoreWithoutCastEEEviT_T0_T2_T3_T4_T5_, .Lfunc_end4-_ZN2at6native27unrolled_elementwise_kernelIZZZNS0_12_GLOBAL__N_117hardshrink_kernelERNS_18TensorIteratorBaseERKN3c106ScalarEENKUlvE_clEvENKUlvE_clEvEUldE_St5arrayIPcLm2EELi4E23TrivialOffsetCalculatorILi1EjESG_NS0_6memory15LoadWithoutCastENSH_16StoreWithoutCastEEEviT_T0_T2_T3_T4_T5_
                                        ; -- End function
	.set _ZN2at6native27unrolled_elementwise_kernelIZZZNS0_12_GLOBAL__N_117hardshrink_kernelERNS_18TensorIteratorBaseERKN3c106ScalarEENKUlvE_clEvENKUlvE_clEvEUldE_St5arrayIPcLm2EELi4E23TrivialOffsetCalculatorILi1EjESG_NS0_6memory15LoadWithoutCastENSH_16StoreWithoutCastEEEviT_T0_T2_T3_T4_T5_.num_vgpr, 16
	.set _ZN2at6native27unrolled_elementwise_kernelIZZZNS0_12_GLOBAL__N_117hardshrink_kernelERNS_18TensorIteratorBaseERKN3c106ScalarEENKUlvE_clEvENKUlvE_clEvEUldE_St5arrayIPcLm2EELi4E23TrivialOffsetCalculatorILi1EjESG_NS0_6memory15LoadWithoutCastENSH_16StoreWithoutCastEEEviT_T0_T2_T3_T4_T5_.num_agpr, 0
	.set _ZN2at6native27unrolled_elementwise_kernelIZZZNS0_12_GLOBAL__N_117hardshrink_kernelERNS_18TensorIteratorBaseERKN3c106ScalarEENKUlvE_clEvENKUlvE_clEvEUldE_St5arrayIPcLm2EELi4E23TrivialOffsetCalculatorILi1EjESG_NS0_6memory15LoadWithoutCastENSH_16StoreWithoutCastEEEviT_T0_T2_T3_T4_T5_.numbered_sgpr, 16
	.set _ZN2at6native27unrolled_elementwise_kernelIZZZNS0_12_GLOBAL__N_117hardshrink_kernelERNS_18TensorIteratorBaseERKN3c106ScalarEENKUlvE_clEvENKUlvE_clEvEUldE_St5arrayIPcLm2EELi4E23TrivialOffsetCalculatorILi1EjESG_NS0_6memory15LoadWithoutCastENSH_16StoreWithoutCastEEEviT_T0_T2_T3_T4_T5_.num_named_barrier, 0
	.set _ZN2at6native27unrolled_elementwise_kernelIZZZNS0_12_GLOBAL__N_117hardshrink_kernelERNS_18TensorIteratorBaseERKN3c106ScalarEENKUlvE_clEvENKUlvE_clEvEUldE_St5arrayIPcLm2EELi4E23TrivialOffsetCalculatorILi1EjESG_NS0_6memory15LoadWithoutCastENSH_16StoreWithoutCastEEEviT_T0_T2_T3_T4_T5_.private_seg_size, 0
	.set _ZN2at6native27unrolled_elementwise_kernelIZZZNS0_12_GLOBAL__N_117hardshrink_kernelERNS_18TensorIteratorBaseERKN3c106ScalarEENKUlvE_clEvENKUlvE_clEvEUldE_St5arrayIPcLm2EELi4E23TrivialOffsetCalculatorILi1EjESG_NS0_6memory15LoadWithoutCastENSH_16StoreWithoutCastEEEviT_T0_T2_T3_T4_T5_.uses_vcc, 1
	.set _ZN2at6native27unrolled_elementwise_kernelIZZZNS0_12_GLOBAL__N_117hardshrink_kernelERNS_18TensorIteratorBaseERKN3c106ScalarEENKUlvE_clEvENKUlvE_clEvEUldE_St5arrayIPcLm2EELi4E23TrivialOffsetCalculatorILi1EjESG_NS0_6memory15LoadWithoutCastENSH_16StoreWithoutCastEEEviT_T0_T2_T3_T4_T5_.uses_flat_scratch, 0
	.set _ZN2at6native27unrolled_elementwise_kernelIZZZNS0_12_GLOBAL__N_117hardshrink_kernelERNS_18TensorIteratorBaseERKN3c106ScalarEENKUlvE_clEvENKUlvE_clEvEUldE_St5arrayIPcLm2EELi4E23TrivialOffsetCalculatorILi1EjESG_NS0_6memory15LoadWithoutCastENSH_16StoreWithoutCastEEEviT_T0_T2_T3_T4_T5_.has_dyn_sized_stack, 0
	.set _ZN2at6native27unrolled_elementwise_kernelIZZZNS0_12_GLOBAL__N_117hardshrink_kernelERNS_18TensorIteratorBaseERKN3c106ScalarEENKUlvE_clEvENKUlvE_clEvEUldE_St5arrayIPcLm2EELi4E23TrivialOffsetCalculatorILi1EjESG_NS0_6memory15LoadWithoutCastENSH_16StoreWithoutCastEEEviT_T0_T2_T3_T4_T5_.has_recursion, 0
	.set _ZN2at6native27unrolled_elementwise_kernelIZZZNS0_12_GLOBAL__N_117hardshrink_kernelERNS_18TensorIteratorBaseERKN3c106ScalarEENKUlvE_clEvENKUlvE_clEvEUldE_St5arrayIPcLm2EELi4E23TrivialOffsetCalculatorILi1EjESG_NS0_6memory15LoadWithoutCastENSH_16StoreWithoutCastEEEviT_T0_T2_T3_T4_T5_.has_indirect_call, 0
	.section	.AMDGPU.csdata,"",@progbits
; Kernel info:
; codeLenInByte = 840
; TotalNumSgprs: 20
; NumVgprs: 16
; ScratchSize: 0
; MemoryBound: 0
; FloatMode: 240
; IeeeMode: 1
; LDSByteSize: 0 bytes/workgroup (compile time only)
; SGPRBlocks: 2
; VGPRBlocks: 3
; NumSGPRsForWavesPerEU: 20
; NumVGPRsForWavesPerEU: 16
; Occupancy: 10
; WaveLimiterHint : 0
; COMPUTE_PGM_RSRC2:SCRATCH_EN: 0
; COMPUTE_PGM_RSRC2:USER_SGPR: 6
; COMPUTE_PGM_RSRC2:TRAP_HANDLER: 0
; COMPUTE_PGM_RSRC2:TGID_X_EN: 1
; COMPUTE_PGM_RSRC2:TGID_Y_EN: 0
; COMPUTE_PGM_RSRC2:TGID_Z_EN: 0
; COMPUTE_PGM_RSRC2:TIDIG_COMP_CNT: 0
	.section	.text._ZN2at6native32elementwise_kernel_manual_unrollILi128ELi4EZNS0_22gpu_kernel_impl_nocastIZZZNS0_12_GLOBAL__N_117hardshrink_kernelERNS_18TensorIteratorBaseERKN3c106ScalarEENKUlvE_clEvENKUlvE_clEvEUldE_EEvS5_RKT_EUlibE_EEviT1_,"axG",@progbits,_ZN2at6native32elementwise_kernel_manual_unrollILi128ELi4EZNS0_22gpu_kernel_impl_nocastIZZZNS0_12_GLOBAL__N_117hardshrink_kernelERNS_18TensorIteratorBaseERKN3c106ScalarEENKUlvE_clEvENKUlvE_clEvEUldE_EEvS5_RKT_EUlibE_EEviT1_,comdat
	.globl	_ZN2at6native32elementwise_kernel_manual_unrollILi128ELi4EZNS0_22gpu_kernel_impl_nocastIZZZNS0_12_GLOBAL__N_117hardshrink_kernelERNS_18TensorIteratorBaseERKN3c106ScalarEENKUlvE_clEvENKUlvE_clEvEUldE_EEvS5_RKT_EUlibE_EEviT1_ ; -- Begin function _ZN2at6native32elementwise_kernel_manual_unrollILi128ELi4EZNS0_22gpu_kernel_impl_nocastIZZZNS0_12_GLOBAL__N_117hardshrink_kernelERNS_18TensorIteratorBaseERKN3c106ScalarEENKUlvE_clEvENKUlvE_clEvEUldE_EEvS5_RKT_EUlibE_EEviT1_
	.p2align	8
	.type	_ZN2at6native32elementwise_kernel_manual_unrollILi128ELi4EZNS0_22gpu_kernel_impl_nocastIZZZNS0_12_GLOBAL__N_117hardshrink_kernelERNS_18TensorIteratorBaseERKN3c106ScalarEENKUlvE_clEvENKUlvE_clEvEUldE_EEvS5_RKT_EUlibE_EEviT1_,@function
_ZN2at6native32elementwise_kernel_manual_unrollILi128ELi4EZNS0_22gpu_kernel_impl_nocastIZZZNS0_12_GLOBAL__N_117hardshrink_kernelERNS_18TensorIteratorBaseERKN3c106ScalarEENKUlvE_clEvENKUlvE_clEvEUldE_EEvS5_RKT_EUlibE_EEviT1_: ; @_ZN2at6native32elementwise_kernel_manual_unrollILi128ELi4EZNS0_22gpu_kernel_impl_nocastIZZZNS0_12_GLOBAL__N_117hardshrink_kernelERNS_18TensorIteratorBaseERKN3c106ScalarEENKUlvE_clEvENKUlvE_clEvEUldE_EEvS5_RKT_EUlibE_EEviT1_
; %bb.0:
	s_load_dword s57, s[4:5], 0x0
	s_load_dword s33, s[4:5], 0x8
	s_add_u32 s34, s4, 8
	s_addc_u32 s35, s5, 0
	v_lshl_or_b32 v7, s6, 9, v0
	v_or_b32_e32 v13, 0x180, v7
	s_waitcnt lgkmcnt(0)
	s_add_i32 s56, s33, -1
	s_cmp_gt_u32 s56, 1
	v_cmp_le_i32_e32 vcc, s57, v13
	s_cselect_b64 s[36:37], -1, 0
	s_and_saveexec_b64 s[0:1], vcc
	s_xor_b64 s[38:39], exec, s[0:1]
	s_cbranch_execz .LBB5_7
; %bb.1:
	s_load_dwordx4 s[20:23], s[34:35], 0x4
	s_load_dwordx2 s[42:43], s[34:35], 0x14
	s_load_dwordx2 s[40:41], s[34:35], 0x158
	s_load_dwordx4 s[24:27], s[34:35], 0xc4
	s_load_dwordx4 s[16:19], s[34:35], 0x148
	s_cmp_lg_u32 s33, 0
	s_cselect_b64 s[48:49], -1, 0
	s_add_u32 s46, s34, 0xc4
	s_addc_u32 s47, s35, 0
	s_min_u32 s58, s56, 15
	s_cmp_gt_u32 s33, 1
	s_cselect_b64 s[44:45], -1, 0
	v_cmp_gt_i32_e32 vcc, s57, v7
	s_and_saveexec_b64 s[50:51], vcc
	s_cbranch_execz .LBB5_14
; %bb.2:
	s_andn2_b64 vcc, exec, s[36:37]
	s_cbranch_vccnz .LBB5_21
; %bb.3:
	s_andn2_b64 vcc, exec, s[48:49]
	s_cbranch_vccnz .LBB5_73
; %bb.4:
	s_add_i32 s60, s58, 1
	s_cmp_eq_u32 s56, 2
	s_cbranch_scc1 .LBB5_75
; %bb.5:
	s_and_b32 s59, s60, 28
	v_mov_b32_e32 v2, 0
	s_mov_b32 s61, 0
	s_mov_b64 s[52:53], s[34:35]
	s_mov_b64 s[54:55], s[46:47]
	v_mov_b32_e32 v0, 0
	v_mov_b32_e32 v1, v7
.LBB5_6:                                ; =>This Inner Loop Header: Depth=1
	s_load_dwordx8 s[8:15], s[52:53], 0x4
	s_load_dwordx4 s[28:31], s[52:53], 0x24
	s_load_dwordx8 s[0:7], s[54:55], 0x0
	s_add_u32 s52, s52, 48
	s_addc_u32 s53, s53, 0
	s_waitcnt lgkmcnt(0)
	v_mul_hi_u32 v3, s9, v1
	s_add_i32 s61, s61, 4
	s_add_u32 s54, s54, 32
	s_addc_u32 s55, s55, 0
	v_add_u32_e32 v3, v1, v3
	v_lshrrev_b32_e32 v3, s10, v3
	v_mul_lo_u32 v4, v3, s8
	v_mul_hi_u32 v5, s12, v3
	s_cmp_lg_u32 s59, s61
	v_sub_u32_e32 v1, v1, v4
	v_add_u32_e32 v4, v3, v5
	v_mul_lo_u32 v5, v1, s0
	v_mul_lo_u32 v6, v1, s1
	v_lshrrev_b32_e32 v1, s13, v4
	v_mul_lo_u32 v4, v1, s11
	v_mul_hi_u32 v8, s15, v1
	v_sub_u32_e32 v3, v3, v4
	v_add_u32_e32 v4, v1, v8
	v_lshrrev_b32_e32 v4, s28, v4
	v_mul_hi_u32 v9, s30, v4
	v_mul_lo_u32 v10, v4, s14
	v_mul_lo_u32 v8, v3, s2
	;; [unrolled: 1-line block ×3, first 2 shown]
	v_sub_u32_e32 v10, v1, v10
	v_add_u32_e32 v1, v4, v9
	v_lshrrev_b32_e32 v1, s31, v1
	v_mul_lo_u32 v9, v1, s29
	v_mul_lo_u32 v11, v10, s4
	v_mul_lo_u32 v10, v10, s5
	v_add3_u32 v0, v5, v0, v8
	v_sub_u32_e32 v4, v4, v9
	v_mul_lo_u32 v9, v4, s6
	v_mul_lo_u32 v4, v4, s7
	v_add3_u32 v2, v6, v2, v3
	v_add3_u32 v0, v11, v0, v9
	;; [unrolled: 1-line block ×3, first 2 shown]
	s_cbranch_scc1 .LBB5_6
	s_branch .LBB5_76
.LBB5_7:
	s_andn2_saveexec_b64 s[0:1], s[38:39]
	s_cbranch_execz .LBB5_101
.LBB5_8:
	v_cndmask_b32_e64 v0, 0, 1, s[36:37]
	v_cmp_ne_u32_e64 s[0:1], 1, v0
	s_andn2_b64 vcc, exec, s[36:37]
	s_cbranch_vccnz .LBB5_20
; %bb.9:
	s_cmp_lg_u32 s33, 0
	s_waitcnt lgkmcnt(0)
	s_mov_b32 s26, 0
	s_cbranch_scc0 .LBB5_23
; %bb.10:
	s_min_u32 s27, s56, 15
	s_add_i32 s27, s27, 1
	s_cmp_eq_u32 s56, 2
	s_cbranch_scc1 .LBB5_24
; %bb.11:
	s_and_b32 s26, s27, 28
	s_add_u32 s2, s34, 0xc4
	s_addc_u32 s3, s35, 0
	v_mov_b32_e32 v2, 0
	s_mov_b32 s28, 0
	s_mov_b64 s[24:25], s[34:35]
	v_mov_b32_e32 v0, 0
	v_mov_b32_e32 v1, v7
.LBB5_12:                               ; =>This Inner Loop Header: Depth=1
	s_load_dwordx8 s[12:19], s[24:25], 0x4
	s_load_dwordx4 s[20:23], s[24:25], 0x24
	s_load_dwordx8 s[4:11], s[2:3], 0x0
	s_add_u32 s24, s24, 48
	s_addc_u32 s25, s25, 0
	s_waitcnt lgkmcnt(0)
	v_mul_hi_u32 v3, s13, v1
	s_add_i32 s28, s28, 4
	s_add_u32 s2, s2, 32
	s_addc_u32 s3, s3, 0
	v_add_u32_e32 v3, v1, v3
	v_lshrrev_b32_e32 v3, s14, v3
	v_mul_lo_u32 v4, v3, s12
	v_mul_hi_u32 v5, s16, v3
	s_cmp_lg_u32 s26, s28
	v_sub_u32_e32 v1, v1, v4
	v_add_u32_e32 v4, v3, v5
	v_mul_lo_u32 v5, v1, s4
	v_mul_lo_u32 v6, v1, s5
	v_lshrrev_b32_e32 v1, s17, v4
	v_mul_lo_u32 v4, v1, s15
	v_mul_hi_u32 v8, s19, v1
	v_sub_u32_e32 v3, v3, v4
	v_add_u32_e32 v4, v1, v8
	v_lshrrev_b32_e32 v4, s20, v4
	v_mul_hi_u32 v9, s22, v4
	v_mul_lo_u32 v10, v4, s18
	v_mul_lo_u32 v8, v3, s6
	;; [unrolled: 1-line block ×3, first 2 shown]
	v_sub_u32_e32 v10, v1, v10
	v_add_u32_e32 v1, v4, v9
	v_lshrrev_b32_e32 v1, s23, v1
	v_mul_lo_u32 v9, v1, s21
	v_mul_lo_u32 v11, v10, s8
	;; [unrolled: 1-line block ×3, first 2 shown]
	v_add3_u32 v0, v5, v0, v8
	v_sub_u32_e32 v4, v4, v9
	v_mul_lo_u32 v9, v4, s10
	v_mul_lo_u32 v4, v4, s11
	v_add3_u32 v2, v6, v2, v3
	v_add3_u32 v0, v11, v0, v9
	;; [unrolled: 1-line block ×3, first 2 shown]
	s_cbranch_scc1 .LBB5_12
; %bb.13:
	s_and_b32 s6, s27, 3
	s_cmp_eq_u32 s6, 0
	s_cbranch_scc0 .LBB5_25
	s_branch .LBB5_27
.LBB5_14:
	s_or_b64 exec, exec, s[50:51]
	v_cmp_gt_i32_e32 vcc, s57, v7
	s_and_saveexec_b64 s[50:51], vcc
	s_cbranch_execz .LBB5_83
.LBB5_15:
	s_andn2_b64 vcc, exec, s[36:37]
	s_cbranch_vccnz .LBB5_22
; %bb.16:
	s_andn2_b64 vcc, exec, s[48:49]
	s_cbranch_vccnz .LBB5_74
; %bb.17:
	s_add_i32 s60, s58, 1
	s_cmp_eq_u32 s56, 2
	s_cbranch_scc1 .LBB5_91
; %bb.18:
	s_and_b32 s59, s60, 28
	v_mov_b32_e32 v2, 0
	s_mov_b32 s61, 0
	s_mov_b64 s[52:53], s[34:35]
	s_mov_b64 s[54:55], s[46:47]
	v_mov_b32_e32 v0, 0
	v_mov_b32_e32 v1, v7
.LBB5_19:                               ; =>This Inner Loop Header: Depth=1
	s_load_dwordx8 s[8:15], s[52:53], 0x4
	s_load_dwordx4 s[28:31], s[52:53], 0x24
	s_load_dwordx8 s[0:7], s[54:55], 0x0
	s_add_u32 s52, s52, 48
	s_addc_u32 s53, s53, 0
	s_waitcnt lgkmcnt(0)
	v_mul_hi_u32 v3, s9, v1
	s_add_i32 s61, s61, 4
	s_add_u32 s54, s54, 32
	s_addc_u32 s55, s55, 0
	v_add_u32_e32 v3, v1, v3
	v_lshrrev_b32_e32 v3, s10, v3
	v_mul_lo_u32 v4, v3, s8
	v_mul_hi_u32 v5, s12, v3
	s_cmp_eq_u32 s59, s61
	v_sub_u32_e32 v1, v1, v4
	v_add_u32_e32 v4, v3, v5
	v_mul_lo_u32 v5, v1, s0
	v_mul_lo_u32 v6, v1, s1
	v_lshrrev_b32_e32 v1, s13, v4
	v_mul_lo_u32 v4, v1, s11
	v_mul_hi_u32 v8, s15, v1
	v_sub_u32_e32 v3, v3, v4
	v_add_u32_e32 v4, v1, v8
	v_lshrrev_b32_e32 v4, s28, v4
	v_mul_hi_u32 v9, s30, v4
	v_mul_lo_u32 v10, v4, s14
	v_mul_lo_u32 v8, v3, s2
	;; [unrolled: 1-line block ×3, first 2 shown]
	v_sub_u32_e32 v10, v1, v10
	v_add_u32_e32 v1, v4, v9
	v_lshrrev_b32_e32 v1, s31, v1
	v_mul_lo_u32 v9, v1, s29
	v_mul_lo_u32 v11, v10, s4
	;; [unrolled: 1-line block ×3, first 2 shown]
	v_add3_u32 v0, v5, v0, v8
	v_sub_u32_e32 v4, v4, v9
	v_mul_lo_u32 v9, v4, s6
	v_mul_lo_u32 v4, v4, s7
	v_add3_u32 v2, v6, v2, v3
	v_add3_u32 v0, v11, v0, v9
	;; [unrolled: 1-line block ×3, first 2 shown]
	s_cbranch_scc0 .LBB5_19
	s_branch .LBB5_92
.LBB5_20:
                                        ; implicit-def: $vgpr0
                                        ; implicit-def: $vgpr2
	s_branch .LBB5_28
.LBB5_21:
                                        ; implicit-def: $vgpr0
                                        ; implicit-def: $vgpr2
	s_branch .LBB5_80
.LBB5_22:
                                        ; implicit-def: $vgpr0
                                        ; implicit-def: $vgpr2
	s_branch .LBB5_96
.LBB5_23:
	v_mov_b32_e32 v0, 0
	v_mov_b32_e32 v2, 0
	s_branch .LBB5_27
.LBB5_24:
	v_mov_b32_e32 v0, 0
	v_mov_b32_e32 v2, 0
	;; [unrolled: 1-line block ×3, first 2 shown]
	s_and_b32 s6, s27, 3
	s_cmp_eq_u32 s6, 0
	s_cbranch_scc1 .LBB5_27
.LBB5_25:
	s_lshl_b32 s2, s26, 3
	s_add_u32 s2, s34, s2
	s_addc_u32 s3, s35, 0
	s_add_u32 s2, s2, 0xc4
	s_addc_u32 s3, s3, 0
	s_mul_i32 s4, s26, 12
	s_add_u32 s4, s34, s4
	s_addc_u32 s5, s35, 0
.LBB5_26:                               ; =>This Inner Loop Header: Depth=1
	s_load_dwordx2 s[8:9], s[4:5], 0x4
	s_load_dword s7, s[4:5], 0xc
	s_load_dwordx2 s[10:11], s[2:3], 0x0
	s_add_u32 s4, s4, 12
	s_addc_u32 s5, s5, 0
	s_waitcnt lgkmcnt(0)
	v_mul_hi_u32 v4, s9, v1
	s_add_u32 s2, s2, 8
	s_addc_u32 s3, s3, 0
	s_add_i32 s6, s6, -1
	v_add_u32_e32 v4, v1, v4
	v_lshrrev_b32_e32 v4, s7, v4
	v_mul_lo_u32 v5, v4, s8
	s_cmp_lg_u32 s6, 0
	v_sub_u32_e32 v5, v1, v5
	v_mad_u64_u32 v[0:1], s[8:9], v5, s10, v[0:1]
	v_mad_u64_u32 v[2:3], s[8:9], v5, s11, v[2:3]
	v_mov_b32_e32 v1, v4
	s_cbranch_scc1 .LBB5_26
.LBB5_27:
	s_cbranch_execnz .LBB5_30
.LBB5_28:
	s_load_dwordx4 s[4:7], s[34:35], 0x4
	s_load_dwordx2 s[2:3], s[34:35], 0xc4
	s_cmp_lt_u32 s33, 2
	s_waitcnt lgkmcnt(0)
	v_mul_hi_u32 v0, s5, v7
	v_add_u32_e32 v0, v7, v0
	v_lshrrev_b32_e32 v1, s6, v0
	v_mul_lo_u32 v0, v1, s4
	v_sub_u32_e32 v2, v7, v0
	v_mul_lo_u32 v0, v2, s2
	v_mul_lo_u32 v2, v2, s3
	s_cbranch_scc1 .LBB5_30
; %bb.29:
	s_load_dwordx4 s[4:7], s[34:35], 0x10
	s_load_dwordx2 s[2:3], s[34:35], 0xcc
	s_waitcnt lgkmcnt(0)
	v_mul_hi_u32 v3, s5, v1
	v_add_u32_e32 v3, v1, v3
	v_lshrrev_b32_e32 v3, s6, v3
	v_mul_lo_u32 v3, v3, s4
	v_sub_u32_e32 v3, v1, v3
	v_mad_u64_u32 v[0:1], s[4:5], v3, s2, v[0:1]
	v_mad_u64_u32 v[2:3], s[2:3], v3, s3, v[2:3]
.LBB5_30:
	s_and_b64 vcc, exec, s[0:1]
	v_add_u32_e32 v1, 0x80, v7
	s_cbranch_vccnz .LBB5_36
; %bb.31:
	s_cmp_lg_u32 s33, 0
	s_waitcnt lgkmcnt(0)
	s_mov_b32 s26, 0
	s_cbranch_scc0 .LBB5_37
; %bb.32:
	s_min_u32 s27, s56, 15
	s_add_i32 s27, s27, 1
	s_cmp_eq_u32 s56, 2
	s_cbranch_scc1 .LBB5_38
; %bb.33:
	s_and_b32 s26, s27, 28
	s_add_u32 s2, s34, 0xc4
	s_addc_u32 s3, s35, 0
	v_mov_b32_e32 v5, 0
	s_mov_b32 s28, 0
	s_mov_b64 s[24:25], s[34:35]
	v_mov_b32_e32 v3, 0
	v_mov_b32_e32 v4, v1
.LBB5_34:                               ; =>This Inner Loop Header: Depth=1
	s_load_dwordx8 s[12:19], s[24:25], 0x4
	s_load_dwordx4 s[20:23], s[24:25], 0x24
	s_load_dwordx8 s[4:11], s[2:3], 0x0
	s_add_u32 s24, s24, 48
	s_addc_u32 s25, s25, 0
	s_waitcnt lgkmcnt(0)
	v_mul_hi_u32 v6, s13, v4
	s_add_i32 s28, s28, 4
	s_add_u32 s2, s2, 32
	s_addc_u32 s3, s3, 0
	v_add_u32_e32 v6, v4, v6
	v_lshrrev_b32_e32 v6, s14, v6
	v_mul_lo_u32 v8, v6, s12
	v_mul_hi_u32 v9, s16, v6
	s_cmp_lg_u32 s26, s28
	v_sub_u32_e32 v4, v4, v8
	v_add_u32_e32 v8, v6, v9
	v_mul_lo_u32 v9, v4, s4
	v_mul_lo_u32 v10, v4, s5
	v_lshrrev_b32_e32 v4, s17, v8
	v_mul_lo_u32 v8, v4, s15
	v_mul_hi_u32 v11, s19, v4
	v_sub_u32_e32 v6, v6, v8
	v_add_u32_e32 v8, v4, v11
	v_lshrrev_b32_e32 v8, s20, v8
	v_mul_hi_u32 v12, s22, v8
	v_mul_lo_u32 v14, v8, s18
	v_mul_lo_u32 v11, v6, s6
	;; [unrolled: 1-line block ×3, first 2 shown]
	v_sub_u32_e32 v14, v4, v14
	v_add_u32_e32 v4, v8, v12
	v_lshrrev_b32_e32 v4, s23, v4
	v_mul_lo_u32 v12, v4, s21
	v_mul_lo_u32 v15, v14, s8
	;; [unrolled: 1-line block ×3, first 2 shown]
	v_add3_u32 v3, v9, v3, v11
	v_sub_u32_e32 v8, v8, v12
	v_mul_lo_u32 v12, v8, s10
	v_mul_lo_u32 v8, v8, s11
	v_add3_u32 v5, v10, v5, v6
	v_add3_u32 v3, v15, v3, v12
	;; [unrolled: 1-line block ×3, first 2 shown]
	s_cbranch_scc1 .LBB5_34
; %bb.35:
	s_and_b32 s6, s27, 3
	s_cmp_eq_u32 s6, 0
	s_cbranch_scc0 .LBB5_39
	s_branch .LBB5_41
.LBB5_36:
                                        ; implicit-def: $vgpr3
                                        ; implicit-def: $vgpr5
	s_branch .LBB5_42
.LBB5_37:
	v_mov_b32_e32 v3, 0
	v_mov_b32_e32 v5, 0
	s_branch .LBB5_41
.LBB5_38:
	v_mov_b32_e32 v3, 0
	v_mov_b32_e32 v5, 0
	;; [unrolled: 1-line block ×3, first 2 shown]
	s_and_b32 s6, s27, 3
	s_cmp_eq_u32 s6, 0
	s_cbranch_scc1 .LBB5_41
.LBB5_39:
	s_lshl_b32 s2, s26, 3
	s_add_u32 s2, s34, s2
	s_addc_u32 s3, s35, 0
	s_add_u32 s2, s2, 0xc4
	s_addc_u32 s3, s3, 0
	s_mul_i32 s4, s26, 12
	s_add_u32 s4, s34, s4
	s_addc_u32 s5, s35, 0
.LBB5_40:                               ; =>This Inner Loop Header: Depth=1
	s_load_dwordx2 s[8:9], s[4:5], 0x4
	s_load_dword s7, s[4:5], 0xc
	s_load_dwordx2 s[10:11], s[2:3], 0x0
	s_add_u32 s4, s4, 12
	s_addc_u32 s5, s5, 0
	s_waitcnt lgkmcnt(0)
	v_mul_hi_u32 v8, s9, v4
	s_add_u32 s2, s2, 8
	s_addc_u32 s3, s3, 0
	s_add_i32 s6, s6, -1
	v_add_u32_e32 v8, v4, v8
	v_lshrrev_b32_e32 v8, s7, v8
	v_mul_lo_u32 v9, v8, s8
	s_cmp_lg_u32 s6, 0
	v_sub_u32_e32 v9, v4, v9
	v_mad_u64_u32 v[3:4], s[8:9], v9, s10, v[3:4]
	v_mad_u64_u32 v[5:6], s[8:9], v9, s11, v[5:6]
	v_mov_b32_e32 v4, v8
	s_cbranch_scc1 .LBB5_40
.LBB5_41:
	s_cbranch_execnz .LBB5_44
.LBB5_42:
	s_load_dwordx4 s[4:7], s[34:35], 0x4
	s_load_dwordx2 s[2:3], s[34:35], 0xc4
	s_cmp_lt_u32 s33, 2
	s_waitcnt lgkmcnt(0)
	v_mul_hi_u32 v3, s5, v1
	v_add_u32_e32 v3, v1, v3
	v_lshrrev_b32_e32 v4, s6, v3
	v_mul_lo_u32 v3, v4, s4
	v_sub_u32_e32 v1, v1, v3
	v_mul_lo_u32 v3, v1, s2
	v_mul_lo_u32 v5, v1, s3
	s_cbranch_scc1 .LBB5_44
; %bb.43:
	s_load_dwordx4 s[4:7], s[34:35], 0x10
	s_load_dwordx2 s[2:3], s[34:35], 0xcc
	s_waitcnt lgkmcnt(0)
	v_mul_hi_u32 v1, s5, v4
	v_add_u32_e32 v1, v4, v1
	v_lshrrev_b32_e32 v1, s6, v1
	v_mul_lo_u32 v1, v1, s4
	v_sub_u32_e32 v1, v4, v1
	v_mad_u64_u32 v[3:4], s[4:5], v1, s2, v[3:4]
	v_mad_u64_u32 v[5:6], s[2:3], v1, s3, v[5:6]
.LBB5_44:
	s_and_b64 vcc, exec, s[0:1]
	v_add_u32_e32 v1, 0x100, v7
	s_cbranch_vccnz .LBB5_50
; %bb.45:
	s_cmp_lg_u32 s33, 0
	s_waitcnt lgkmcnt(0)
	s_mov_b32 s26, 0
	s_cbranch_scc0 .LBB5_51
; %bb.46:
	s_min_u32 s27, s56, 15
	s_add_i32 s27, s27, 1
	s_cmp_eq_u32 s56, 2
	s_cbranch_scc1 .LBB5_52
; %bb.47:
	s_and_b32 s26, s27, 28
	s_add_u32 s2, s34, 0xc4
	s_addc_u32 s3, s35, 0
	v_mov_b32_e32 v8, 0
	s_mov_b32 s28, 0
	s_mov_b64 s[24:25], s[34:35]
	v_mov_b32_e32 v6, 0
	v_mov_b32_e32 v4, v1
.LBB5_48:                               ; =>This Inner Loop Header: Depth=1
	s_load_dwordx8 s[12:19], s[24:25], 0x4
	s_load_dwordx4 s[20:23], s[24:25], 0x24
	s_load_dwordx8 s[4:11], s[2:3], 0x0
	s_add_u32 s24, s24, 48
	s_addc_u32 s25, s25, 0
	s_waitcnt lgkmcnt(0)
	v_mul_hi_u32 v7, s13, v4
	s_add_i32 s28, s28, 4
	s_add_u32 s2, s2, 32
	s_addc_u32 s3, s3, 0
	v_add_u32_e32 v7, v4, v7
	v_lshrrev_b32_e32 v7, s14, v7
	v_mul_lo_u32 v9, v7, s12
	v_mul_hi_u32 v10, s16, v7
	s_cmp_lg_u32 s26, s28
	v_sub_u32_e32 v4, v4, v9
	v_add_u32_e32 v9, v7, v10
	v_mul_lo_u32 v10, v4, s4
	v_mul_lo_u32 v11, v4, s5
	v_lshrrev_b32_e32 v4, s17, v9
	v_mul_lo_u32 v9, v4, s15
	v_mul_hi_u32 v12, s19, v4
	v_sub_u32_e32 v7, v7, v9
	v_add_u32_e32 v9, v4, v12
	v_lshrrev_b32_e32 v9, s20, v9
	v_mul_hi_u32 v14, s22, v9
	v_mul_lo_u32 v15, v9, s18
	v_mul_lo_u32 v12, v7, s6
	;; [unrolled: 1-line block ×3, first 2 shown]
	v_sub_u32_e32 v15, v4, v15
	v_add_u32_e32 v4, v9, v14
	v_lshrrev_b32_e32 v4, s23, v4
	v_mul_lo_u32 v14, v4, s21
	v_mul_lo_u32 v16, v15, s8
	;; [unrolled: 1-line block ×3, first 2 shown]
	v_add3_u32 v6, v10, v6, v12
	v_sub_u32_e32 v9, v9, v14
	v_mul_lo_u32 v14, v9, s10
	v_mul_lo_u32 v9, v9, s11
	v_add3_u32 v7, v11, v8, v7
	v_add3_u32 v6, v16, v6, v14
	v_add3_u32 v8, v15, v7, v9
	s_cbranch_scc1 .LBB5_48
; %bb.49:
	s_and_b32 s6, s27, 3
	s_cmp_eq_u32 s6, 0
	s_cbranch_scc0 .LBB5_53
	s_branch .LBB5_55
.LBB5_50:
                                        ; implicit-def: $vgpr6
                                        ; implicit-def: $vgpr8
	s_branch .LBB5_56
.LBB5_51:
	v_mov_b32_e32 v6, 0
	v_mov_b32_e32 v8, 0
	s_branch .LBB5_55
.LBB5_52:
	v_mov_b32_e32 v6, 0
	v_mov_b32_e32 v8, 0
	;; [unrolled: 1-line block ×3, first 2 shown]
	s_and_b32 s6, s27, 3
	s_cmp_eq_u32 s6, 0
	s_cbranch_scc1 .LBB5_55
.LBB5_53:
	s_lshl_b32 s2, s26, 3
	s_add_u32 s2, s34, s2
	s_addc_u32 s3, s35, 0
	s_add_u32 s2, s2, 0xc4
	s_addc_u32 s3, s3, 0
	s_mul_i32 s4, s26, 12
	s_add_u32 s4, s34, s4
	s_addc_u32 s5, s35, 0
.LBB5_54:                               ; =>This Inner Loop Header: Depth=1
	s_load_dwordx2 s[8:9], s[4:5], 0x4
	s_load_dword s7, s[4:5], 0xc
	s_load_dwordx2 s[10:11], s[2:3], 0x0
	s_add_u32 s4, s4, 12
	s_addc_u32 s5, s5, 0
	s_waitcnt lgkmcnt(0)
	v_mul_hi_u32 v7, s9, v4
	s_add_u32 s2, s2, 8
	s_addc_u32 s3, s3, 0
	s_add_i32 s6, s6, -1
	v_add_u32_e32 v7, v4, v7
	v_lshrrev_b32_e32 v10, s7, v7
	v_mul_lo_u32 v7, v10, s8
	s_cmp_lg_u32 s6, 0
	v_sub_u32_e32 v4, v4, v7
	v_mad_u64_u32 v[6:7], s[8:9], v4, s10, v[6:7]
	v_mad_u64_u32 v[8:9], s[8:9], v4, s11, v[8:9]
	v_mov_b32_e32 v4, v10
	s_cbranch_scc1 .LBB5_54
.LBB5_55:
	s_cbranch_execnz .LBB5_58
.LBB5_56:
	s_load_dwordx4 s[4:7], s[34:35], 0x4
	s_load_dwordx2 s[2:3], s[34:35], 0xc4
	s_cmp_lt_u32 s33, 2
	s_waitcnt lgkmcnt(0)
	v_mul_hi_u32 v4, s5, v1
	v_add_u32_e32 v4, v1, v4
	v_lshrrev_b32_e32 v4, s6, v4
	v_mul_lo_u32 v6, v4, s4
	v_sub_u32_e32 v1, v1, v6
	v_mul_lo_u32 v6, v1, s2
	v_mul_lo_u32 v8, v1, s3
	s_cbranch_scc1 .LBB5_58
; %bb.57:
	s_load_dwordx4 s[4:7], s[34:35], 0x10
	s_load_dwordx2 s[2:3], s[34:35], 0xcc
	s_waitcnt lgkmcnt(0)
	v_mul_hi_u32 v1, s5, v4
	v_add_u32_e32 v1, v4, v1
	v_lshrrev_b32_e32 v1, s6, v1
	v_mul_lo_u32 v1, v1, s4
	v_sub_u32_e32 v1, v4, v1
	v_mad_u64_u32 v[6:7], s[4:5], v1, s2, v[6:7]
	v_mad_u64_u32 v[8:9], s[2:3], v1, s3, v[8:9]
.LBB5_58:
	s_and_b64 vcc, exec, s[0:1]
	s_cbranch_vccnz .LBB5_64
; %bb.59:
	s_cmp_lg_u32 s33, 0
	s_waitcnt lgkmcnt(0)
	s_mov_b32 s24, 0
	s_cbranch_scc0 .LBB5_65
; %bb.60:
	s_min_u32 s25, s56, 15
	s_add_i32 s25, s25, 1
	s_cmp_eq_u32 s56, 2
	s_cbranch_scc1 .LBB5_66
; %bb.61:
	s_and_b32 s24, s25, 28
	s_add_u32 s20, s34, 0xc4
	s_addc_u32 s21, s35, 0
	v_mov_b32_e32 v11, 0
	s_mov_b32 s26, 0
	s_mov_b64 s[22:23], s[34:35]
	v_mov_b32_e32 v9, 0
	v_mov_b32_e32 v1, v13
.LBB5_62:                               ; =>This Inner Loop Header: Depth=1
	s_load_dwordx8 s[8:15], s[22:23], 0x4
	s_load_dwordx4 s[16:19], s[22:23], 0x24
	s_load_dwordx8 s[0:7], s[20:21], 0x0
	s_add_u32 s22, s22, 48
	s_addc_u32 s23, s23, 0
	s_waitcnt lgkmcnt(0)
	v_mul_hi_u32 v4, s9, v1
	s_add_i32 s26, s26, 4
	s_add_u32 s20, s20, 32
	s_addc_u32 s21, s21, 0
	v_add_u32_e32 v4, v1, v4
	v_lshrrev_b32_e32 v4, s10, v4
	v_mul_lo_u32 v7, v4, s8
	v_mul_hi_u32 v10, s12, v4
	s_cmp_lg_u32 s24, s26
	v_sub_u32_e32 v1, v1, v7
	v_add_u32_e32 v7, v4, v10
	v_mul_lo_u32 v10, v1, s0
	v_mul_lo_u32 v12, v1, s1
	v_lshrrev_b32_e32 v1, s13, v7
	v_mul_lo_u32 v7, v1, s11
	v_mul_hi_u32 v14, s15, v1
	v_sub_u32_e32 v4, v4, v7
	v_add_u32_e32 v7, v1, v14
	v_lshrrev_b32_e32 v7, s16, v7
	v_mul_hi_u32 v15, s18, v7
	v_mul_lo_u32 v16, v7, s14
	v_mul_lo_u32 v14, v4, s2
	v_mul_lo_u32 v4, v4, s3
	v_sub_u32_e32 v16, v1, v16
	v_add_u32_e32 v1, v7, v15
	v_lshrrev_b32_e32 v1, s19, v1
	v_mul_lo_u32 v15, v1, s17
	v_mul_lo_u32 v17, v16, s4
	;; [unrolled: 1-line block ×3, first 2 shown]
	v_add3_u32 v9, v10, v9, v14
	v_sub_u32_e32 v7, v7, v15
	v_mul_lo_u32 v15, v7, s6
	v_mul_lo_u32 v7, v7, s7
	v_add3_u32 v4, v12, v11, v4
	v_add3_u32 v9, v17, v9, v15
	;; [unrolled: 1-line block ×3, first 2 shown]
	s_cbranch_scc1 .LBB5_62
; %bb.63:
	s_and_b32 s4, s25, 3
	s_cmp_eq_u32 s4, 0
	s_cbranch_scc0 .LBB5_67
	s_branch .LBB5_69
.LBB5_64:
                                        ; implicit-def: $vgpr9
                                        ; implicit-def: $vgpr11
	s_branch .LBB5_70
.LBB5_65:
	v_mov_b32_e32 v9, 0
	v_mov_b32_e32 v11, 0
	s_branch .LBB5_69
.LBB5_66:
	v_mov_b32_e32 v9, 0
	v_mov_b32_e32 v11, 0
	;; [unrolled: 1-line block ×3, first 2 shown]
	s_and_b32 s4, s25, 3
	s_cmp_eq_u32 s4, 0
	s_cbranch_scc1 .LBB5_69
.LBB5_67:
	s_lshl_b32 s0, s24, 3
	s_add_u32 s0, s34, s0
	s_addc_u32 s1, s35, 0
	s_add_u32 s0, s0, 0xc4
	s_addc_u32 s1, s1, 0
	s_mul_i32 s2, s24, 12
	s_add_u32 s2, s34, s2
	s_addc_u32 s3, s35, 0
.LBB5_68:                               ; =>This Inner Loop Header: Depth=1
	s_load_dwordx2 s[6:7], s[2:3], 0x4
	s_load_dword s5, s[2:3], 0xc
	s_load_dwordx2 s[8:9], s[0:1], 0x0
	s_add_u32 s2, s2, 12
	s_addc_u32 s3, s3, 0
	s_waitcnt lgkmcnt(0)
	v_mul_hi_u32 v4, s7, v1
	s_add_u32 s0, s0, 8
	s_addc_u32 s1, s1, 0
	s_add_i32 s4, s4, -1
	v_add_u32_e32 v4, v1, v4
	v_lshrrev_b32_e32 v4, s5, v4
	v_mul_lo_u32 v7, v4, s6
	s_cmp_lg_u32 s4, 0
	v_sub_u32_e32 v1, v1, v7
	v_mad_u64_u32 v[9:10], s[6:7], v1, s8, v[9:10]
	v_mad_u64_u32 v[11:12], s[6:7], v1, s9, v[11:12]
	v_mov_b32_e32 v1, v4
	s_cbranch_scc1 .LBB5_68
.LBB5_69:
	s_cbranch_execnz .LBB5_72
.LBB5_70:
	s_load_dwordx4 s[0:3], s[34:35], 0x4
	s_load_dwordx2 s[4:5], s[34:35], 0xc4
	s_cmp_lt_u32 s33, 2
	s_waitcnt lgkmcnt(0)
	v_mul_hi_u32 v1, s1, v13
	v_add_u32_e32 v1, v13, v1
	v_lshrrev_b32_e32 v1, s2, v1
	v_mul_lo_u32 v4, v1, s0
	v_sub_u32_e32 v4, v13, v4
	v_mul_lo_u32 v9, v4, s4
	v_mul_lo_u32 v11, v4, s5
	s_cbranch_scc1 .LBB5_72
; %bb.71:
	s_load_dwordx4 s[0:3], s[34:35], 0x10
	s_load_dwordx2 s[4:5], s[34:35], 0xcc
	s_waitcnt lgkmcnt(0)
	v_mul_hi_u32 v4, s1, v1
	v_add_u32_e32 v4, v1, v4
	v_lshrrev_b32_e32 v4, s2, v4
	v_mul_lo_u32 v4, v4, s0
	v_sub_u32_e32 v1, v1, v4
	v_mad_u64_u32 v[9:10], s[0:1], v1, s4, v[9:10]
	v_mad_u64_u32 v[11:12], s[0:1], v1, s5, v[11:12]
.LBB5_72:
	s_load_dwordx4 s[8:11], s[34:35], 0x148
	s_load_dwordx2 s[4:5], s[34:35], 0x158
	s_waitcnt lgkmcnt(0)
	global_load_dwordx2 v[12:13], v2, s[10:11]
	global_load_dwordx2 v[14:15], v5, s[10:11]
	;; [unrolled: 1-line block ×4, first 2 shown]
	s_waitcnt vmcnt(3)
	v_cmp_nge_f64_e64 s[6:7], v[12:13], -s[4:5]
	v_cmp_nge_f64_e32 vcc, s[4:5], v[12:13]
	s_waitcnt vmcnt(2)
	v_cmp_nge_f64_e64 s[10:11], v[14:15], -s[4:5]
	v_cmp_nge_f64_e64 s[0:1], s[4:5], v[14:15]
	s_waitcnt vmcnt(1)
	v_cmp_nge_f64_e64 s[12:13], v[16:17], -s[4:5]
	v_cmp_nge_f64_e64 s[2:3], s[4:5], v[16:17]
	s_waitcnt vmcnt(0)
	v_cmp_nge_f64_e64 s[14:15], v[18:19], -s[4:5]
	v_cmp_nge_f64_e64 s[4:5], s[4:5], v[18:19]
	s_or_b64 vcc, s[6:7], vcc
	v_cndmask_b32_e32 v2, 0, v13, vcc
	s_or_b64 s[0:1], s[10:11], s[0:1]
	v_cndmask_b32_e64 v5, 0, v15, s[0:1]
	v_cndmask_b32_e32 v1, 0, v12, vcc
	s_or_b64 vcc, s[12:13], s[2:3]
	v_cndmask_b32_e64 v4, 0, v14, s[0:1]
	s_or_b64 s[0:1], s[14:15], s[4:5]
	v_cndmask_b32_e32 v8, 0, v17, vcc
	v_cndmask_b32_e64 v11, 0, v19, s[0:1]
	v_cndmask_b32_e32 v7, 0, v16, vcc
	v_cndmask_b32_e64 v10, 0, v18, s[0:1]
	global_store_dwordx2 v0, v[1:2], s[8:9]
	global_store_dwordx2 v3, v[4:5], s[8:9]
	;; [unrolled: 1-line block ×4, first 2 shown]
	s_endpgm
.LBB5_73:
	v_mov_b32_e32 v0, 0
	v_mov_b32_e32 v2, 0
	s_branch .LBB5_79
.LBB5_74:
	v_mov_b32_e32 v0, 0
	v_mov_b32_e32 v2, 0
	s_branch .LBB5_95
.LBB5_75:
	s_mov_b32 s59, 0
	v_mov_b32_e32 v0, 0
	v_mov_b32_e32 v2, 0
	;; [unrolled: 1-line block ×3, first 2 shown]
.LBB5_76:
	s_and_b32 s4, s60, 3
	s_cmp_eq_u32 s4, 0
	s_cbranch_scc1 .LBB5_79
; %bb.77:
	s_lshl_b32 s0, s59, 3
	s_add_u32 s0, s34, s0
	s_addc_u32 s1, s35, 0
	s_add_u32 s0, s0, 0xc4
	s_addc_u32 s1, s1, 0
	s_mul_i32 s2, s59, 12
	s_add_u32 s2, s34, s2
	s_addc_u32 s3, s35, 0
.LBB5_78:                               ; =>This Inner Loop Header: Depth=1
	s_load_dwordx2 s[6:7], s[2:3], 0x4
	s_load_dword s5, s[2:3], 0xc
	s_load_dwordx2 s[8:9], s[0:1], 0x0
	s_add_u32 s2, s2, 12
	s_addc_u32 s3, s3, 0
	s_waitcnt lgkmcnt(0)
	v_mul_hi_u32 v3, s7, v1
	s_add_u32 s0, s0, 8
	s_addc_u32 s1, s1, 0
	s_add_i32 s4, s4, -1
	v_add_u32_e32 v3, v1, v3
	v_lshrrev_b32_e32 v4, s5, v3
	v_mul_lo_u32 v3, v4, s6
	s_cmp_lg_u32 s4, 0
	v_sub_u32_e32 v3, v1, v3
	v_mad_u64_u32 v[0:1], s[6:7], v3, s8, v[0:1]
	v_mad_u64_u32 v[2:3], s[6:7], v3, s9, v[2:3]
	v_mov_b32_e32 v1, v4
	s_cbranch_scc1 .LBB5_78
.LBB5_79:
	s_cbranch_execnz .LBB5_82
.LBB5_80:
	s_waitcnt lgkmcnt(0)
	v_mul_hi_u32 v0, s21, v7
	s_andn2_b64 vcc, exec, s[44:45]
	v_add_u32_e32 v0, v7, v0
	v_lshrrev_b32_e32 v1, s22, v0
	v_mul_lo_u32 v0, v1, s20
	v_sub_u32_e32 v2, v7, v0
	v_mul_lo_u32 v0, v2, s24
	v_mul_lo_u32 v2, v2, s25
	s_cbranch_vccnz .LBB5_82
; %bb.81:
	v_mul_hi_u32 v3, s42, v1
	v_add_u32_e32 v3, v1, v3
	v_lshrrev_b32_e32 v3, s43, v3
	v_mul_lo_u32 v3, v3, s23
	v_sub_u32_e32 v3, v1, v3
	v_mad_u64_u32 v[0:1], s[0:1], v3, s26, v[0:1]
	v_mad_u64_u32 v[2:3], s[0:1], v3, s27, v[2:3]
.LBB5_82:
	s_waitcnt lgkmcnt(0)
	global_load_dwordx2 v[1:2], v2, s[18:19]
	v_add_u32_e32 v7, 0x80, v7
	s_waitcnt vmcnt(0)
	v_cmp_nge_f64_e64 s[0:1], v[1:2], -s[40:41]
	v_cmp_nge_f64_e32 vcc, s[40:41], v[1:2]
	s_or_b64 vcc, s[0:1], vcc
	v_cndmask_b32_e32 v2, 0, v2, vcc
	v_cndmask_b32_e32 v1, 0, v1, vcc
	global_store_dwordx2 v0, v[1:2], s[16:17]
	s_or_b64 exec, exec, s[50:51]
	v_cmp_gt_i32_e32 vcc, s57, v7
	s_and_saveexec_b64 s[50:51], vcc
	s_cbranch_execnz .LBB5_15
.LBB5_83:
	s_or_b64 exec, exec, s[50:51]
	v_cmp_gt_i32_e32 vcc, s57, v7
	s_and_saveexec_b64 s[50:51], vcc
	s_cbranch_execz .LBB5_99
.LBB5_84:
	s_andn2_b64 vcc, exec, s[36:37]
	s_cbranch_vccnz .LBB5_89
; %bb.85:
	s_andn2_b64 vcc, exec, s[48:49]
	s_cbranch_vccnz .LBB5_90
; %bb.86:
	s_add_i32 s60, s58, 1
	s_cmp_eq_u32 s56, 2
	s_cbranch_scc1 .LBB5_102
; %bb.87:
	s_and_b32 s59, s60, 28
	v_mov_b32_e32 v2, 0
	s_mov_b32 s61, 0
	s_mov_b64 s[52:53], s[34:35]
	s_mov_b64 s[54:55], s[46:47]
	v_mov_b32_e32 v0, 0
	v_mov_b32_e32 v1, v7
.LBB5_88:                               ; =>This Inner Loop Header: Depth=1
	s_load_dwordx8 s[8:15], s[52:53], 0x4
	s_load_dwordx4 s[28:31], s[52:53], 0x24
	s_load_dwordx8 s[0:7], s[54:55], 0x0
	s_add_u32 s52, s52, 48
	s_addc_u32 s53, s53, 0
	s_waitcnt lgkmcnt(0)
	v_mul_hi_u32 v3, s9, v1
	s_add_i32 s61, s61, 4
	s_add_u32 s54, s54, 32
	s_addc_u32 s55, s55, 0
	v_add_u32_e32 v3, v1, v3
	v_lshrrev_b32_e32 v3, s10, v3
	v_mul_lo_u32 v4, v3, s8
	v_mul_hi_u32 v5, s12, v3
	s_cmp_eq_u32 s59, s61
	v_sub_u32_e32 v1, v1, v4
	v_add_u32_e32 v4, v3, v5
	v_mul_lo_u32 v5, v1, s0
	v_mul_lo_u32 v6, v1, s1
	v_lshrrev_b32_e32 v1, s13, v4
	v_mul_lo_u32 v4, v1, s11
	v_mul_hi_u32 v8, s15, v1
	v_sub_u32_e32 v3, v3, v4
	v_add_u32_e32 v4, v1, v8
	v_lshrrev_b32_e32 v4, s28, v4
	v_mul_hi_u32 v9, s30, v4
	v_mul_lo_u32 v10, v4, s14
	v_mul_lo_u32 v8, v3, s2
	v_mul_lo_u32 v3, v3, s3
	v_sub_u32_e32 v10, v1, v10
	v_add_u32_e32 v1, v4, v9
	v_lshrrev_b32_e32 v1, s31, v1
	v_mul_lo_u32 v9, v1, s29
	v_mul_lo_u32 v11, v10, s4
	;; [unrolled: 1-line block ×3, first 2 shown]
	v_add3_u32 v0, v5, v0, v8
	v_sub_u32_e32 v4, v4, v9
	v_mul_lo_u32 v9, v4, s6
	v_mul_lo_u32 v4, v4, s7
	v_add3_u32 v2, v6, v2, v3
	v_add3_u32 v0, v11, v0, v9
	;; [unrolled: 1-line block ×3, first 2 shown]
	s_cbranch_scc0 .LBB5_88
	s_branch .LBB5_103
.LBB5_89:
                                        ; implicit-def: $vgpr0
                                        ; implicit-def: $vgpr2
	s_branch .LBB5_107
.LBB5_90:
	v_mov_b32_e32 v0, 0
	v_mov_b32_e32 v2, 0
	s_branch .LBB5_106
.LBB5_91:
	s_mov_b32 s59, 0
	v_mov_b32_e32 v0, 0
	v_mov_b32_e32 v2, 0
	;; [unrolled: 1-line block ×3, first 2 shown]
.LBB5_92:
	s_and_b32 s4, s60, 3
	s_cmp_eq_u32 s4, 0
	s_cbranch_scc1 .LBB5_95
; %bb.93:
	s_lshl_b32 s0, s59, 3
	s_add_u32 s0, s34, s0
	s_addc_u32 s1, s35, 0
	s_add_u32 s0, s0, 0xc4
	s_addc_u32 s1, s1, 0
	s_mul_i32 s2, s59, 12
	s_add_u32 s2, s34, s2
	s_addc_u32 s3, s35, 0
.LBB5_94:                               ; =>This Inner Loop Header: Depth=1
	s_load_dwordx2 s[6:7], s[2:3], 0x4
	s_load_dword s5, s[2:3], 0xc
	s_load_dwordx2 s[8:9], s[0:1], 0x0
	s_add_u32 s2, s2, 12
	s_addc_u32 s3, s3, 0
	s_waitcnt lgkmcnt(0)
	v_mul_hi_u32 v3, s7, v1
	s_add_u32 s0, s0, 8
	s_addc_u32 s1, s1, 0
	s_add_i32 s4, s4, -1
	v_add_u32_e32 v3, v1, v3
	v_lshrrev_b32_e32 v4, s5, v3
	v_mul_lo_u32 v3, v4, s6
	s_cmp_lg_u32 s4, 0
	v_sub_u32_e32 v3, v1, v3
	v_mad_u64_u32 v[0:1], s[6:7], v3, s8, v[0:1]
	v_mad_u64_u32 v[2:3], s[6:7], v3, s9, v[2:3]
	v_mov_b32_e32 v1, v4
	s_cbranch_scc1 .LBB5_94
.LBB5_95:
	s_cbranch_execnz .LBB5_98
.LBB5_96:
	s_waitcnt lgkmcnt(0)
	v_mul_hi_u32 v0, s21, v7
	s_andn2_b64 vcc, exec, s[44:45]
	v_add_u32_e32 v0, v7, v0
	v_lshrrev_b32_e32 v1, s22, v0
	v_mul_lo_u32 v0, v1, s20
	v_sub_u32_e32 v2, v7, v0
	v_mul_lo_u32 v0, v2, s24
	v_mul_lo_u32 v2, v2, s25
	s_cbranch_vccnz .LBB5_98
; %bb.97:
	v_mul_hi_u32 v3, s42, v1
	v_add_u32_e32 v3, v1, v3
	v_lshrrev_b32_e32 v3, s43, v3
	v_mul_lo_u32 v3, v3, s23
	v_sub_u32_e32 v3, v1, v3
	v_mad_u64_u32 v[0:1], s[0:1], v3, s26, v[0:1]
	v_mad_u64_u32 v[2:3], s[0:1], v3, s27, v[2:3]
.LBB5_98:
	s_waitcnt lgkmcnt(0)
	global_load_dwordx2 v[1:2], v2, s[18:19]
	v_add_u32_e32 v7, 0x80, v7
	s_waitcnt vmcnt(0)
	v_cmp_nge_f64_e64 s[0:1], v[1:2], -s[40:41]
	v_cmp_nge_f64_e32 vcc, s[40:41], v[1:2]
	s_or_b64 vcc, s[0:1], vcc
	v_cndmask_b32_e32 v2, 0, v2, vcc
	v_cndmask_b32_e32 v1, 0, v1, vcc
	global_store_dwordx2 v0, v[1:2], s[16:17]
	s_or_b64 exec, exec, s[50:51]
	v_cmp_gt_i32_e32 vcc, s57, v7
	s_and_saveexec_b64 s[50:51], vcc
	s_cbranch_execnz .LBB5_84
.LBB5_99:
	s_or_b64 exec, exec, s[50:51]
	v_cmp_gt_i32_e32 vcc, s57, v7
	s_and_saveexec_b64 s[50:51], vcc
	s_cbranch_execnz .LBB5_110
.LBB5_100:
	s_or_b64 exec, exec, s[50:51]
                                        ; implicit-def: $vgpr13
                                        ; implicit-def: $vgpr7
	s_andn2_saveexec_b64 s[0:1], s[38:39]
	s_cbranch_execnz .LBB5_8
.LBB5_101:
	s_endpgm
.LBB5_102:
	s_mov_b32 s59, 0
	v_mov_b32_e32 v0, 0
	v_mov_b32_e32 v2, 0
	;; [unrolled: 1-line block ×3, first 2 shown]
.LBB5_103:
	s_and_b32 s4, s60, 3
	s_cmp_eq_u32 s4, 0
	s_cbranch_scc1 .LBB5_106
; %bb.104:
	s_lshl_b32 s0, s59, 3
	s_add_u32 s0, s34, s0
	s_addc_u32 s1, s35, 0
	s_add_u32 s0, s0, 0xc4
	s_addc_u32 s1, s1, 0
	s_mul_i32 s2, s59, 12
	s_add_u32 s2, s34, s2
	s_addc_u32 s3, s35, 0
.LBB5_105:                              ; =>This Inner Loop Header: Depth=1
	s_load_dwordx2 s[6:7], s[2:3], 0x4
	s_load_dword s5, s[2:3], 0xc
	s_load_dwordx2 s[8:9], s[0:1], 0x0
	s_add_u32 s2, s2, 12
	s_addc_u32 s3, s3, 0
	s_waitcnt lgkmcnt(0)
	v_mul_hi_u32 v3, s7, v1
	s_add_u32 s0, s0, 8
	s_addc_u32 s1, s1, 0
	s_add_i32 s4, s4, -1
	v_add_u32_e32 v3, v1, v3
	v_lshrrev_b32_e32 v4, s5, v3
	v_mul_lo_u32 v3, v4, s6
	s_cmp_lg_u32 s4, 0
	v_sub_u32_e32 v3, v1, v3
	v_mad_u64_u32 v[0:1], s[6:7], v3, s8, v[0:1]
	v_mad_u64_u32 v[2:3], s[6:7], v3, s9, v[2:3]
	v_mov_b32_e32 v1, v4
	s_cbranch_scc1 .LBB5_105
.LBB5_106:
	s_cbranch_execnz .LBB5_109
.LBB5_107:
	s_waitcnt lgkmcnt(0)
	v_mul_hi_u32 v0, s21, v7
	s_andn2_b64 vcc, exec, s[44:45]
	v_add_u32_e32 v0, v7, v0
	v_lshrrev_b32_e32 v1, s22, v0
	v_mul_lo_u32 v0, v1, s20
	v_sub_u32_e32 v2, v7, v0
	v_mul_lo_u32 v0, v2, s24
	v_mul_lo_u32 v2, v2, s25
	s_cbranch_vccnz .LBB5_109
; %bb.108:
	v_mul_hi_u32 v3, s42, v1
	v_add_u32_e32 v3, v1, v3
	v_lshrrev_b32_e32 v3, s43, v3
	v_mul_lo_u32 v3, v3, s23
	v_sub_u32_e32 v3, v1, v3
	v_mad_u64_u32 v[0:1], s[0:1], v3, s26, v[0:1]
	v_mad_u64_u32 v[2:3], s[0:1], v3, s27, v[2:3]
.LBB5_109:
	s_waitcnt lgkmcnt(0)
	global_load_dwordx2 v[1:2], v2, s[18:19]
	v_add_u32_e32 v7, 0x80, v7
	s_waitcnt vmcnt(0)
	v_cmp_nge_f64_e64 s[0:1], v[1:2], -s[40:41]
	v_cmp_nge_f64_e32 vcc, s[40:41], v[1:2]
	s_or_b64 vcc, s[0:1], vcc
	v_cndmask_b32_e32 v2, 0, v2, vcc
	v_cndmask_b32_e32 v1, 0, v1, vcc
	global_store_dwordx2 v0, v[1:2], s[16:17]
	s_or_b64 exec, exec, s[50:51]
	v_cmp_gt_i32_e32 vcc, s57, v7
	s_and_saveexec_b64 s[50:51], vcc
	s_cbranch_execz .LBB5_100
.LBB5_110:
	s_andn2_b64 vcc, exec, s[36:37]
	s_cbranch_vccnz .LBB5_115
; %bb.111:
	s_andn2_b64 vcc, exec, s[48:49]
	s_cbranch_vccnz .LBB5_116
; %bb.112:
	s_add_i32 s58, s58, 1
	s_cmp_eq_u32 s56, 2
	s_cbranch_scc1 .LBB5_117
; %bb.113:
	s_and_b32 s52, s58, 28
	v_mov_b32_e32 v2, 0
	s_mov_b32 s53, 0
	s_mov_b64 s[48:49], s[34:35]
	v_mov_b32_e32 v0, 0
	v_mov_b32_e32 v1, v7
.LBB5_114:                              ; =>This Inner Loop Header: Depth=1
	s_load_dwordx8 s[8:15], s[48:49], 0x4
	s_load_dwordx4 s[28:31], s[48:49], 0x24
	s_load_dwordx8 s[0:7], s[46:47], 0x0
	s_add_u32 s48, s48, 48
	s_addc_u32 s49, s49, 0
	s_waitcnt lgkmcnt(0)
	v_mul_hi_u32 v3, s9, v1
	s_add_i32 s53, s53, 4
	s_add_u32 s46, s46, 32
	s_addc_u32 s47, s47, 0
	v_add_u32_e32 v3, v1, v3
	v_lshrrev_b32_e32 v3, s10, v3
	v_mul_lo_u32 v4, v3, s8
	v_mul_hi_u32 v5, s12, v3
	s_cmp_eq_u32 s52, s53
	v_sub_u32_e32 v1, v1, v4
	v_add_u32_e32 v4, v3, v5
	v_mul_lo_u32 v5, v1, s0
	v_mul_lo_u32 v6, v1, s1
	v_lshrrev_b32_e32 v1, s13, v4
	v_mul_lo_u32 v4, v1, s11
	v_mul_hi_u32 v8, s15, v1
	v_sub_u32_e32 v3, v3, v4
	v_add_u32_e32 v4, v1, v8
	v_lshrrev_b32_e32 v4, s28, v4
	v_mul_hi_u32 v9, s30, v4
	v_mul_lo_u32 v10, v4, s14
	v_mul_lo_u32 v8, v3, s2
	;; [unrolled: 1-line block ×3, first 2 shown]
	v_sub_u32_e32 v10, v1, v10
	v_add_u32_e32 v1, v4, v9
	v_lshrrev_b32_e32 v1, s31, v1
	v_mul_lo_u32 v9, v1, s29
	v_mul_lo_u32 v11, v10, s4
	;; [unrolled: 1-line block ×3, first 2 shown]
	v_add3_u32 v0, v5, v0, v8
	v_sub_u32_e32 v4, v4, v9
	v_mul_lo_u32 v9, v4, s6
	v_mul_lo_u32 v4, v4, s7
	v_add3_u32 v2, v6, v2, v3
	v_add3_u32 v0, v11, v0, v9
	;; [unrolled: 1-line block ×3, first 2 shown]
	s_cbranch_scc0 .LBB5_114
	s_branch .LBB5_118
.LBB5_115:
                                        ; implicit-def: $vgpr0
                                        ; implicit-def: $vgpr2
	s_branch .LBB5_122
.LBB5_116:
	v_mov_b32_e32 v0, 0
	v_mov_b32_e32 v2, 0
	s_branch .LBB5_121
.LBB5_117:
	s_mov_b32 s52, 0
	v_mov_b32_e32 v0, 0
	v_mov_b32_e32 v2, 0
	;; [unrolled: 1-line block ×3, first 2 shown]
.LBB5_118:
	s_and_b32 s4, s58, 3
	s_cmp_eq_u32 s4, 0
	s_cbranch_scc1 .LBB5_121
; %bb.119:
	s_lshl_b32 s0, s52, 3
	s_add_u32 s0, s34, s0
	s_addc_u32 s1, s35, 0
	s_add_u32 s0, s0, 0xc4
	s_addc_u32 s1, s1, 0
	s_mul_i32 s2, s52, 12
	s_add_u32 s2, s34, s2
	s_addc_u32 s3, s35, 0
.LBB5_120:                              ; =>This Inner Loop Header: Depth=1
	s_load_dwordx2 s[6:7], s[2:3], 0x4
	s_load_dword s5, s[2:3], 0xc
	s_load_dwordx2 s[8:9], s[0:1], 0x0
	s_add_u32 s2, s2, 12
	s_addc_u32 s3, s3, 0
	s_waitcnt lgkmcnt(0)
	v_mul_hi_u32 v3, s7, v1
	s_add_u32 s0, s0, 8
	s_addc_u32 s1, s1, 0
	s_add_i32 s4, s4, -1
	v_add_u32_e32 v3, v1, v3
	v_lshrrev_b32_e32 v4, s5, v3
	v_mul_lo_u32 v3, v4, s6
	s_cmp_lg_u32 s4, 0
	v_sub_u32_e32 v3, v1, v3
	v_mad_u64_u32 v[0:1], s[6:7], v3, s8, v[0:1]
	v_mad_u64_u32 v[2:3], s[6:7], v3, s9, v[2:3]
	v_mov_b32_e32 v1, v4
	s_cbranch_scc1 .LBB5_120
.LBB5_121:
	s_cbranch_execnz .LBB5_124
.LBB5_122:
	s_waitcnt lgkmcnt(0)
	v_mul_hi_u32 v0, s21, v7
	s_andn2_b64 vcc, exec, s[44:45]
	v_add_u32_e32 v0, v7, v0
	v_lshrrev_b32_e32 v1, s22, v0
	v_mul_lo_u32 v0, v1, s20
	v_sub_u32_e32 v2, v7, v0
	v_mul_lo_u32 v0, v2, s24
	v_mul_lo_u32 v2, v2, s25
	s_cbranch_vccnz .LBB5_124
; %bb.123:
	v_mul_hi_u32 v3, s42, v1
	v_add_u32_e32 v3, v1, v3
	v_lshrrev_b32_e32 v3, s43, v3
	v_mul_lo_u32 v3, v3, s23
	v_sub_u32_e32 v3, v1, v3
	v_mad_u64_u32 v[0:1], s[0:1], v3, s26, v[0:1]
	v_mad_u64_u32 v[2:3], s[0:1], v3, s27, v[2:3]
.LBB5_124:
	s_waitcnt lgkmcnt(0)
	global_load_dwordx2 v[1:2], v2, s[18:19]
	s_waitcnt vmcnt(0)
	v_cmp_nge_f64_e64 s[0:1], v[1:2], -s[40:41]
	v_cmp_nge_f64_e32 vcc, s[40:41], v[1:2]
	s_or_b64 vcc, s[0:1], vcc
	v_cndmask_b32_e32 v2, 0, v2, vcc
	v_cndmask_b32_e32 v1, 0, v1, vcc
	global_store_dwordx2 v0, v[1:2], s[16:17]
	s_or_b64 exec, exec, s[50:51]
                                        ; implicit-def: $vgpr13
                                        ; implicit-def: $vgpr7
	s_andn2_saveexec_b64 s[0:1], s[38:39]
	s_cbranch_execz .LBB5_101
	s_branch .LBB5_8
	.section	.rodata,"a",@progbits
	.p2align	6, 0x0
	.amdhsa_kernel _ZN2at6native32elementwise_kernel_manual_unrollILi128ELi4EZNS0_22gpu_kernel_impl_nocastIZZZNS0_12_GLOBAL__N_117hardshrink_kernelERNS_18TensorIteratorBaseERKN3c106ScalarEENKUlvE_clEvENKUlvE_clEvEUldE_EEvS5_RKT_EUlibE_EEviT1_
		.amdhsa_group_segment_fixed_size 0
		.amdhsa_private_segment_fixed_size 0
		.amdhsa_kernarg_size 360
		.amdhsa_user_sgpr_count 6
		.amdhsa_user_sgpr_private_segment_buffer 1
		.amdhsa_user_sgpr_dispatch_ptr 0
		.amdhsa_user_sgpr_queue_ptr 0
		.amdhsa_user_sgpr_kernarg_segment_ptr 1
		.amdhsa_user_sgpr_dispatch_id 0
		.amdhsa_user_sgpr_flat_scratch_init 0
		.amdhsa_user_sgpr_private_segment_size 0
		.amdhsa_uses_dynamic_stack 0
		.amdhsa_system_sgpr_private_segment_wavefront_offset 0
		.amdhsa_system_sgpr_workgroup_id_x 1
		.amdhsa_system_sgpr_workgroup_id_y 0
		.amdhsa_system_sgpr_workgroup_id_z 0
		.amdhsa_system_sgpr_workgroup_info 0
		.amdhsa_system_vgpr_workitem_id 0
		.amdhsa_next_free_vgpr 20
		.amdhsa_next_free_sgpr 62
		.amdhsa_reserve_vcc 1
		.amdhsa_reserve_flat_scratch 0
		.amdhsa_float_round_mode_32 0
		.amdhsa_float_round_mode_16_64 0
		.amdhsa_float_denorm_mode_32 3
		.amdhsa_float_denorm_mode_16_64 3
		.amdhsa_dx10_clamp 1
		.amdhsa_ieee_mode 1
		.amdhsa_fp16_overflow 0
		.amdhsa_exception_fp_ieee_invalid_op 0
		.amdhsa_exception_fp_denorm_src 0
		.amdhsa_exception_fp_ieee_div_zero 0
		.amdhsa_exception_fp_ieee_overflow 0
		.amdhsa_exception_fp_ieee_underflow 0
		.amdhsa_exception_fp_ieee_inexact 0
		.amdhsa_exception_int_div_zero 0
	.end_amdhsa_kernel
	.section	.text._ZN2at6native32elementwise_kernel_manual_unrollILi128ELi4EZNS0_22gpu_kernel_impl_nocastIZZZNS0_12_GLOBAL__N_117hardshrink_kernelERNS_18TensorIteratorBaseERKN3c106ScalarEENKUlvE_clEvENKUlvE_clEvEUldE_EEvS5_RKT_EUlibE_EEviT1_,"axG",@progbits,_ZN2at6native32elementwise_kernel_manual_unrollILi128ELi4EZNS0_22gpu_kernel_impl_nocastIZZZNS0_12_GLOBAL__N_117hardshrink_kernelERNS_18TensorIteratorBaseERKN3c106ScalarEENKUlvE_clEvENKUlvE_clEvEUldE_EEvS5_RKT_EUlibE_EEviT1_,comdat
.Lfunc_end5:
	.size	_ZN2at6native32elementwise_kernel_manual_unrollILi128ELi4EZNS0_22gpu_kernel_impl_nocastIZZZNS0_12_GLOBAL__N_117hardshrink_kernelERNS_18TensorIteratorBaseERKN3c106ScalarEENKUlvE_clEvENKUlvE_clEvEUldE_EEvS5_RKT_EUlibE_EEviT1_, .Lfunc_end5-_ZN2at6native32elementwise_kernel_manual_unrollILi128ELi4EZNS0_22gpu_kernel_impl_nocastIZZZNS0_12_GLOBAL__N_117hardshrink_kernelERNS_18TensorIteratorBaseERKN3c106ScalarEENKUlvE_clEvENKUlvE_clEvEUldE_EEvS5_RKT_EUlibE_EEviT1_
                                        ; -- End function
	.set _ZN2at6native32elementwise_kernel_manual_unrollILi128ELi4EZNS0_22gpu_kernel_impl_nocastIZZZNS0_12_GLOBAL__N_117hardshrink_kernelERNS_18TensorIteratorBaseERKN3c106ScalarEENKUlvE_clEvENKUlvE_clEvEUldE_EEvS5_RKT_EUlibE_EEviT1_.num_vgpr, 20
	.set _ZN2at6native32elementwise_kernel_manual_unrollILi128ELi4EZNS0_22gpu_kernel_impl_nocastIZZZNS0_12_GLOBAL__N_117hardshrink_kernelERNS_18TensorIteratorBaseERKN3c106ScalarEENKUlvE_clEvENKUlvE_clEvEUldE_EEvS5_RKT_EUlibE_EEviT1_.num_agpr, 0
	.set _ZN2at6native32elementwise_kernel_manual_unrollILi128ELi4EZNS0_22gpu_kernel_impl_nocastIZZZNS0_12_GLOBAL__N_117hardshrink_kernelERNS_18TensorIteratorBaseERKN3c106ScalarEENKUlvE_clEvENKUlvE_clEvEUldE_EEvS5_RKT_EUlibE_EEviT1_.numbered_sgpr, 62
	.set _ZN2at6native32elementwise_kernel_manual_unrollILi128ELi4EZNS0_22gpu_kernel_impl_nocastIZZZNS0_12_GLOBAL__N_117hardshrink_kernelERNS_18TensorIteratorBaseERKN3c106ScalarEENKUlvE_clEvENKUlvE_clEvEUldE_EEvS5_RKT_EUlibE_EEviT1_.num_named_barrier, 0
	.set _ZN2at6native32elementwise_kernel_manual_unrollILi128ELi4EZNS0_22gpu_kernel_impl_nocastIZZZNS0_12_GLOBAL__N_117hardshrink_kernelERNS_18TensorIteratorBaseERKN3c106ScalarEENKUlvE_clEvENKUlvE_clEvEUldE_EEvS5_RKT_EUlibE_EEviT1_.private_seg_size, 0
	.set _ZN2at6native32elementwise_kernel_manual_unrollILi128ELi4EZNS0_22gpu_kernel_impl_nocastIZZZNS0_12_GLOBAL__N_117hardshrink_kernelERNS_18TensorIteratorBaseERKN3c106ScalarEENKUlvE_clEvENKUlvE_clEvEUldE_EEvS5_RKT_EUlibE_EEviT1_.uses_vcc, 1
	.set _ZN2at6native32elementwise_kernel_manual_unrollILi128ELi4EZNS0_22gpu_kernel_impl_nocastIZZZNS0_12_GLOBAL__N_117hardshrink_kernelERNS_18TensorIteratorBaseERKN3c106ScalarEENKUlvE_clEvENKUlvE_clEvEUldE_EEvS5_RKT_EUlibE_EEviT1_.uses_flat_scratch, 0
	.set _ZN2at6native32elementwise_kernel_manual_unrollILi128ELi4EZNS0_22gpu_kernel_impl_nocastIZZZNS0_12_GLOBAL__N_117hardshrink_kernelERNS_18TensorIteratorBaseERKN3c106ScalarEENKUlvE_clEvENKUlvE_clEvEUldE_EEvS5_RKT_EUlibE_EEviT1_.has_dyn_sized_stack, 0
	.set _ZN2at6native32elementwise_kernel_manual_unrollILi128ELi4EZNS0_22gpu_kernel_impl_nocastIZZZNS0_12_GLOBAL__N_117hardshrink_kernelERNS_18TensorIteratorBaseERKN3c106ScalarEENKUlvE_clEvENKUlvE_clEvEUldE_EEvS5_RKT_EUlibE_EEviT1_.has_recursion, 0
	.set _ZN2at6native32elementwise_kernel_manual_unrollILi128ELi4EZNS0_22gpu_kernel_impl_nocastIZZZNS0_12_GLOBAL__N_117hardshrink_kernelERNS_18TensorIteratorBaseERKN3c106ScalarEENKUlvE_clEvENKUlvE_clEvEUldE_EEvS5_RKT_EUlibE_EEviT1_.has_indirect_call, 0
	.section	.AMDGPU.csdata,"",@progbits
; Kernel info:
; codeLenInByte = 5916
; TotalNumSgprs: 66
; NumVgprs: 20
; ScratchSize: 0
; MemoryBound: 0
; FloatMode: 240
; IeeeMode: 1
; LDSByteSize: 0 bytes/workgroup (compile time only)
; SGPRBlocks: 8
; VGPRBlocks: 4
; NumSGPRsForWavesPerEU: 66
; NumVGPRsForWavesPerEU: 20
; Occupancy: 10
; WaveLimiterHint : 1
; COMPUTE_PGM_RSRC2:SCRATCH_EN: 0
; COMPUTE_PGM_RSRC2:USER_SGPR: 6
; COMPUTE_PGM_RSRC2:TRAP_HANDLER: 0
; COMPUTE_PGM_RSRC2:TGID_X_EN: 1
; COMPUTE_PGM_RSRC2:TGID_Y_EN: 0
; COMPUTE_PGM_RSRC2:TGID_Z_EN: 0
; COMPUTE_PGM_RSRC2:TIDIG_COMP_CNT: 0
	.section	.text._ZN2at6native32elementwise_kernel_manual_unrollILi128ELi4EZNS0_15gpu_kernel_implIZZZNS0_12_GLOBAL__N_117hardshrink_kernelERNS_18TensorIteratorBaseERKN3c106ScalarEENKUlvE_clEvENKUlvE_clEvEUldE_EEvS5_RKT_EUlibE_EEviT1_,"axG",@progbits,_ZN2at6native32elementwise_kernel_manual_unrollILi128ELi4EZNS0_15gpu_kernel_implIZZZNS0_12_GLOBAL__N_117hardshrink_kernelERNS_18TensorIteratorBaseERKN3c106ScalarEENKUlvE_clEvENKUlvE_clEvEUldE_EEvS5_RKT_EUlibE_EEviT1_,comdat
	.globl	_ZN2at6native32elementwise_kernel_manual_unrollILi128ELi4EZNS0_15gpu_kernel_implIZZZNS0_12_GLOBAL__N_117hardshrink_kernelERNS_18TensorIteratorBaseERKN3c106ScalarEENKUlvE_clEvENKUlvE_clEvEUldE_EEvS5_RKT_EUlibE_EEviT1_ ; -- Begin function _ZN2at6native32elementwise_kernel_manual_unrollILi128ELi4EZNS0_15gpu_kernel_implIZZZNS0_12_GLOBAL__N_117hardshrink_kernelERNS_18TensorIteratorBaseERKN3c106ScalarEENKUlvE_clEvENKUlvE_clEvEUldE_EEvS5_RKT_EUlibE_EEviT1_
	.p2align	8
	.type	_ZN2at6native32elementwise_kernel_manual_unrollILi128ELi4EZNS0_15gpu_kernel_implIZZZNS0_12_GLOBAL__N_117hardshrink_kernelERNS_18TensorIteratorBaseERKN3c106ScalarEENKUlvE_clEvENKUlvE_clEvEUldE_EEvS5_RKT_EUlibE_EEviT1_,@function
_ZN2at6native32elementwise_kernel_manual_unrollILi128ELi4EZNS0_15gpu_kernel_implIZZZNS0_12_GLOBAL__N_117hardshrink_kernelERNS_18TensorIteratorBaseERKN3c106ScalarEENKUlvE_clEvENKUlvE_clEvEUldE_EEvS5_RKT_EUlibE_EEviT1_: ; @_ZN2at6native32elementwise_kernel_manual_unrollILi128ELi4EZNS0_15gpu_kernel_implIZZZNS0_12_GLOBAL__N_117hardshrink_kernelERNS_18TensorIteratorBaseERKN3c106ScalarEENKUlvE_clEvENKUlvE_clEvEUldE_EEvS5_RKT_EUlibE_EEviT1_
; %bb.0:
	s_load_dword s33, s[4:5], 0x28
	s_load_dword s40, s[4:5], 0x0
	s_load_dwordx8 s[8:15], s[4:5], 0x8
	v_lshl_or_b32 v10, s6, 9, v0
	v_or_b32_e32 v0, 0x180, v10
	s_waitcnt lgkmcnt(0)
	s_bfe_u32 s44, s33, 0x80008
	v_cmp_le_i32_e32 vcc, s40, v0
	s_mov_b64 s[2:3], 0
	s_mov_b64 s[6:7], 0
	s_and_saveexec_b64 s[0:1], vcc
	s_xor_b64 s[4:5], exec, s[0:1]
	s_cbranch_execz .LBB6_1027
; %bb.1:
	v_cmp_gt_i32_e32 vcc, s40, v10
	s_mov_b64 s[20:21], -1
	s_mov_b64 s[22:23], 0
	s_mov_b64 s[16:17], 0
	s_and_saveexec_b64 s[18:19], vcc
	s_cbranch_execz .LBB6_252
; %bb.2:
	v_mul_lo_u32 v0, v10, s13
	v_mov_b32_e32 v1, s11
	s_and_b32 s24, 0xffff, s44
	s_cmp_lt_i32 s24, 11
	v_ashrrev_i32_e32 v2, 31, v0
	v_add_co_u32_e32 v0, vcc, s10, v0
	v_addc_co_u32_e32 v1, vcc, v1, v2, vcc
	s_cbranch_scc1 .LBB6_9
; %bb.3:
	s_cmp_gt_i32 s24, 25
	s_cbranch_scc0 .LBB6_18
; %bb.4:
	s_cmp_gt_i32 s24, 28
	s_cbranch_scc0 .LBB6_22
	;; [unrolled: 3-line block ×4, first 2 shown]
; %bb.7:
	s_cmp_eq_u32 s24, 46
	s_cbranch_scc0 .LBB6_28
; %bb.8:
	global_load_dword v2, v[0:1], off
	s_mov_b64 s[0:1], -1
	s_waitcnt vmcnt(0)
	v_lshlrev_b32_e32 v2, 16, v2
	v_cvt_f64_f32_e32 v[2:3], v2
	s_branch .LBB6_30
.LBB6_9:
                                        ; implicit-def: $vgpr2_vgpr3
	s_mov_b64 s[0:1], 0
	s_cbranch_execnz .LBB6_203
.LBB6_10:
	s_andn2_b64 vcc, exec, s[0:1]
	s_cbranch_vccnz .LBB6_250
.LBB6_11:
	s_waitcnt vmcnt(0)
	v_cmp_nge_f64_e64 s[0:1], v[2:3], -s[14:15]
	v_cmp_nge_f64_e32 vcc, s[14:15], v[2:3]
	v_mul_lo_u32 v4, v10, s12
	v_mov_b32_e32 v5, s9
	s_and_b32 s26, s33, 0xff
	v_ashrrev_i32_e32 v6, 31, v4
	s_or_b64 vcc, s[0:1], vcc
	v_cndmask_b32_e32 v1, 0, v3, vcc
	v_cndmask_b32_e32 v0, 0, v2, vcc
	v_add_co_u32_e32 v4, vcc, s8, v4
	s_cmp_lt_i32 s26, 11
	v_addc_co_u32_e32 v5, vcc, v5, v6, vcc
	s_cbranch_scc1 .LBB6_19
; %bb.12:
	s_and_b32 s27, 0xffff, s26
	s_cmp_gt_i32 s27, 25
	s_cbranch_scc0 .LBB6_23
; %bb.13:
	s_cmp_gt_i32 s27, 28
	s_cbranch_scc0 .LBB6_25
; %bb.14:
	;; [unrolled: 3-line block ×4, first 2 shown]
	s_mov_b64 s[20:21], 0
	s_mov_b64 s[0:1], -1
	s_cmp_eq_u32 s27, 46
	s_mov_b64 s[6:7], 0
	s_cbranch_scc0 .LBB6_34
; %bb.17:
	v_cvt_f32_f64_e32 v2, v[0:1]
	s_movk_i32 s0, 0x7fff
	v_mov_b32_e32 v3, 0x7fc0
	s_mov_b64 s[6:7], -1
	v_bfe_u32 v6, v2, 16, 1
	v_cmp_o_f32_e32 vcc, v2, v2
	v_add3_u32 v2, v2, v6, s0
	v_cndmask_b32_sdwa v2, v3, v2, vcc dst_sel:DWORD dst_unused:UNUSED_PAD src0_sel:DWORD src1_sel:WORD_1
	global_store_dword v[4:5], v2, off
	s_mov_b64 s[0:1], 0
	s_branch .LBB6_34
.LBB6_18:
	s_mov_b64 s[0:1], 0
                                        ; implicit-def: $vgpr2_vgpr3
	s_cbranch_execnz .LBB6_170
	s_branch .LBB6_202
.LBB6_19:
	s_mov_b64 s[0:1], 0
	s_mov_b64 s[6:7], 0
	s_cbranch_execnz .LBB6_103
.LBB6_20:
	s_andn2_b64 vcc, exec, s[6:7]
	s_cbranch_vccnz .LBB6_141
.LBB6_21:
	v_add_u32_e32 v10, 0x80, v10
	s_mov_b64 s[20:21], -1
	s_branch .LBB6_251
.LBB6_22:
	s_mov_b64 s[6:7], -1
	s_mov_b64 s[0:1], 0
                                        ; implicit-def: $vgpr2_vgpr3
	s_branch .LBB6_149
.LBB6_23:
	s_mov_b64 s[20:21], -1
	s_mov_b64 s[0:1], 0
	s_mov_b64 s[6:7], 0
	s_branch .LBB6_61
.LBB6_24:
	s_mov_b64 s[6:7], -1
	s_mov_b64 s[0:1], 0
                                        ; implicit-def: $vgpr2_vgpr3
	s_branch .LBB6_144
.LBB6_25:
	s_mov_b64 s[20:21], -1
	s_mov_b64 s[0:1], 0
	s_mov_b64 s[6:7], 0
	s_branch .LBB6_44
.LBB6_26:
	s_mov_b64 s[6:7], -1
	s_branch .LBB6_29
.LBB6_27:
	s_mov_b64 s[20:21], -1
	s_mov_b64 s[0:1], 0
	s_mov_b64 s[6:7], 0
	s_branch .LBB6_40
.LBB6_28:
	s_mov_b64 s[16:17], -1
.LBB6_29:
	s_mov_b64 s[0:1], 0
                                        ; implicit-def: $vgpr2_vgpr3
.LBB6_30:
	s_and_b64 vcc, exec, s[6:7]
	s_cbranch_vccz .LBB6_143
; %bb.31:
	s_cmp_eq_u32 s24, 44
	s_cbranch_scc0 .LBB6_142
; %bb.32:
	global_load_ubyte v4, v[0:1], off
	s_movk_i32 s6, 0xff
	v_bfrev_b32_e32 v5, 4
	v_mov_b32_e32 v6, 0x7ff80000
	v_bfrev_b32_e32 v7, 28
	s_mov_b64 s[0:1], -1
	s_mov_b64 s[16:17], 0
	s_waitcnt vmcnt(0)
	v_lshlrev_b32_e32 v2, 23, v4
	v_cvt_f64_f32_e32 v[2:3], v2
	v_cmp_ne_u32_e32 vcc, s6, v4
	v_cndmask_b32_e32 v2, v5, v2, vcc
	v_cndmask_b32_e32 v3, v6, v3, vcc
	v_cmp_ne_u32_e32 vcc, 0, v4
	v_cndmask_b32_e32 v3, v7, v3, vcc
	v_cndmask_b32_e32 v2, 0, v2, vcc
	s_branch .LBB6_143
.LBB6_33:
	s_mov_b64 s[20:21], -1
	s_mov_b64 s[0:1], 0
	s_mov_b64 s[6:7], 0
.LBB6_34:
	s_and_b64 vcc, exec, s[20:21]
	s_cbranch_vccz .LBB6_39
; %bb.35:
	s_cmp_eq_u32 s27, 44
	s_mov_b64 s[0:1], -1
	s_cbranch_scc0 .LBB6_39
; %bb.36:
	v_cvt_f32_f64_e32 v2, v[0:1]
	s_movk_i32 s0, 0xff
	v_mov_b32_e32 v6, 0xff
	v_bfe_u32 v3, v2, 23, 8
	v_cmp_ne_u32_e32 vcc, s0, v3
	s_and_saveexec_b64 s[6:7], vcc
; %bb.37:
	s_mov_b32 s0, 0x3fffff
	v_lshrrev_b32_e32 v6, 23, v2
	v_and_b32_e32 v7, 0x400000, v2
	v_and_or_b32 v2, v2, s0, v3
	v_cmp_ne_u32_e32 vcc, 0, v7
	v_cmp_ne_u32_e64 s[0:1], 0, v2
	s_and_b64 s[0:1], vcc, s[0:1]
	v_cndmask_b32_e64 v2, 0, 1, s[0:1]
	v_add_u32_e32 v6, v6, v2
; %bb.38:
	s_or_b64 exec, exec, s[6:7]
	s_mov_b64 s[6:7], -1
	s_mov_b64 s[0:1], 0
	global_store_byte v[4:5], v6, off
.LBB6_39:
	s_mov_b64 s[20:21], 0
.LBB6_40:
	s_and_b64 vcc, exec, s[20:21]
	s_cbranch_vccz .LBB6_43
; %bb.41:
	s_cmp_eq_u32 s27, 29
	s_mov_b64 s[0:1], -1
	s_cbranch_scc0 .LBB6_43
; %bb.42:
	v_trunc_f64_e32 v[2:3], v[0:1]
	s_movk_i32 s0, 0xffe0
	s_mov_b64 s[6:7], -1
	s_mov_b64 s[20:21], 0
	v_ldexp_f64 v[6:7], v[2:3], s0
	s_mov_b32 s0, 0
	s_mov_b32 s1, 0xc1f00000
	v_floor_f64_e32 v[6:7], v[6:7]
	v_fma_f64 v[2:3], v[6:7], s[0:1], v[2:3]
	v_cvt_u32_f64_e32 v7, v[6:7]
	s_mov_b64 s[0:1], 0
	v_cvt_u32_f64_e32 v6, v[2:3]
	global_store_dwordx2 v[4:5], v[6:7], off
	s_branch .LBB6_44
.LBB6_43:
	s_mov_b64 s[20:21], 0
.LBB6_44:
	s_and_b64 vcc, exec, s[20:21]
	s_cbranch_vccz .LBB6_60
; %bb.45:
	s_cmp_lt_i32 s27, 27
	s_mov_b64 s[6:7], -1
	s_cbranch_scc1 .LBB6_51
; %bb.46:
	v_cvt_u32_f64_e32 v2, v[0:1]
	s_cmp_gt_i32 s27, 27
	s_cbranch_scc0 .LBB6_48
; %bb.47:
	s_mov_b64 s[6:7], 0
	global_store_dword v[4:5], v2, off
.LBB6_48:
	s_andn2_b64 vcc, exec, s[6:7]
	s_cbranch_vccnz .LBB6_50
; %bb.49:
	global_store_short v[4:5], v2, off
.LBB6_50:
	s_mov_b64 s[6:7], 0
.LBB6_51:
	s_andn2_b64 vcc, exec, s[6:7]
	s_cbranch_vccnz .LBB6_59
; %bb.52:
	v_cvt_f32_f64_e32 v2, v[0:1]
	s_mov_b32 s6, 0x43800000
	v_mov_b32_e32 v6, 0x80
	v_and_b32_e32 v3, 0x7fffffff, v2
	v_cmp_gt_u32_e32 vcc, s6, v3
	s_and_saveexec_b64 s[6:7], vcc
	s_cbranch_execz .LBB6_58
; %bb.53:
	s_mov_b32 s20, 0x3bffffff
	v_cmp_lt_u32_e32 vcc, s20, v3
	s_mov_b64 s[20:21], 0
                                        ; implicit-def: $vgpr3
	s_and_saveexec_b64 s[24:25], vcc
	s_xor_b64 s[24:25], exec, s[24:25]
	s_cbranch_execz .LBB6_279
; %bb.54:
	v_bfe_u32 v3, v2, 20, 1
	s_mov_b32 s28, 0x487ffff
	v_add3_u32 v3, v2, v3, s28
	s_mov_b64 s[20:21], exec
	v_lshrrev_b32_e32 v3, 20, v3
	s_andn2_saveexec_b64 s[24:25], s[24:25]
	s_cbranch_execnz .LBB6_280
.LBB6_55:
	s_or_b64 exec, exec, s[24:25]
	v_mov_b32_e32 v6, 0
	s_and_saveexec_b64 s[24:25], s[20:21]
.LBB6_56:
	v_lshrrev_b32_e32 v2, 24, v2
	s_movk_i32 s20, 0x80
	v_and_or_b32 v6, v2, s20, v3
.LBB6_57:
	s_or_b64 exec, exec, s[24:25]
.LBB6_58:
	s_or_b64 exec, exec, s[6:7]
	global_store_byte v[4:5], v6, off
.LBB6_59:
	s_mov_b64 s[6:7], -1
.LBB6_60:
	s_mov_b64 s[20:21], 0
.LBB6_61:
	s_and_b64 vcc, exec, s[20:21]
	s_cbranch_vccz .LBB6_102
; %bb.62:
	s_cmp_gt_i32 s27, 22
	s_mov_b64 s[20:21], -1
	s_cbranch_scc0 .LBB6_94
; %bb.63:
	s_cmp_lt_i32 s27, 24
	s_mov_b64 s[6:7], -1
	s_cbranch_scc1 .LBB6_83
; %bb.64:
	s_cmp_gt_i32 s27, 24
	s_cbranch_scc0 .LBB6_72
; %bb.65:
	v_cvt_f32_f64_e32 v2, v[0:1]
	s_mov_b32 s6, 0x47800000
	v_mov_b32_e32 v6, 0x80
	v_and_b32_e32 v3, 0x7fffffff, v2
	v_cmp_gt_u32_e32 vcc, s6, v3
	s_and_saveexec_b64 s[6:7], vcc
	s_cbranch_execz .LBB6_71
; %bb.66:
	s_mov_b32 s20, 0x37ffffff
	v_cmp_lt_u32_e32 vcc, s20, v3
	s_mov_b64 s[20:21], 0
                                        ; implicit-def: $vgpr3
	s_and_saveexec_b64 s[24:25], vcc
	s_xor_b64 s[24:25], exec, s[24:25]
	s_cbranch_execz .LBB6_283
; %bb.67:
	v_bfe_u32 v3, v2, 21, 1
	s_mov_b32 s28, 0x88fffff
	v_add3_u32 v3, v2, v3, s28
	s_mov_b64 s[20:21], exec
	v_lshrrev_b32_e32 v3, 21, v3
	s_andn2_saveexec_b64 s[24:25], s[24:25]
	s_cbranch_execnz .LBB6_284
.LBB6_68:
	s_or_b64 exec, exec, s[24:25]
	v_mov_b32_e32 v6, 0
	s_and_saveexec_b64 s[24:25], s[20:21]
.LBB6_69:
	v_lshrrev_b32_e32 v2, 24, v2
	s_movk_i32 s20, 0x80
	v_and_or_b32 v6, v2, s20, v3
.LBB6_70:
	s_or_b64 exec, exec, s[24:25]
.LBB6_71:
	s_or_b64 exec, exec, s[6:7]
	s_mov_b64 s[6:7], 0
	global_store_byte v[4:5], v6, off
.LBB6_72:
	s_and_b64 vcc, exec, s[6:7]
	s_cbranch_vccz .LBB6_82
; %bb.73:
	v_cvt_f32_f64_e32 v2, v[0:1]
	s_mov_b32 s6, 0x43f00000
                                        ; implicit-def: $vgpr3
	v_and_b32_e32 v6, 0x7fffffff, v2
	v_cmp_gt_u32_e32 vcc, s6, v6
	s_and_saveexec_b64 s[6:7], vcc
	s_xor_b64 s[6:7], exec, s[6:7]
	s_cbranch_execz .LBB6_79
; %bb.74:
	s_mov_b32 s20, 0x3c7fffff
	v_cmp_lt_u32_e32 vcc, s20, v6
                                        ; implicit-def: $vgpr3
	s_and_saveexec_b64 s[20:21], vcc
	s_xor_b64 s[20:21], exec, s[20:21]
; %bb.75:
	v_bfe_u32 v3, v2, 20, 1
	s_mov_b32 s24, 0x407ffff
	v_add3_u32 v3, v2, v3, s24
	v_lshrrev_b32_e32 v6, 20, v3
	v_and_b32_e32 v3, 0xff00000, v3
	s_mov_b32 s24, 0x7f00000
	v_mov_b32_e32 v7, 0x7e
	v_cmp_ne_u32_e32 vcc, s24, v3
	v_cndmask_b32_e32 v3, v7, v6, vcc
; %bb.76:
	s_andn2_saveexec_b64 s[20:21], s[20:21]
; %bb.77:
	s_mov_b32 s24, 0x46800000
	v_add_f32_e64 v3, |v2|, s24
; %bb.78:
	s_or_b64 exec, exec, s[20:21]
                                        ; implicit-def: $vgpr6
.LBB6_79:
	s_andn2_saveexec_b64 s[6:7], s[6:7]
; %bb.80:
	s_mov_b32 s20, 0x7f800000
	v_mov_b32_e32 v3, 0x7e
	v_mov_b32_e32 v7, 0x7f
	v_cmp_lt_u32_e32 vcc, s20, v6
	v_cndmask_b32_e32 v3, v3, v7, vcc
; %bb.81:
	s_or_b64 exec, exec, s[6:7]
	v_lshrrev_b32_e32 v2, 24, v2
	s_movk_i32 s6, 0x80
	v_and_or_b32 v2, v2, s6, v3
	global_store_byte v[4:5], v2, off
.LBB6_82:
	s_mov_b64 s[6:7], 0
.LBB6_83:
	s_andn2_b64 vcc, exec, s[6:7]
	s_cbranch_vccnz .LBB6_93
; %bb.84:
	v_cvt_f32_f64_e32 v2, v[0:1]
	s_mov_b32 s6, 0x47800000
                                        ; implicit-def: $vgpr3
	v_and_b32_e32 v6, 0x7fffffff, v2
	v_cmp_gt_u32_e32 vcc, s6, v6
	s_and_saveexec_b64 s[6:7], vcc
	s_xor_b64 s[6:7], exec, s[6:7]
	s_cbranch_execz .LBB6_90
; %bb.85:
	s_mov_b32 s20, 0x387fffff
	v_cmp_lt_u32_e32 vcc, s20, v6
                                        ; implicit-def: $vgpr3
	s_and_saveexec_b64 s[20:21], vcc
	s_xor_b64 s[20:21], exec, s[20:21]
; %bb.86:
	v_bfe_u32 v3, v2, 21, 1
	s_mov_b32 s24, 0x80fffff
	v_add3_u32 v3, v2, v3, s24
	v_lshrrev_b32_e32 v3, 21, v3
; %bb.87:
	s_andn2_saveexec_b64 s[20:21], s[20:21]
; %bb.88:
	s_mov_b32 s24, 0x43000000
	v_add_f32_e64 v3, |v2|, s24
; %bb.89:
	s_or_b64 exec, exec, s[20:21]
                                        ; implicit-def: $vgpr6
.LBB6_90:
	s_andn2_saveexec_b64 s[6:7], s[6:7]
; %bb.91:
	s_mov_b32 s20, 0x7f800000
	v_mov_b32_e32 v3, 0x7c
	v_mov_b32_e32 v7, 0x7f
	v_cmp_lt_u32_e32 vcc, s20, v6
	v_cndmask_b32_e32 v3, v3, v7, vcc
; %bb.92:
	s_or_b64 exec, exec, s[6:7]
	v_lshrrev_b32_e32 v2, 24, v2
	s_movk_i32 s6, 0x80
	v_and_or_b32 v2, v2, s6, v3
	global_store_byte v[4:5], v2, off
.LBB6_93:
	s_mov_b64 s[20:21], 0
	s_mov_b64 s[6:7], -1
.LBB6_94:
	s_andn2_b64 vcc, exec, s[20:21]
	s_cbranch_vccnz .LBB6_102
; %bb.95:
	s_cmp_gt_i32 s27, 14
	s_mov_b64 s[20:21], -1
	s_cbranch_scc0 .LBB6_99
; %bb.96:
	s_cmp_eq_u32 s27, 15
	s_mov_b64 s[0:1], -1
	s_cbranch_scc0 .LBB6_98
; %bb.97:
	v_cvt_f32_f64_e32 v2, v[0:1]
	s_movk_i32 s0, 0x7fff
	v_mov_b32_e32 v3, 0x7fc0
	s_mov_b64 s[6:7], -1
	v_bfe_u32 v6, v2, 16, 1
	v_cmp_o_f32_e32 vcc, v2, v2
	v_add3_u32 v2, v2, v6, s0
	v_cndmask_b32_sdwa v2, v3, v2, vcc dst_sel:DWORD dst_unused:UNUSED_PAD src0_sel:DWORD src1_sel:WORD_1
	global_store_short v[4:5], v2, off
	s_mov_b64 s[0:1], 0
.LBB6_98:
	s_mov_b64 s[20:21], 0
.LBB6_99:
	s_and_b64 vcc, exec, s[20:21]
	s_cbranch_vccz .LBB6_102
; %bb.100:
	s_cmp_eq_u32 s27, 11
	s_mov_b64 s[0:1], -1
	s_cbranch_scc0 .LBB6_102
; %bb.101:
	v_cmp_neq_f64_e32 vcc, 0, v[0:1]
	s_mov_b64 s[0:1], 0
	s_mov_b64 s[6:7], -1
	v_cndmask_b32_e64 v2, 0, 1, vcc
	global_store_byte v[4:5], v2, off
.LBB6_102:
	s_branch .LBB6_20
.LBB6_103:
	s_and_b32 s20, 0xffff, s26
	s_cmp_lt_i32 s20, 5
	s_mov_b64 s[6:7], -1
	s_cbranch_scc1 .LBB6_124
; %bb.104:
	s_cmp_lt_i32 s20, 8
	s_cbranch_scc1 .LBB6_114
; %bb.105:
	s_cmp_lt_i32 s20, 9
	s_cbranch_scc1 .LBB6_111
; %bb.106:
	s_cmp_gt_i32 s20, 9
	s_cbranch_scc0 .LBB6_108
; %bb.107:
	v_mov_b32_e32 v2, 0
	v_mov_b32_e32 v3, v2
	global_store_dwordx4 v[4:5], v[0:3], off
	s_mov_b64 s[6:7], 0
.LBB6_108:
	s_andn2_b64 vcc, exec, s[6:7]
	s_cbranch_vccnz .LBB6_110
; %bb.109:
	v_cvt_f32_f64_e32 v2, v[0:1]
	v_mov_b32_e32 v3, 0
	global_store_dwordx2 v[4:5], v[2:3], off
.LBB6_110:
	s_mov_b64 s[6:7], 0
.LBB6_111:
	s_andn2_b64 vcc, exec, s[6:7]
	s_cbranch_vccnz .LBB6_113
; %bb.112:
	s_movk_i32 s6, 0x1ff
	v_and_or_b32 v2, v1, s6, v0
	v_cmp_ne_u32_e32 vcc, 0, v2
	v_cndmask_b32_e64 v2, 0, 1, vcc
	v_lshrrev_b32_e32 v3, 8, v1
	s_movk_i32 s6, 0xffe
	v_bfe_u32 v6, v1, 20, 11
	v_and_or_b32 v2, v3, s6, v2
	v_sub_u32_e32 v7, 0x3f1, v6
	v_or_b32_e32 v3, 0x1000, v2
	v_med3_i32 v7, v7, 0, 13
	v_lshrrev_b32_e32 v8, v7, v3
	v_lshlrev_b32_e32 v7, v7, v8
	v_cmp_ne_u32_e32 vcc, v7, v3
	v_cndmask_b32_e64 v3, 0, 1, vcc
	v_add_u32_e32 v6, 0xfffffc10, v6
	v_or_b32_e32 v3, v8, v3
	v_lshl_or_b32 v7, v6, 12, v2
	v_cmp_gt_i32_e32 vcc, 1, v6
	v_cndmask_b32_e32 v3, v7, v3, vcc
	v_and_b32_e32 v7, 7, v3
	v_cmp_lt_i32_e32 vcc, 5, v7
	v_cndmask_b32_e64 v8, 0, 1, vcc
	v_cmp_eq_u32_e32 vcc, 3, v7
	v_cndmask_b32_e64 v7, 0, 1, vcc
	v_or_b32_e32 v7, v7, v8
	v_lshrrev_b32_e32 v3, 2, v3
	v_add_u32_e32 v3, v3, v7
	v_mov_b32_e32 v7, 0x7c00
	v_cmp_gt_i32_e32 vcc, 31, v6
	v_cndmask_b32_e32 v3, v7, v3, vcc
	v_mov_b32_e32 v8, 0x7e00
	v_cmp_ne_u32_e32 vcc, 0, v2
	s_movk_i32 s6, 0x40f
	v_cndmask_b32_e32 v2, v7, v8, vcc
	v_cmp_eq_u32_e32 vcc, s6, v6
	v_cndmask_b32_e32 v2, v3, v2, vcc
	v_lshrrev_b32_e32 v3, 16, v1
	s_mov_b32 s6, 0x8000
	v_and_or_b32 v2, v3, s6, v2
	v_and_b32_e32 v2, 0xffff, v2
	global_store_dword v[4:5], v2, off
.LBB6_113:
	s_mov_b64 s[6:7], 0
.LBB6_114:
	s_andn2_b64 vcc, exec, s[6:7]
	s_cbranch_vccnz .LBB6_123
; %bb.115:
	s_cmp_lt_i32 s20, 6
	s_mov_b64 s[6:7], -1
	s_cbranch_scc1 .LBB6_121
; %bb.116:
	s_cmp_gt_i32 s20, 6
	s_cbranch_scc0 .LBB6_118
; %bb.117:
	global_store_dwordx2 v[4:5], v[0:1], off
	s_mov_b64 s[6:7], 0
.LBB6_118:
	s_andn2_b64 vcc, exec, s[6:7]
	s_cbranch_vccnz .LBB6_120
; %bb.119:
	v_cvt_f32_f64_e32 v2, v[0:1]
	global_store_dword v[4:5], v2, off
.LBB6_120:
	s_mov_b64 s[6:7], 0
.LBB6_121:
	s_andn2_b64 vcc, exec, s[6:7]
	s_cbranch_vccnz .LBB6_123
; %bb.122:
	s_movk_i32 s6, 0x1ff
	v_and_or_b32 v2, v1, s6, v0
	v_cmp_ne_u32_e32 vcc, 0, v2
	v_cndmask_b32_e64 v2, 0, 1, vcc
	v_lshrrev_b32_e32 v3, 8, v1
	s_movk_i32 s6, 0xffe
	v_bfe_u32 v6, v1, 20, 11
	v_and_or_b32 v2, v3, s6, v2
	v_sub_u32_e32 v7, 0x3f1, v6
	v_or_b32_e32 v3, 0x1000, v2
	v_med3_i32 v7, v7, 0, 13
	v_lshrrev_b32_e32 v8, v7, v3
	v_lshlrev_b32_e32 v7, v7, v8
	v_cmp_ne_u32_e32 vcc, v7, v3
	v_cndmask_b32_e64 v3, 0, 1, vcc
	v_add_u32_e32 v6, 0xfffffc10, v6
	v_or_b32_e32 v3, v8, v3
	v_lshl_or_b32 v7, v6, 12, v2
	v_cmp_gt_i32_e32 vcc, 1, v6
	v_cndmask_b32_e32 v3, v7, v3, vcc
	v_and_b32_e32 v7, 7, v3
	v_cmp_lt_i32_e32 vcc, 5, v7
	v_cndmask_b32_e64 v8, 0, 1, vcc
	v_cmp_eq_u32_e32 vcc, 3, v7
	v_cndmask_b32_e64 v7, 0, 1, vcc
	v_or_b32_e32 v7, v7, v8
	v_lshrrev_b32_e32 v3, 2, v3
	v_add_u32_e32 v3, v3, v7
	v_mov_b32_e32 v7, 0x7c00
	v_cmp_gt_i32_e32 vcc, 31, v6
	v_cndmask_b32_e32 v3, v7, v3, vcc
	v_mov_b32_e32 v8, 0x7e00
	v_cmp_ne_u32_e32 vcc, 0, v2
	s_movk_i32 s6, 0x40f
	v_cndmask_b32_e32 v2, v7, v8, vcc
	v_cmp_eq_u32_e32 vcc, s6, v6
	v_cndmask_b32_e32 v2, v3, v2, vcc
	v_lshrrev_b32_e32 v3, 16, v1
	s_mov_b32 s6, 0x8000
	v_and_or_b32 v2, v3, s6, v2
	global_store_short v[4:5], v2, off
.LBB6_123:
	s_mov_b64 s[6:7], 0
.LBB6_124:
	s_andn2_b64 vcc, exec, s[6:7]
	s_cbranch_vccnz .LBB6_140
; %bb.125:
	s_cmp_lt_i32 s20, 2
	s_mov_b64 s[6:7], -1
	s_cbranch_scc1 .LBB6_135
; %bb.126:
	s_cmp_lt_i32 s20, 3
	s_cbranch_scc1 .LBB6_132
; %bb.127:
	s_cmp_gt_i32 s20, 3
	s_cbranch_scc0 .LBB6_129
; %bb.128:
	v_trunc_f64_e32 v[2:3], v[0:1]
	s_movk_i32 s6, 0xffe0
	v_ldexp_f64 v[6:7], v[2:3], s6
	s_mov_b32 s6, 0
	s_mov_b32 s7, 0xc1f00000
	v_floor_f64_e32 v[6:7], v[6:7]
	v_fma_f64 v[2:3], v[6:7], s[6:7], v[2:3]
	v_cvt_i32_f64_e32 v7, v[6:7]
	s_mov_b64 s[6:7], 0
	v_cvt_u32_f64_e32 v6, v[2:3]
	global_store_dwordx2 v[4:5], v[6:7], off
.LBB6_129:
	s_andn2_b64 vcc, exec, s[6:7]
	s_cbranch_vccnz .LBB6_131
; %bb.130:
	v_cvt_i32_f64_e32 v2, v[0:1]
	global_store_dword v[4:5], v2, off
.LBB6_131:
	s_mov_b64 s[6:7], 0
.LBB6_132:
	s_andn2_b64 vcc, exec, s[6:7]
	s_cbranch_vccnz .LBB6_134
; %bb.133:
	v_cvt_i32_f64_e32 v2, v[0:1]
	global_store_short v[4:5], v2, off
.LBB6_134:
	s_mov_b64 s[6:7], 0
.LBB6_135:
	s_andn2_b64 vcc, exec, s[6:7]
	s_cbranch_vccnz .LBB6_140
; %bb.136:
	s_cmp_gt_i32 s20, 0
	s_mov_b64 s[6:7], -1
	s_cbranch_scc0 .LBB6_138
; %bb.137:
	v_cvt_i32_f64_e32 v2, v[0:1]
	s_mov_b64 s[6:7], 0
	global_store_byte v[4:5], v2, off
.LBB6_138:
	s_andn2_b64 vcc, exec, s[6:7]
	s_cbranch_vccnz .LBB6_140
; %bb.139:
	v_trunc_f64_e32 v[0:1], v[0:1]
	s_movk_i32 s6, 0xffe0
	v_ldexp_f64 v[2:3], v[0:1], s6
	s_mov_b32 s6, 0
	s_mov_b32 s7, 0xc1f00000
	v_floor_f64_e32 v[2:3], v[2:3]
	v_fma_f64 v[0:1], v[2:3], s[6:7], v[0:1]
	v_cvt_u32_f64_e32 v0, v[0:1]
	global_store_byte v[4:5], v0, off
.LBB6_140:
	s_branch .LBB6_21
.LBB6_141:
	s_mov_b64 s[20:21], 0
                                        ; implicit-def: $vgpr10
	s_branch .LBB6_251
.LBB6_142:
	s_mov_b64 s[16:17], -1
                                        ; implicit-def: $vgpr2_vgpr3
.LBB6_143:
	s_mov_b64 s[6:7], 0
.LBB6_144:
	s_and_b64 vcc, exec, s[6:7]
	s_cbranch_vccz .LBB6_148
; %bb.145:
	s_cmp_eq_u32 s24, 29
	s_cbranch_scc0 .LBB6_147
; %bb.146:
	global_load_dwordx2 v[2:3], v[0:1], off
	s_mov_b64 s[0:1], -1
	s_mov_b64 s[16:17], 0
	s_mov_b64 s[6:7], 0
	s_waitcnt vmcnt(0)
	v_cvt_f64_u32_e32 v[3:4], v3
	v_cvt_f64_u32_e32 v[5:6], v2
	v_ldexp_f64 v[3:4], v[3:4], 32
	v_add_f64 v[2:3], v[3:4], v[5:6]
	s_branch .LBB6_149
.LBB6_147:
	s_mov_b64 s[16:17], -1
                                        ; implicit-def: $vgpr2_vgpr3
.LBB6_148:
	s_mov_b64 s[6:7], 0
.LBB6_149:
	s_and_b64 vcc, exec, s[6:7]
	s_cbranch_vccz .LBB6_169
; %bb.150:
	s_cmp_lt_i32 s24, 27
	s_cbranch_scc1 .LBB6_153
; %bb.151:
	s_cmp_gt_i32 s24, 27
	s_cbranch_scc0 .LBB6_154
; %bb.152:
	global_load_dword v2, v[0:1], off
	s_mov_b64 s[0:1], 0
	s_waitcnt vmcnt(0)
	v_cvt_f64_u32_e32 v[2:3], v2
	s_branch .LBB6_155
.LBB6_153:
	s_mov_b64 s[0:1], -1
                                        ; implicit-def: $vgpr2_vgpr3
	s_branch .LBB6_158
.LBB6_154:
	s_mov_b64 s[0:1], -1
                                        ; implicit-def: $vgpr2_vgpr3
.LBB6_155:
	s_andn2_b64 vcc, exec, s[0:1]
	s_cbranch_vccnz .LBB6_157
; %bb.156:
	global_load_ushort v2, v[0:1], off
	s_waitcnt vmcnt(0)
	v_cvt_f64_u32_e32 v[2:3], v2
.LBB6_157:
	s_mov_b64 s[0:1], 0
.LBB6_158:
	s_andn2_b64 vcc, exec, s[0:1]
	s_cbranch_vccnz .LBB6_168
; %bb.159:
	global_load_ubyte v4, v[0:1], off
	s_movk_i32 s0, 0x7f
	s_waitcnt vmcnt(0)
	v_cmp_lt_i16_e32 vcc, s0, v4
	s_mov_b64 s[0:1], 0
	s_and_saveexec_b64 s[6:7], vcc
	s_xor_b64 s[6:7], exec, s[6:7]
	s_cbranch_execz .LBB6_163
; %bb.160:
	s_movk_i32 s0, 0x80
	v_cmp_eq_u16_e32 vcc, s0, v4
	s_mov_b64 s[0:1], -1
	s_and_saveexec_b64 s[20:21], vcc
; %bb.161:
	s_xor_b64 s[0:1], exec, -1
; %bb.162:
	s_or_b64 exec, exec, s[20:21]
	s_and_b64 s[0:1], s[0:1], exec
.LBB6_163:
	s_or_saveexec_b64 s[6:7], s[6:7]
	v_bfrev_b32_e32 v2, 4
	v_mov_b32_e32 v3, 0x7ff80000
	s_xor_b64 exec, exec, s[6:7]
; %bb.164:
	v_cmp_ne_u16_e32 vcc, 0, v4
	v_mov_b32_e32 v2, 0
	s_andn2_b64 s[0:1], s[0:1], exec
	s_and_b64 s[20:21], vcc, exec
	v_mov_b32_e32 v3, 0
	s_or_b64 s[0:1], s[0:1], s[20:21]
; %bb.165:
	s_or_b64 exec, exec, s[6:7]
	s_and_saveexec_b64 s[6:7], s[0:1]
	s_cbranch_execz .LBB6_167
; %bb.166:
	v_and_b32_e32 v3, 0xffff, v4
	v_lshlrev_b32_e32 v2, 24, v4
	v_and_b32_e32 v4, 7, v3
	v_ffbh_u32_e32 v6, v4
	v_min_u32_e32 v6, 32, v6
	v_subrev_u32_e32 v7, 28, v6
	v_bfe_u32 v5, v3, 3, 4
	v_lshlrev_b32_e32 v3, v7, v3
	v_sub_u32_e32 v6, 29, v6
	v_and_b32_e32 v3, 7, v3
	v_cmp_eq_u32_e32 vcc, 0, v5
	v_cndmask_b32_e32 v5, v5, v6, vcc
	v_cndmask_b32_e32 v3, v4, v3, vcc
	v_mov_b32_e32 v4, 0x3b800000
	v_lshlrev_b32_e32 v3, 20, v3
	v_and_b32_e32 v2, 0x80000000, v2
	v_lshl_add_u32 v4, v5, 23, v4
	v_or3_b32 v2, v2, v4, v3
	v_cvt_f64_f32_e32 v[2:3], v2
.LBB6_167:
	s_or_b64 exec, exec, s[6:7]
.LBB6_168:
	s_mov_b64 s[0:1], -1
.LBB6_169:
	s_branch .LBB6_202
.LBB6_170:
	s_cmp_gt_i32 s24, 22
	s_cbranch_scc0 .LBB6_182
; %bb.171:
	s_cmp_lt_i32 s24, 24
	s_cbranch_scc1 .LBB6_183
; %bb.172:
	s_cmp_gt_i32 s24, 24
	s_cbranch_scc0 .LBB6_184
; %bb.173:
	global_load_ubyte v4, v[0:1], off
	s_movk_i32 s0, 0x7f
	s_waitcnt vmcnt(0)
	v_cmp_lt_i16_e32 vcc, s0, v4
	s_mov_b64 s[0:1], 0
	s_and_saveexec_b64 s[6:7], vcc
	s_xor_b64 s[6:7], exec, s[6:7]
	s_cbranch_execz .LBB6_177
; %bb.174:
	s_movk_i32 s0, 0x80
	v_cmp_eq_u16_e32 vcc, s0, v4
	s_mov_b64 s[0:1], -1
	s_and_saveexec_b64 s[20:21], vcc
; %bb.175:
	s_xor_b64 s[0:1], exec, -1
; %bb.176:
	s_or_b64 exec, exec, s[20:21]
	s_and_b64 s[0:1], s[0:1], exec
.LBB6_177:
	s_or_saveexec_b64 s[6:7], s[6:7]
	v_bfrev_b32_e32 v2, 4
	v_mov_b32_e32 v3, 0x7ff80000
	s_xor_b64 exec, exec, s[6:7]
; %bb.178:
	v_cmp_ne_u16_e32 vcc, 0, v4
	v_mov_b32_e32 v2, 0
	s_andn2_b64 s[0:1], s[0:1], exec
	s_and_b64 s[20:21], vcc, exec
	v_mov_b32_e32 v3, 0
	s_or_b64 s[0:1], s[0:1], s[20:21]
; %bb.179:
	s_or_b64 exec, exec, s[6:7]
	s_and_saveexec_b64 s[6:7], s[0:1]
	s_cbranch_execz .LBB6_181
; %bb.180:
	v_and_b32_e32 v3, 0xffff, v4
	v_lshlrev_b32_e32 v2, 24, v4
	v_and_b32_e32 v4, 3, v3
	v_ffbh_u32_e32 v6, v4
	v_min_u32_e32 v6, 32, v6
	v_subrev_u32_e32 v7, 29, v6
	v_bfe_u32 v5, v3, 2, 5
	v_lshlrev_b32_e32 v3, v7, v3
	v_sub_u32_e32 v6, 30, v6
	v_and_b32_e32 v3, 3, v3
	v_cmp_eq_u32_e32 vcc, 0, v5
	v_cndmask_b32_e32 v5, v5, v6, vcc
	v_cndmask_b32_e32 v3, v4, v3, vcc
	v_mov_b32_e32 v4, 0x37800000
	v_lshlrev_b32_e32 v3, 21, v3
	v_and_b32_e32 v2, 0x80000000, v2
	v_lshl_add_u32 v4, v5, 23, v4
	v_or3_b32 v2, v2, v4, v3
	v_cvt_f64_f32_e32 v[2:3], v2
.LBB6_181:
	s_or_b64 exec, exec, s[6:7]
	s_mov_b64 s[0:1], 0
	s_branch .LBB6_185
.LBB6_182:
	s_mov_b64 s[6:7], -1
                                        ; implicit-def: $vgpr2_vgpr3
	s_branch .LBB6_191
.LBB6_183:
	s_mov_b64 s[0:1], -1
                                        ; implicit-def: $vgpr2_vgpr3
	s_branch .LBB6_188
.LBB6_184:
	s_mov_b64 s[0:1], -1
                                        ; implicit-def: $vgpr2_vgpr3
.LBB6_185:
	s_and_b64 vcc, exec, s[0:1]
	s_cbranch_vccz .LBB6_187
; %bb.186:
	global_load_ubyte v2, v[0:1], off
	s_mov_b32 s0, 0x7f800000
	s_waitcnt vmcnt(0)
	v_lshlrev_b32_e32 v2, 24, v2
	v_and_b32_e32 v3, 0x7f000000, v2
	v_ffbh_u32_e32 v4, v3
	v_min_u32_e32 v4, 32, v4
	v_sub_u32_e64 v4, v4, 4 clamp
	v_lshlrev_b32_e32 v6, v4, v3
	v_lshlrev_b32_e32 v4, 23, v4
	v_lshrrev_b32_e32 v6, 4, v6
	v_add_u32_e32 v5, 0x1000000, v3
	v_sub_u32_e32 v4, v6, v4
	v_ashrrev_i32_e32 v5, 8, v5
	v_add_u32_e32 v4, 0x3c000000, v4
	v_and_or_b32 v4, v5, s0, v4
	v_cmp_ne_u32_e32 vcc, 0, v3
	v_cndmask_b32_e32 v3, 0, v4, vcc
	s_brev_b32 s0, 1
	v_and_or_b32 v2, v2, s0, v3
	v_cvt_f64_f32_e32 v[2:3], v2
.LBB6_187:
	s_mov_b64 s[0:1], 0
.LBB6_188:
	s_andn2_b64 vcc, exec, s[0:1]
	s_cbranch_vccnz .LBB6_190
; %bb.189:
	global_load_ubyte v2, v[0:1], off
	s_movk_i32 s0, 0x7f00
	s_brev_b32 s1, 16
	s_waitcnt vmcnt(0)
	v_lshlrev_b16_e32 v3, 8, v2
	v_lshlrev_b32_e32 v2, 25, v2
	v_lshrrev_b32_e32 v4, 4, v2
	v_and_or_b32 v5, v3, s0, 0.5
	v_or_b32_e32 v4, 0x70000000, v4
	v_add_f32_e32 v5, -0.5, v5
	v_mul_f32_e32 v4, 0x7800000, v4
	v_cmp_gt_u32_e32 vcc, s1, v2
	v_bfe_i32 v3, v3, 0, 16
	v_cndmask_b32_e32 v2, v4, v5, vcc
	s_brev_b32 s0, 1
	v_and_or_b32 v2, v3, s0, v2
	v_cvt_f64_f32_e32 v[2:3], v2
.LBB6_190:
	s_mov_b64 s[6:7], 0
	s_mov_b64 s[0:1], -1
.LBB6_191:
	s_andn2_b64 vcc, exec, s[6:7]
	s_cbranch_vccnz .LBB6_202
; %bb.192:
	s_cmp_gt_i32 s24, 14
	s_cbranch_scc0 .LBB6_195
; %bb.193:
	s_cmp_eq_u32 s24, 15
	s_cbranch_scc0 .LBB6_196
; %bb.194:
	global_load_ushort v2, v[0:1], off
	s_mov_b64 s[0:1], -1
	s_mov_b64 s[16:17], 0
	s_waitcnt vmcnt(0)
	v_lshlrev_b32_e32 v2, 16, v2
	v_cvt_f64_f32_e32 v[2:3], v2
	s_branch .LBB6_197
.LBB6_195:
	s_mov_b64 s[6:7], -1
                                        ; implicit-def: $vgpr2_vgpr3
	s_branch .LBB6_198
.LBB6_196:
	s_mov_b64 s[16:17], -1
                                        ; implicit-def: $vgpr2_vgpr3
.LBB6_197:
	s_mov_b64 s[6:7], 0
.LBB6_198:
	s_and_b64 vcc, exec, s[6:7]
	s_cbranch_vccz .LBB6_202
; %bb.199:
	s_cmp_eq_u32 s24, 11
	s_cbranch_scc0 .LBB6_201
; %bb.200:
	global_load_ubyte v3, v[0:1], off
	v_mov_b32_e32 v4, 0x3ff00000
	v_mov_b32_e32 v2, 0
	s_mov_b64 s[0:1], -1
	s_mov_b64 s[16:17], 0
	s_waitcnt vmcnt(0)
	v_cmp_ne_u16_e32 vcc, 0, v3
	v_cndmask_b32_e32 v3, 0, v4, vcc
	s_branch .LBB6_202
.LBB6_201:
	s_mov_b64 s[16:17], -1
                                        ; implicit-def: $vgpr2_vgpr3
.LBB6_202:
	s_branch .LBB6_10
.LBB6_203:
	s_cmp_lt_i32 s24, 5
	s_cbranch_scc1 .LBB6_208
; %bb.204:
	s_cmp_lt_i32 s24, 8
	s_cbranch_scc1 .LBB6_209
; %bb.205:
	;; [unrolled: 3-line block ×3, first 2 shown]
	s_cmp_gt_i32 s24, 9
	s_cbranch_scc0 .LBB6_211
; %bb.207:
	global_load_dwordx2 v[2:3], v[0:1], off
	s_mov_b64 s[0:1], 0
	s_branch .LBB6_212
.LBB6_208:
                                        ; implicit-def: $vgpr2_vgpr3
	s_branch .LBB6_230
.LBB6_209:
	s_mov_b64 s[0:1], -1
                                        ; implicit-def: $vgpr2_vgpr3
	s_branch .LBB6_218
.LBB6_210:
	s_mov_b64 s[0:1], -1
                                        ; implicit-def: $vgpr2_vgpr3
	s_branch .LBB6_215
.LBB6_211:
	s_mov_b64 s[0:1], -1
                                        ; implicit-def: $vgpr2_vgpr3
.LBB6_212:
	s_andn2_b64 vcc, exec, s[0:1]
	s_cbranch_vccnz .LBB6_214
; %bb.213:
	global_load_dword v2, v[0:1], off
	s_waitcnt vmcnt(0)
	v_cvt_f64_f32_e32 v[2:3], v2
.LBB6_214:
	s_mov_b64 s[0:1], 0
.LBB6_215:
	s_andn2_b64 vcc, exec, s[0:1]
	s_cbranch_vccnz .LBB6_217
; %bb.216:
	global_load_dword v2, v[0:1], off
	s_waitcnt vmcnt(0)
	v_cvt_f32_f16_e32 v2, v2
	v_cvt_f64_f32_e32 v[2:3], v2
.LBB6_217:
	s_mov_b64 s[0:1], 0
.LBB6_218:
	s_andn2_b64 vcc, exec, s[0:1]
	s_cbranch_vccnz .LBB6_229
; %bb.219:
	s_cmp_lt_i32 s24, 6
	s_cbranch_scc1 .LBB6_222
; %bb.220:
	s_cmp_gt_i32 s24, 6
	s_cbranch_scc0 .LBB6_223
; %bb.221:
	global_load_dwordx2 v[2:3], v[0:1], off
	s_mov_b64 s[0:1], 0
	s_branch .LBB6_224
.LBB6_222:
	s_mov_b64 s[0:1], -1
                                        ; implicit-def: $vgpr2_vgpr3
	s_branch .LBB6_227
.LBB6_223:
	s_mov_b64 s[0:1], -1
                                        ; implicit-def: $vgpr2_vgpr3
.LBB6_224:
	s_andn2_b64 vcc, exec, s[0:1]
	s_cbranch_vccnz .LBB6_226
; %bb.225:
	global_load_dword v2, v[0:1], off
	s_waitcnt vmcnt(0)
	v_cvt_f64_f32_e32 v[2:3], v2
.LBB6_226:
	s_mov_b64 s[0:1], 0
.LBB6_227:
	s_andn2_b64 vcc, exec, s[0:1]
	s_cbranch_vccnz .LBB6_229
; %bb.228:
	global_load_ushort v2, v[0:1], off
	s_waitcnt vmcnt(0)
	v_cvt_f32_f16_e32 v2, v2
	v_cvt_f64_f32_e32 v[2:3], v2
.LBB6_229:
	s_cbranch_execnz .LBB6_249
.LBB6_230:
	s_cmp_lt_i32 s24, 2
	s_cbranch_scc1 .LBB6_234
; %bb.231:
	s_cmp_lt_i32 s24, 3
	s_cbranch_scc1 .LBB6_235
; %bb.232:
	s_cmp_gt_i32 s24, 3
	s_cbranch_scc0 .LBB6_236
; %bb.233:
	global_load_dwordx2 v[2:3], v[0:1], off
	s_mov_b64 s[0:1], 0
	s_waitcnt vmcnt(0)
	v_cvt_f64_i32_e32 v[3:4], v3
	v_cvt_f64_u32_e32 v[5:6], v2
	v_ldexp_f64 v[3:4], v[3:4], 32
	v_add_f64 v[2:3], v[3:4], v[5:6]
	s_branch .LBB6_237
.LBB6_234:
	s_mov_b64 s[0:1], -1
                                        ; implicit-def: $vgpr2_vgpr3
	s_branch .LBB6_243
.LBB6_235:
	s_mov_b64 s[0:1], -1
                                        ; implicit-def: $vgpr2_vgpr3
	s_branch .LBB6_240
.LBB6_236:
	s_mov_b64 s[0:1], -1
                                        ; implicit-def: $vgpr2_vgpr3
.LBB6_237:
	s_andn2_b64 vcc, exec, s[0:1]
	s_cbranch_vccnz .LBB6_239
; %bb.238:
	global_load_dword v2, v[0:1], off
	s_waitcnt vmcnt(0)
	v_cvt_f64_i32_e32 v[2:3], v2
.LBB6_239:
	s_mov_b64 s[0:1], 0
.LBB6_240:
	s_andn2_b64 vcc, exec, s[0:1]
	s_cbranch_vccnz .LBB6_242
; %bb.241:
	global_load_sshort v2, v[0:1], off
	s_waitcnt vmcnt(0)
	v_cvt_f64_i32_e32 v[2:3], v2
.LBB6_242:
	s_mov_b64 s[0:1], 0
.LBB6_243:
	s_andn2_b64 vcc, exec, s[0:1]
	s_cbranch_vccnz .LBB6_249
; %bb.244:
	s_cmp_gt_i32 s24, 0
	s_cbranch_scc0 .LBB6_246
; %bb.245:
	global_load_sbyte v2, v[0:1], off
	s_mov_b64 s[0:1], 0
	s_waitcnt vmcnt(0)
	v_cvt_f64_i32_e32 v[2:3], v2
	s_branch .LBB6_247
.LBB6_246:
	s_mov_b64 s[0:1], -1
                                        ; implicit-def: $vgpr2_vgpr3
.LBB6_247:
	s_andn2_b64 vcc, exec, s[0:1]
	s_cbranch_vccnz .LBB6_249
; %bb.248:
	global_load_ubyte v0, v[0:1], off
	s_waitcnt vmcnt(0)
	v_cvt_f64_u32_e32 v[2:3], v0
.LBB6_249:
	s_branch .LBB6_11
.LBB6_250:
	s_mov_b64 s[0:1], 0
                                        ; implicit-def: $vgpr10
	s_mov_b64 s[20:21], 0
.LBB6_251:
	s_and_b64 s[6:7], s[0:1], exec
	s_and_b64 s[16:17], s[16:17], exec
	s_orn2_b64 s[20:21], s[20:21], exec
.LBB6_252:
	s_or_b64 exec, exec, s[18:19]
	s_mov_b64 s[24:25], 0
	s_mov_b64 s[0:1], 0
                                        ; implicit-def: $vgpr0_vgpr1
                                        ; implicit-def: $vgpr2_vgpr3
	s_and_saveexec_b64 s[18:19], s[20:21]
	s_cbranch_execz .LBB6_261
; %bb.253:
	v_cmp_gt_i32_e32 vcc, s40, v10
	s_mov_b64 s[0:1], -1
	s_mov_b64 s[20:21], s[16:17]
	s_mov_b64 s[22:23], s[6:7]
	s_and_saveexec_b64 s[24:25], vcc
	s_cbranch_execz .LBB6_513
; %bb.254:
	v_mul_lo_u32 v0, v10, s13
	v_mov_b32_e32 v1, s11
	s_and_b32 s28, 0xffff, s44
	s_cmp_lt_i32 s28, 11
	s_waitcnt vmcnt(0)
	v_ashrrev_i32_e32 v2, 31, v0
	v_add_co_u32_e32 v0, vcc, s10, v0
	v_addc_co_u32_e32 v1, vcc, v1, v2, vcc
	s_cbranch_scc1 .LBB6_264
; %bb.255:
	s_cmp_gt_i32 s28, 25
	s_cbranch_scc0 .LBB6_273
; %bb.256:
	s_cmp_gt_i32 s28, 28
	s_cbranch_scc0 .LBB6_275
	;; [unrolled: 3-line block ×4, first 2 shown]
; %bb.259:
	s_cmp_eq_u32 s28, 46
	s_mov_b64 s[22:23], 0
	s_cbranch_scc0 .LBB6_285
; %bb.260:
	global_load_dword v2, v[0:1], off
	s_mov_b64 s[20:21], 0
	s_waitcnt vmcnt(0)
	v_lshlrev_b32_e32 v2, 16, v2
	v_cvt_f64_f32_e32 v[2:3], v2
	s_branch .LBB6_286
.LBB6_261:
	s_or_b64 exec, exec, s[18:19]
	s_mov_b64 s[18:19], 0
	s_and_saveexec_b64 s[20:21], s[16:17]
	s_cbranch_execnz .LBB6_859
.LBB6_262:
	s_or_b64 exec, exec, s[20:21]
	s_and_saveexec_b64 s[16:17], s[22:23]
	s_xor_b64 s[16:17], exec, s[16:17]
	s_cbranch_execz .LBB6_860
.LBB6_263:
	global_load_ubyte v3, v[0:1], off
	v_mov_b32_e32 v4, 0x3ff00000
	s_waitcnt vmcnt(1)
	v_mov_b32_e32 v2, 0
	s_or_b64 s[0:1], s[0:1], exec
	s_waitcnt vmcnt(0)
	v_cmp_ne_u16_e32 vcc, 0, v3
	v_cndmask_b32_e32 v3, 0, v4, vcc
	s_or_b64 exec, exec, s[16:17]
	s_and_saveexec_b64 s[16:17], s[24:25]
	s_cbranch_execz .LBB6_906
	s_branch .LBB6_861
.LBB6_264:
	s_mov_b64 s[0:1], 0
                                        ; implicit-def: $vgpr2_vgpr3
	s_mov_b64 s[20:21], s[16:17]
	s_cbranch_execnz .LBB6_463
.LBB6_265:
	s_andn2_b64 vcc, exec, s[0:1]
	s_cbranch_vccnz .LBB6_511
.LBB6_266:
	s_waitcnt vmcnt(0)
	v_cmp_nge_f64_e64 s[0:1], v[2:3], -s[14:15]
	v_cmp_nge_f64_e32 vcc, s[14:15], v[2:3]
	v_mul_lo_u32 v4, v10, s12
	v_mov_b32_e32 v5, s9
	s_and_b32 s30, s33, 0xff
	v_ashrrev_i32_e32 v6, 31, v4
	s_or_b64 vcc, s[0:1], vcc
	v_cndmask_b32_e32 v1, 0, v3, vcc
	v_cndmask_b32_e32 v0, 0, v2, vcc
	v_add_co_u32_e32 v4, vcc, s8, v4
	s_cmp_lt_i32 s30, 11
	v_addc_co_u32_e32 v5, vcc, v5, v6, vcc
	s_cbranch_scc1 .LBB6_274
; %bb.267:
	s_and_b32 s31, 0xffff, s30
	s_cmp_gt_i32 s31, 25
	s_cbranch_scc0 .LBB6_276
; %bb.268:
	s_cmp_gt_i32 s31, 28
	s_cbranch_scc0 .LBB6_278
; %bb.269:
	;; [unrolled: 3-line block ×4, first 2 shown]
	s_mov_b64 s[26:27], 0
	s_mov_b64 s[0:1], -1
	s_cmp_eq_u32 s31, 46
	s_mov_b64 s[22:23], 0
	s_cbranch_scc0 .LBB6_290
; %bb.272:
	v_cvt_f32_f64_e32 v2, v[0:1]
	s_movk_i32 s0, 0x7fff
	v_mov_b32_e32 v3, 0x7fc0
	s_mov_b64 s[22:23], -1
	v_bfe_u32 v6, v2, 16, 1
	v_cmp_o_f32_e32 vcc, v2, v2
	v_add3_u32 v2, v2, v6, s0
	v_cndmask_b32_sdwa v2, v3, v2, vcc dst_sel:DWORD dst_unused:UNUSED_PAD src0_sel:DWORD src1_sel:WORD_1
	global_store_dword v[4:5], v2, off
	s_mov_b64 s[0:1], 0
	s_branch .LBB6_290
.LBB6_273:
	s_mov_b64 s[22:23], -1
	s_mov_b64 s[0:1], 0
	s_mov_b64 s[20:21], s[16:17]
                                        ; implicit-def: $vgpr2_vgpr3
	s_branch .LBB6_429
.LBB6_274:
	s_mov_b64 s[26:27], -1
	s_mov_b64 s[22:23], 0
	s_mov_b64 s[0:1], s[6:7]
	s_branch .LBB6_359
.LBB6_275:
	s_mov_b64 s[22:23], -1
	s_mov_b64 s[0:1], 0
	s_mov_b64 s[20:21], s[16:17]
                                        ; implicit-def: $vgpr2_vgpr3
	s_branch .LBB6_408
.LBB6_276:
	s_mov_b64 s[26:27], -1
	s_mov_b64 s[22:23], 0
	s_mov_b64 s[0:1], s[6:7]
	s_branch .LBB6_317
.LBB6_277:
	s_mov_b64 s[22:23], -1
	s_mov_b64 s[0:1], 0
	s_mov_b64 s[20:21], s[16:17]
                                        ; implicit-def: $vgpr2_vgpr3
	s_branch .LBB6_403
.LBB6_278:
	s_mov_b64 s[26:27], -1
	s_mov_b64 s[22:23], 0
	s_mov_b64 s[0:1], s[6:7]
	s_branch .LBB6_300
.LBB6_279:
	s_andn2_saveexec_b64 s[24:25], s[24:25]
	s_cbranch_execz .LBB6_55
.LBB6_280:
	s_mov_b32 s28, 0x46000000
	v_add_f32_e64 v3, |v2|, s28
	v_and_b32_e32 v3, 0xff, v3
	v_cmp_ne_u32_e32 vcc, 0, v3
	s_andn2_b64 s[20:21], s[20:21], exec
	s_and_b64 s[28:29], vcc, exec
	s_or_b64 s[20:21], s[20:21], s[28:29]
	s_or_b64 exec, exec, s[24:25]
	v_mov_b32_e32 v6, 0
	s_and_saveexec_b64 s[24:25], s[20:21]
	s_cbranch_execnz .LBB6_56
	s_branch .LBB6_57
.LBB6_281:
	s_mov_b64 s[22:23], -1
	s_mov_b64 s[0:1], 0
	s_mov_b64 s[20:21], s[16:17]
                                        ; implicit-def: $vgpr2_vgpr3
	s_branch .LBB6_286
.LBB6_282:
	s_mov_b64 s[26:27], -1
	s_mov_b64 s[22:23], 0
	s_mov_b64 s[0:1], s[6:7]
	s_branch .LBB6_296
.LBB6_283:
	s_andn2_saveexec_b64 s[24:25], s[24:25]
	s_cbranch_execz .LBB6_68
.LBB6_284:
	s_mov_b32 s28, 0x42800000
	v_add_f32_e64 v3, |v2|, s28
	v_and_b32_e32 v3, 0xff, v3
	v_cmp_ne_u32_e32 vcc, 0, v3
	s_andn2_b64 s[20:21], s[20:21], exec
	s_and_b64 s[28:29], vcc, exec
	s_or_b64 s[20:21], s[20:21], s[28:29]
	s_or_b64 exec, exec, s[24:25]
	v_mov_b32_e32 v6, 0
	s_and_saveexec_b64 s[24:25], s[20:21]
	s_cbranch_execnz .LBB6_69
	s_branch .LBB6_70
.LBB6_285:
	s_mov_b64 s[20:21], -1
                                        ; implicit-def: $vgpr2_vgpr3
	s_mov_b64 s[0:1], 0
.LBB6_286:
	s_and_b64 vcc, exec, s[22:23]
	s_cbranch_vccz .LBB6_402
; %bb.287:
	s_cmp_eq_u32 s28, 44
	s_cbranch_scc0 .LBB6_401
; %bb.288:
	global_load_ubyte v4, v[0:1], off
	s_movk_i32 s20, 0xff
	v_bfrev_b32_e32 v5, 4
	v_mov_b32_e32 v6, 0x7ff80000
	v_bfrev_b32_e32 v7, 28
	s_mov_b64 s[0:1], -1
	s_waitcnt vmcnt(0)
	v_lshlrev_b32_e32 v2, 23, v4
	v_cvt_f64_f32_e32 v[2:3], v2
	v_cmp_ne_u32_e32 vcc, s20, v4
	s_mov_b64 s[20:21], 0
	v_cndmask_b32_e32 v2, v5, v2, vcc
	v_cndmask_b32_e32 v3, v6, v3, vcc
	v_cmp_ne_u32_e32 vcc, 0, v4
	v_cndmask_b32_e32 v3, v7, v3, vcc
	v_cndmask_b32_e32 v2, 0, v2, vcc
	s_branch .LBB6_402
.LBB6_289:
	s_mov_b64 s[26:27], -1
	s_mov_b64 s[22:23], 0
	s_mov_b64 s[0:1], s[6:7]
.LBB6_290:
	s_and_b64 vcc, exec, s[26:27]
	s_cbranch_vccz .LBB6_295
; %bb.291:
	s_cmp_eq_u32 s31, 44
	s_mov_b64 s[0:1], -1
	s_cbranch_scc0 .LBB6_295
; %bb.292:
	v_cvt_f32_f64_e32 v2, v[0:1]
	s_movk_i32 s0, 0xff
	v_mov_b32_e32 v6, 0xff
	v_bfe_u32 v3, v2, 23, 8
	v_cmp_ne_u32_e32 vcc, s0, v3
	s_and_saveexec_b64 s[22:23], vcc
; %bb.293:
	s_mov_b32 s0, 0x3fffff
	v_lshrrev_b32_e32 v6, 23, v2
	v_and_b32_e32 v7, 0x400000, v2
	v_and_or_b32 v2, v2, s0, v3
	v_cmp_ne_u32_e32 vcc, 0, v7
	v_cmp_ne_u32_e64 s[0:1], 0, v2
	s_and_b64 s[0:1], vcc, s[0:1]
	v_cndmask_b32_e64 v2, 0, 1, s[0:1]
	v_add_u32_e32 v6, v6, v2
; %bb.294:
	s_or_b64 exec, exec, s[22:23]
	s_mov_b64 s[22:23], -1
	s_mov_b64 s[0:1], 0
	global_store_byte v[4:5], v6, off
.LBB6_295:
	s_mov_b64 s[26:27], 0
.LBB6_296:
	s_and_b64 vcc, exec, s[26:27]
	s_cbranch_vccz .LBB6_299
; %bb.297:
	s_cmp_eq_u32 s31, 29
	s_mov_b64 s[0:1], -1
	s_cbranch_scc0 .LBB6_299
; %bb.298:
	v_trunc_f64_e32 v[2:3], v[0:1]
	s_movk_i32 s0, 0xffe0
	s_mov_b64 s[22:23], -1
	s_mov_b64 s[26:27], 0
	v_ldexp_f64 v[6:7], v[2:3], s0
	s_mov_b32 s0, 0
	s_mov_b32 s1, 0xc1f00000
	v_floor_f64_e32 v[6:7], v[6:7]
	v_fma_f64 v[2:3], v[6:7], s[0:1], v[2:3]
	v_cvt_u32_f64_e32 v7, v[6:7]
	s_mov_b64 s[0:1], 0
	v_cvt_u32_f64_e32 v6, v[2:3]
	global_store_dwordx2 v[4:5], v[6:7], off
	s_branch .LBB6_300
.LBB6_299:
	s_mov_b64 s[26:27], 0
.LBB6_300:
	s_and_b64 vcc, exec, s[26:27]
	s_cbranch_vccz .LBB6_316
; %bb.301:
	s_cmp_lt_i32 s31, 27
	s_mov_b64 s[22:23], -1
	s_cbranch_scc1 .LBB6_307
; %bb.302:
	v_cvt_u32_f64_e32 v2, v[0:1]
	s_cmp_gt_i32 s31, 27
	s_cbranch_scc0 .LBB6_304
; %bb.303:
	s_mov_b64 s[22:23], 0
	global_store_dword v[4:5], v2, off
.LBB6_304:
	s_andn2_b64 vcc, exec, s[22:23]
	s_cbranch_vccnz .LBB6_306
; %bb.305:
	global_store_short v[4:5], v2, off
.LBB6_306:
	s_mov_b64 s[22:23], 0
.LBB6_307:
	s_andn2_b64 vcc, exec, s[22:23]
	s_cbranch_vccnz .LBB6_315
; %bb.308:
	v_cvt_f32_f64_e32 v2, v[0:1]
	s_mov_b32 s22, 0x43800000
	v_mov_b32_e32 v6, 0x80
	v_and_b32_e32 v3, 0x7fffffff, v2
	v_cmp_gt_u32_e32 vcc, s22, v3
	s_and_saveexec_b64 s[22:23], vcc
	s_cbranch_execz .LBB6_314
; %bb.309:
	s_mov_b32 s26, 0x3bffffff
	v_cmp_lt_u32_e32 vcc, s26, v3
	s_mov_b64 s[26:27], 0
                                        ; implicit-def: $vgpr3
	s_and_saveexec_b64 s[28:29], vcc
	s_xor_b64 s[28:29], exec, s[28:29]
	s_cbranch_execz .LBB6_526
; %bb.310:
	v_bfe_u32 v3, v2, 20, 1
	s_mov_b32 s34, 0x487ffff
	v_add3_u32 v3, v2, v3, s34
	s_mov_b64 s[26:27], exec
	v_lshrrev_b32_e32 v3, 20, v3
	s_andn2_saveexec_b64 s[28:29], s[28:29]
	s_cbranch_execnz .LBB6_527
.LBB6_311:
	s_or_b64 exec, exec, s[28:29]
	v_mov_b32_e32 v6, 0
	s_and_saveexec_b64 s[28:29], s[26:27]
.LBB6_312:
	v_lshrrev_b32_e32 v2, 24, v2
	s_movk_i32 s26, 0x80
	v_and_or_b32 v6, v2, s26, v3
.LBB6_313:
	s_or_b64 exec, exec, s[28:29]
.LBB6_314:
	s_or_b64 exec, exec, s[22:23]
	global_store_byte v[4:5], v6, off
.LBB6_315:
	s_mov_b64 s[22:23], -1
.LBB6_316:
	s_mov_b64 s[26:27], 0
.LBB6_317:
	s_and_b64 vcc, exec, s[26:27]
	s_cbranch_vccz .LBB6_358
; %bb.318:
	s_cmp_gt_i32 s31, 22
	s_mov_b64 s[26:27], -1
	s_cbranch_scc0 .LBB6_350
; %bb.319:
	s_cmp_lt_i32 s31, 24
	s_mov_b64 s[22:23], -1
	s_cbranch_scc1 .LBB6_339
; %bb.320:
	s_cmp_gt_i32 s31, 24
	s_cbranch_scc0 .LBB6_328
; %bb.321:
	v_cvt_f32_f64_e32 v2, v[0:1]
	s_mov_b32 s22, 0x47800000
	v_mov_b32_e32 v6, 0x80
	v_and_b32_e32 v3, 0x7fffffff, v2
	v_cmp_gt_u32_e32 vcc, s22, v3
	s_and_saveexec_b64 s[22:23], vcc
	s_cbranch_execz .LBB6_327
; %bb.322:
	s_mov_b32 s26, 0x37ffffff
	v_cmp_lt_u32_e32 vcc, s26, v3
	s_mov_b64 s[26:27], 0
                                        ; implicit-def: $vgpr3
	s_and_saveexec_b64 s[28:29], vcc
	s_xor_b64 s[28:29], exec, s[28:29]
	s_cbranch_execz .LBB6_529
; %bb.323:
	v_bfe_u32 v3, v2, 21, 1
	s_mov_b32 s34, 0x88fffff
	v_add3_u32 v3, v2, v3, s34
	s_mov_b64 s[26:27], exec
	v_lshrrev_b32_e32 v3, 21, v3
	s_andn2_saveexec_b64 s[28:29], s[28:29]
	s_cbranch_execnz .LBB6_530
.LBB6_324:
	s_or_b64 exec, exec, s[28:29]
	v_mov_b32_e32 v6, 0
	s_and_saveexec_b64 s[28:29], s[26:27]
.LBB6_325:
	v_lshrrev_b32_e32 v2, 24, v2
	s_movk_i32 s26, 0x80
	v_and_or_b32 v6, v2, s26, v3
.LBB6_326:
	s_or_b64 exec, exec, s[28:29]
.LBB6_327:
	s_or_b64 exec, exec, s[22:23]
	s_mov_b64 s[22:23], 0
	global_store_byte v[4:5], v6, off
.LBB6_328:
	s_and_b64 vcc, exec, s[22:23]
	s_cbranch_vccz .LBB6_338
; %bb.329:
	v_cvt_f32_f64_e32 v2, v[0:1]
	s_mov_b32 s22, 0x43f00000
                                        ; implicit-def: $vgpr3
	v_and_b32_e32 v6, 0x7fffffff, v2
	v_cmp_gt_u32_e32 vcc, s22, v6
	s_and_saveexec_b64 s[22:23], vcc
	s_xor_b64 s[22:23], exec, s[22:23]
	s_cbranch_execz .LBB6_335
; %bb.330:
	s_mov_b32 s26, 0x3c7fffff
	v_cmp_lt_u32_e32 vcc, s26, v6
                                        ; implicit-def: $vgpr3
	s_and_saveexec_b64 s[26:27], vcc
	s_xor_b64 s[26:27], exec, s[26:27]
; %bb.331:
	v_bfe_u32 v3, v2, 20, 1
	s_mov_b32 s28, 0x407ffff
	v_add3_u32 v3, v2, v3, s28
	v_lshrrev_b32_e32 v6, 20, v3
	v_and_b32_e32 v3, 0xff00000, v3
	s_mov_b32 s28, 0x7f00000
	v_mov_b32_e32 v7, 0x7e
	v_cmp_ne_u32_e32 vcc, s28, v3
	v_cndmask_b32_e32 v3, v7, v6, vcc
; %bb.332:
	s_andn2_saveexec_b64 s[26:27], s[26:27]
; %bb.333:
	s_mov_b32 s28, 0x46800000
	v_add_f32_e64 v3, |v2|, s28
; %bb.334:
	s_or_b64 exec, exec, s[26:27]
                                        ; implicit-def: $vgpr6
.LBB6_335:
	s_andn2_saveexec_b64 s[22:23], s[22:23]
; %bb.336:
	s_mov_b32 s26, 0x7f800000
	v_mov_b32_e32 v3, 0x7e
	v_mov_b32_e32 v7, 0x7f
	v_cmp_lt_u32_e32 vcc, s26, v6
	v_cndmask_b32_e32 v3, v3, v7, vcc
; %bb.337:
	s_or_b64 exec, exec, s[22:23]
	v_lshrrev_b32_e32 v2, 24, v2
	s_movk_i32 s22, 0x80
	v_and_or_b32 v2, v2, s22, v3
	global_store_byte v[4:5], v2, off
.LBB6_338:
	s_mov_b64 s[22:23], 0
.LBB6_339:
	s_andn2_b64 vcc, exec, s[22:23]
	s_cbranch_vccnz .LBB6_349
; %bb.340:
	v_cvt_f32_f64_e32 v2, v[0:1]
	s_mov_b32 s22, 0x47800000
                                        ; implicit-def: $vgpr3
	v_and_b32_e32 v6, 0x7fffffff, v2
	v_cmp_gt_u32_e32 vcc, s22, v6
	s_and_saveexec_b64 s[22:23], vcc
	s_xor_b64 s[22:23], exec, s[22:23]
	s_cbranch_execz .LBB6_346
; %bb.341:
	s_mov_b32 s26, 0x387fffff
	v_cmp_lt_u32_e32 vcc, s26, v6
                                        ; implicit-def: $vgpr3
	s_and_saveexec_b64 s[26:27], vcc
	s_xor_b64 s[26:27], exec, s[26:27]
; %bb.342:
	v_bfe_u32 v3, v2, 21, 1
	s_mov_b32 s28, 0x80fffff
	v_add3_u32 v3, v2, v3, s28
	v_lshrrev_b32_e32 v3, 21, v3
; %bb.343:
	s_andn2_saveexec_b64 s[26:27], s[26:27]
; %bb.344:
	s_mov_b32 s28, 0x43000000
	v_add_f32_e64 v3, |v2|, s28
; %bb.345:
	s_or_b64 exec, exec, s[26:27]
                                        ; implicit-def: $vgpr6
.LBB6_346:
	s_andn2_saveexec_b64 s[22:23], s[22:23]
; %bb.347:
	s_mov_b32 s26, 0x7f800000
	v_mov_b32_e32 v3, 0x7c
	v_mov_b32_e32 v7, 0x7f
	v_cmp_lt_u32_e32 vcc, s26, v6
	v_cndmask_b32_e32 v3, v3, v7, vcc
; %bb.348:
	s_or_b64 exec, exec, s[22:23]
	v_lshrrev_b32_e32 v2, 24, v2
	s_movk_i32 s22, 0x80
	v_and_or_b32 v2, v2, s22, v3
	global_store_byte v[4:5], v2, off
.LBB6_349:
	s_mov_b64 s[26:27], 0
	s_mov_b64 s[22:23], -1
.LBB6_350:
	s_andn2_b64 vcc, exec, s[26:27]
	s_cbranch_vccnz .LBB6_358
; %bb.351:
	s_cmp_gt_i32 s31, 14
	s_mov_b64 s[26:27], -1
	s_cbranch_scc0 .LBB6_355
; %bb.352:
	s_cmp_eq_u32 s31, 15
	s_mov_b64 s[0:1], -1
	s_cbranch_scc0 .LBB6_354
; %bb.353:
	v_cvt_f32_f64_e32 v2, v[0:1]
	s_movk_i32 s0, 0x7fff
	v_mov_b32_e32 v3, 0x7fc0
	s_mov_b64 s[22:23], -1
	v_bfe_u32 v6, v2, 16, 1
	v_cmp_o_f32_e32 vcc, v2, v2
	v_add3_u32 v2, v2, v6, s0
	v_cndmask_b32_sdwa v2, v3, v2, vcc dst_sel:DWORD dst_unused:UNUSED_PAD src0_sel:DWORD src1_sel:WORD_1
	global_store_short v[4:5], v2, off
	s_mov_b64 s[0:1], 0
.LBB6_354:
	s_mov_b64 s[26:27], 0
.LBB6_355:
	s_and_b64 vcc, exec, s[26:27]
	s_cbranch_vccz .LBB6_358
; %bb.356:
	s_cmp_eq_u32 s31, 11
	s_mov_b64 s[0:1], -1
	s_cbranch_scc0 .LBB6_358
; %bb.357:
	v_cmp_neq_f64_e32 vcc, 0, v[0:1]
	s_mov_b64 s[0:1], 0
	s_mov_b64 s[22:23], -1
	v_cndmask_b32_e64 v2, 0, 1, vcc
	global_store_byte v[4:5], v2, off
.LBB6_358:
	s_mov_b64 s[26:27], 0
.LBB6_359:
	s_and_b64 vcc, exec, s[26:27]
	s_cbranch_vccz .LBB6_398
; %bb.360:
	s_and_b32 s26, 0xffff, s30
	s_cmp_lt_i32 s26, 5
	s_mov_b64 s[22:23], -1
	s_cbranch_scc1 .LBB6_381
; %bb.361:
	s_cmp_lt_i32 s26, 8
	s_cbranch_scc1 .LBB6_371
; %bb.362:
	s_cmp_lt_i32 s26, 9
	s_cbranch_scc1 .LBB6_368
; %bb.363:
	s_cmp_gt_i32 s26, 9
	s_cbranch_scc0 .LBB6_365
; %bb.364:
	v_mov_b32_e32 v2, 0
	v_mov_b32_e32 v3, v2
	s_mov_b64 s[22:23], 0
	global_store_dwordx4 v[4:5], v[0:3], off
.LBB6_365:
	s_andn2_b64 vcc, exec, s[22:23]
	s_cbranch_vccnz .LBB6_367
; %bb.366:
	v_cvt_f32_f64_e32 v2, v[0:1]
	v_mov_b32_e32 v3, 0
	global_store_dwordx2 v[4:5], v[2:3], off
.LBB6_367:
	s_mov_b64 s[22:23], 0
.LBB6_368:
	s_andn2_b64 vcc, exec, s[22:23]
	s_cbranch_vccnz .LBB6_370
; %bb.369:
	s_movk_i32 s22, 0x1ff
	v_and_or_b32 v2, v1, s22, v0
	v_cmp_ne_u32_e32 vcc, 0, v2
	v_cndmask_b32_e64 v2, 0, 1, vcc
	v_lshrrev_b32_e32 v3, 8, v1
	s_movk_i32 s22, 0xffe
	v_bfe_u32 v6, v1, 20, 11
	v_and_or_b32 v2, v3, s22, v2
	v_sub_u32_e32 v7, 0x3f1, v6
	v_or_b32_e32 v3, 0x1000, v2
	v_med3_i32 v7, v7, 0, 13
	v_lshrrev_b32_e32 v8, v7, v3
	v_lshlrev_b32_e32 v7, v7, v8
	v_cmp_ne_u32_e32 vcc, v7, v3
	v_cndmask_b32_e64 v3, 0, 1, vcc
	v_add_u32_e32 v6, 0xfffffc10, v6
	v_or_b32_e32 v3, v8, v3
	v_lshl_or_b32 v7, v6, 12, v2
	v_cmp_gt_i32_e32 vcc, 1, v6
	v_cndmask_b32_e32 v3, v7, v3, vcc
	v_and_b32_e32 v7, 7, v3
	v_cmp_lt_i32_e32 vcc, 5, v7
	v_cndmask_b32_e64 v8, 0, 1, vcc
	v_cmp_eq_u32_e32 vcc, 3, v7
	v_cndmask_b32_e64 v7, 0, 1, vcc
	v_or_b32_e32 v7, v7, v8
	v_lshrrev_b32_e32 v3, 2, v3
	v_add_u32_e32 v3, v3, v7
	v_mov_b32_e32 v7, 0x7c00
	v_cmp_gt_i32_e32 vcc, 31, v6
	v_cndmask_b32_e32 v3, v7, v3, vcc
	v_mov_b32_e32 v8, 0x7e00
	v_cmp_ne_u32_e32 vcc, 0, v2
	s_movk_i32 s22, 0x40f
	v_cndmask_b32_e32 v2, v7, v8, vcc
	v_cmp_eq_u32_e32 vcc, s22, v6
	v_cndmask_b32_e32 v2, v3, v2, vcc
	v_lshrrev_b32_e32 v3, 16, v1
	s_mov_b32 s22, 0x8000
	v_and_or_b32 v2, v3, s22, v2
	v_and_b32_e32 v2, 0xffff, v2
	global_store_dword v[4:5], v2, off
.LBB6_370:
	s_mov_b64 s[22:23], 0
.LBB6_371:
	s_andn2_b64 vcc, exec, s[22:23]
	s_cbranch_vccnz .LBB6_380
; %bb.372:
	s_cmp_lt_i32 s26, 6
	s_mov_b64 s[22:23], -1
	s_cbranch_scc1 .LBB6_378
; %bb.373:
	s_cmp_gt_i32 s26, 6
	s_cbranch_scc0 .LBB6_375
; %bb.374:
	s_mov_b64 s[22:23], 0
	global_store_dwordx2 v[4:5], v[0:1], off
.LBB6_375:
	s_andn2_b64 vcc, exec, s[22:23]
	s_cbranch_vccnz .LBB6_377
; %bb.376:
	v_cvt_f32_f64_e32 v2, v[0:1]
	global_store_dword v[4:5], v2, off
.LBB6_377:
	s_mov_b64 s[22:23], 0
.LBB6_378:
	s_andn2_b64 vcc, exec, s[22:23]
	s_cbranch_vccnz .LBB6_380
; %bb.379:
	s_movk_i32 s22, 0x1ff
	v_and_or_b32 v2, v1, s22, v0
	v_cmp_ne_u32_e32 vcc, 0, v2
	v_cndmask_b32_e64 v2, 0, 1, vcc
	v_lshrrev_b32_e32 v3, 8, v1
	s_movk_i32 s22, 0xffe
	v_bfe_u32 v6, v1, 20, 11
	v_and_or_b32 v2, v3, s22, v2
	v_sub_u32_e32 v7, 0x3f1, v6
	v_or_b32_e32 v3, 0x1000, v2
	v_med3_i32 v7, v7, 0, 13
	v_lshrrev_b32_e32 v8, v7, v3
	v_lshlrev_b32_e32 v7, v7, v8
	v_cmp_ne_u32_e32 vcc, v7, v3
	v_cndmask_b32_e64 v3, 0, 1, vcc
	v_add_u32_e32 v6, 0xfffffc10, v6
	v_or_b32_e32 v3, v8, v3
	v_lshl_or_b32 v7, v6, 12, v2
	v_cmp_gt_i32_e32 vcc, 1, v6
	v_cndmask_b32_e32 v3, v7, v3, vcc
	v_and_b32_e32 v7, 7, v3
	v_cmp_lt_i32_e32 vcc, 5, v7
	v_cndmask_b32_e64 v8, 0, 1, vcc
	v_cmp_eq_u32_e32 vcc, 3, v7
	v_cndmask_b32_e64 v7, 0, 1, vcc
	v_or_b32_e32 v7, v7, v8
	v_lshrrev_b32_e32 v3, 2, v3
	v_add_u32_e32 v3, v3, v7
	v_mov_b32_e32 v7, 0x7c00
	v_cmp_gt_i32_e32 vcc, 31, v6
	v_cndmask_b32_e32 v3, v7, v3, vcc
	v_mov_b32_e32 v8, 0x7e00
	v_cmp_ne_u32_e32 vcc, 0, v2
	s_movk_i32 s22, 0x40f
	v_cndmask_b32_e32 v2, v7, v8, vcc
	v_cmp_eq_u32_e32 vcc, s22, v6
	v_cndmask_b32_e32 v2, v3, v2, vcc
	v_lshrrev_b32_e32 v3, 16, v1
	s_mov_b32 s22, 0x8000
	v_and_or_b32 v2, v3, s22, v2
	global_store_short v[4:5], v2, off
.LBB6_380:
	s_mov_b64 s[22:23], 0
.LBB6_381:
	s_andn2_b64 vcc, exec, s[22:23]
	s_cbranch_vccnz .LBB6_397
; %bb.382:
	s_cmp_lt_i32 s26, 2
	s_mov_b64 s[22:23], -1
	s_cbranch_scc1 .LBB6_392
; %bb.383:
	s_cmp_lt_i32 s26, 3
	s_cbranch_scc1 .LBB6_389
; %bb.384:
	s_cmp_gt_i32 s26, 3
	s_cbranch_scc0 .LBB6_386
; %bb.385:
	v_trunc_f64_e32 v[2:3], v[0:1]
	s_movk_i32 s22, 0xffe0
	v_ldexp_f64 v[6:7], v[2:3], s22
	s_mov_b32 s22, 0
	s_mov_b32 s23, 0xc1f00000
	v_floor_f64_e32 v[6:7], v[6:7]
	v_fma_f64 v[2:3], v[6:7], s[22:23], v[2:3]
	v_cvt_i32_f64_e32 v7, v[6:7]
	s_mov_b64 s[22:23], 0
	v_cvt_u32_f64_e32 v6, v[2:3]
	global_store_dwordx2 v[4:5], v[6:7], off
.LBB6_386:
	s_andn2_b64 vcc, exec, s[22:23]
	s_cbranch_vccnz .LBB6_388
; %bb.387:
	v_cvt_i32_f64_e32 v2, v[0:1]
	global_store_dword v[4:5], v2, off
.LBB6_388:
	s_mov_b64 s[22:23], 0
.LBB6_389:
	s_andn2_b64 vcc, exec, s[22:23]
	s_cbranch_vccnz .LBB6_391
; %bb.390:
	v_cvt_i32_f64_e32 v2, v[0:1]
	global_store_short v[4:5], v2, off
.LBB6_391:
	s_mov_b64 s[22:23], 0
.LBB6_392:
	s_andn2_b64 vcc, exec, s[22:23]
	s_cbranch_vccnz .LBB6_397
; %bb.393:
	s_cmp_gt_i32 s26, 0
	s_mov_b64 s[22:23], -1
	s_cbranch_scc0 .LBB6_395
; %bb.394:
	v_cvt_i32_f64_e32 v2, v[0:1]
	s_mov_b64 s[22:23], 0
	global_store_byte v[4:5], v2, off
.LBB6_395:
	s_andn2_b64 vcc, exec, s[22:23]
	s_cbranch_vccnz .LBB6_397
; %bb.396:
	v_trunc_f64_e32 v[0:1], v[0:1]
	s_movk_i32 s22, 0xffe0
	v_ldexp_f64 v[2:3], v[0:1], s22
	s_mov_b32 s22, 0
	s_mov_b32 s23, 0xc1f00000
	v_floor_f64_e32 v[2:3], v[2:3]
	v_fma_f64 v[0:1], v[2:3], s[22:23], v[0:1]
	v_cvt_u32_f64_e32 v0, v[0:1]
	global_store_byte v[4:5], v0, off
.LBB6_397:
	s_mov_b64 s[22:23], -1
.LBB6_398:
	s_andn2_b64 vcc, exec, s[22:23]
	s_cbranch_vccnz .LBB6_400
; %bb.399:
	v_add_u32_e32 v10, 0x80, v10
	s_mov_b64 s[26:27], -1
	s_branch .LBB6_512
.LBB6_400:
	s_mov_b64 s[26:27], 0
                                        ; implicit-def: $vgpr10
	s_branch .LBB6_512
.LBB6_401:
	s_mov_b64 s[20:21], -1
                                        ; implicit-def: $vgpr2_vgpr3
.LBB6_402:
	s_mov_b64 s[22:23], 0
.LBB6_403:
	s_and_b64 vcc, exec, s[22:23]
	s_cbranch_vccz .LBB6_407
; %bb.404:
	s_cmp_eq_u32 s28, 29
	s_cbranch_scc0 .LBB6_406
; %bb.405:
	global_load_dwordx2 v[2:3], v[0:1], off
	s_mov_b64 s[0:1], -1
	s_mov_b64 s[20:21], 0
	s_mov_b64 s[22:23], 0
	s_waitcnt vmcnt(0)
	v_cvt_f64_u32_e32 v[3:4], v3
	v_cvt_f64_u32_e32 v[5:6], v2
	v_ldexp_f64 v[3:4], v[3:4], 32
	v_add_f64 v[2:3], v[3:4], v[5:6]
	s_branch .LBB6_408
.LBB6_406:
	s_mov_b64 s[20:21], -1
                                        ; implicit-def: $vgpr2_vgpr3
.LBB6_407:
	s_mov_b64 s[22:23], 0
.LBB6_408:
	s_and_b64 vcc, exec, s[22:23]
	s_cbranch_vccz .LBB6_428
; %bb.409:
	s_cmp_lt_i32 s28, 27
	s_cbranch_scc1 .LBB6_412
; %bb.410:
	s_cmp_gt_i32 s28, 27
	s_cbranch_scc0 .LBB6_413
; %bb.411:
	global_load_dword v2, v[0:1], off
	s_mov_b64 s[0:1], 0
	s_waitcnt vmcnt(0)
	v_cvt_f64_u32_e32 v[2:3], v2
	s_branch .LBB6_414
.LBB6_412:
	s_mov_b64 s[0:1], -1
                                        ; implicit-def: $vgpr2_vgpr3
	s_branch .LBB6_417
.LBB6_413:
	s_mov_b64 s[0:1], -1
                                        ; implicit-def: $vgpr2_vgpr3
.LBB6_414:
	s_andn2_b64 vcc, exec, s[0:1]
	s_cbranch_vccnz .LBB6_416
; %bb.415:
	global_load_ushort v2, v[0:1], off
	s_waitcnt vmcnt(0)
	v_cvt_f64_u32_e32 v[2:3], v2
.LBB6_416:
	s_mov_b64 s[0:1], 0
.LBB6_417:
	s_andn2_b64 vcc, exec, s[0:1]
	s_cbranch_vccnz .LBB6_427
; %bb.418:
	global_load_ubyte v4, v[0:1], off
	s_movk_i32 s0, 0x7f
	s_waitcnt vmcnt(0)
	v_cmp_lt_i16_e32 vcc, s0, v4
	s_mov_b64 s[0:1], 0
	s_and_saveexec_b64 s[22:23], vcc
	s_xor_b64 s[22:23], exec, s[22:23]
	s_cbranch_execz .LBB6_422
; %bb.419:
	s_movk_i32 s0, 0x80
	v_cmp_eq_u16_e32 vcc, s0, v4
	s_mov_b64 s[0:1], -1
	s_and_saveexec_b64 s[26:27], vcc
; %bb.420:
	s_xor_b64 s[0:1], exec, -1
; %bb.421:
	s_or_b64 exec, exec, s[26:27]
	s_and_b64 s[0:1], s[0:1], exec
.LBB6_422:
	s_or_saveexec_b64 s[22:23], s[22:23]
	v_bfrev_b32_e32 v2, 4
	v_mov_b32_e32 v3, 0x7ff80000
	s_xor_b64 exec, exec, s[22:23]
; %bb.423:
	v_cmp_ne_u16_e32 vcc, 0, v4
	v_mov_b32_e32 v2, 0
	s_andn2_b64 s[0:1], s[0:1], exec
	s_and_b64 s[26:27], vcc, exec
	v_mov_b32_e32 v3, 0
	s_or_b64 s[0:1], s[0:1], s[26:27]
; %bb.424:
	s_or_b64 exec, exec, s[22:23]
	s_and_saveexec_b64 s[22:23], s[0:1]
	s_cbranch_execz .LBB6_426
; %bb.425:
	v_and_b32_e32 v3, 0xffff, v4
	v_lshlrev_b32_e32 v2, 24, v4
	v_and_b32_e32 v4, 7, v3
	v_ffbh_u32_e32 v6, v4
	v_min_u32_e32 v6, 32, v6
	v_subrev_u32_e32 v7, 28, v6
	v_bfe_u32 v5, v3, 3, 4
	v_lshlrev_b32_e32 v3, v7, v3
	v_sub_u32_e32 v6, 29, v6
	v_and_b32_e32 v3, 7, v3
	v_cmp_eq_u32_e32 vcc, 0, v5
	v_cndmask_b32_e32 v5, v5, v6, vcc
	v_cndmask_b32_e32 v3, v4, v3, vcc
	v_mov_b32_e32 v4, 0x3b800000
	v_lshlrev_b32_e32 v3, 20, v3
	v_and_b32_e32 v2, 0x80000000, v2
	v_lshl_add_u32 v4, v5, 23, v4
	v_or3_b32 v2, v2, v4, v3
	v_cvt_f64_f32_e32 v[2:3], v2
.LBB6_426:
	s_or_b64 exec, exec, s[22:23]
.LBB6_427:
	s_mov_b64 s[0:1], -1
.LBB6_428:
	s_mov_b64 s[22:23], 0
.LBB6_429:
	s_and_b64 vcc, exec, s[22:23]
	s_cbranch_vccz .LBB6_462
; %bb.430:
	s_cmp_gt_i32 s28, 22
	s_cbranch_scc0 .LBB6_442
; %bb.431:
	s_cmp_lt_i32 s28, 24
	s_cbranch_scc1 .LBB6_443
; %bb.432:
	s_cmp_gt_i32 s28, 24
	s_cbranch_scc0 .LBB6_444
; %bb.433:
	global_load_ubyte v4, v[0:1], off
	s_movk_i32 s0, 0x7f
	s_waitcnt vmcnt(0)
	v_cmp_lt_i16_e32 vcc, s0, v4
	s_mov_b64 s[0:1], 0
	s_and_saveexec_b64 s[22:23], vcc
	s_xor_b64 s[22:23], exec, s[22:23]
	s_cbranch_execz .LBB6_437
; %bb.434:
	s_movk_i32 s0, 0x80
	v_cmp_eq_u16_e32 vcc, s0, v4
	s_mov_b64 s[0:1], -1
	s_and_saveexec_b64 s[26:27], vcc
; %bb.435:
	s_xor_b64 s[0:1], exec, -1
; %bb.436:
	s_or_b64 exec, exec, s[26:27]
	s_and_b64 s[0:1], s[0:1], exec
.LBB6_437:
	s_or_saveexec_b64 s[22:23], s[22:23]
	v_bfrev_b32_e32 v2, 4
	v_mov_b32_e32 v3, 0x7ff80000
	s_xor_b64 exec, exec, s[22:23]
; %bb.438:
	v_cmp_ne_u16_e32 vcc, 0, v4
	v_mov_b32_e32 v2, 0
	s_andn2_b64 s[0:1], s[0:1], exec
	s_and_b64 s[26:27], vcc, exec
	v_mov_b32_e32 v3, 0
	s_or_b64 s[0:1], s[0:1], s[26:27]
; %bb.439:
	s_or_b64 exec, exec, s[22:23]
	s_and_saveexec_b64 s[22:23], s[0:1]
	s_cbranch_execz .LBB6_441
; %bb.440:
	v_and_b32_e32 v3, 0xffff, v4
	v_lshlrev_b32_e32 v2, 24, v4
	v_and_b32_e32 v4, 3, v3
	v_ffbh_u32_e32 v6, v4
	v_min_u32_e32 v6, 32, v6
	v_subrev_u32_e32 v7, 29, v6
	v_bfe_u32 v5, v3, 2, 5
	v_lshlrev_b32_e32 v3, v7, v3
	v_sub_u32_e32 v6, 30, v6
	v_and_b32_e32 v3, 3, v3
	v_cmp_eq_u32_e32 vcc, 0, v5
	v_cndmask_b32_e32 v5, v5, v6, vcc
	v_cndmask_b32_e32 v3, v4, v3, vcc
	v_mov_b32_e32 v4, 0x37800000
	v_lshlrev_b32_e32 v3, 21, v3
	v_and_b32_e32 v2, 0x80000000, v2
	v_lshl_add_u32 v4, v5, 23, v4
	v_or3_b32 v2, v2, v4, v3
	v_cvt_f64_f32_e32 v[2:3], v2
.LBB6_441:
	s_or_b64 exec, exec, s[22:23]
	s_mov_b64 s[0:1], 0
	s_branch .LBB6_445
.LBB6_442:
	s_mov_b64 s[22:23], -1
                                        ; implicit-def: $vgpr2_vgpr3
	s_branch .LBB6_451
.LBB6_443:
	s_mov_b64 s[0:1], -1
                                        ; implicit-def: $vgpr2_vgpr3
	s_branch .LBB6_448
.LBB6_444:
	s_mov_b64 s[0:1], -1
                                        ; implicit-def: $vgpr2_vgpr3
.LBB6_445:
	s_and_b64 vcc, exec, s[0:1]
	s_cbranch_vccz .LBB6_447
; %bb.446:
	global_load_ubyte v2, v[0:1], off
	s_mov_b32 s0, 0x7f800000
	s_waitcnt vmcnt(0)
	v_lshlrev_b32_e32 v2, 24, v2
	v_and_b32_e32 v3, 0x7f000000, v2
	v_ffbh_u32_e32 v4, v3
	v_min_u32_e32 v4, 32, v4
	v_sub_u32_e64 v4, v4, 4 clamp
	v_lshlrev_b32_e32 v6, v4, v3
	v_lshlrev_b32_e32 v4, 23, v4
	v_lshrrev_b32_e32 v6, 4, v6
	v_add_u32_e32 v5, 0x1000000, v3
	v_sub_u32_e32 v4, v6, v4
	v_ashrrev_i32_e32 v5, 8, v5
	v_add_u32_e32 v4, 0x3c000000, v4
	v_and_or_b32 v4, v5, s0, v4
	v_cmp_ne_u32_e32 vcc, 0, v3
	v_cndmask_b32_e32 v3, 0, v4, vcc
	s_brev_b32 s0, 1
	v_and_or_b32 v2, v2, s0, v3
	v_cvt_f64_f32_e32 v[2:3], v2
.LBB6_447:
	s_mov_b64 s[0:1], 0
.LBB6_448:
	s_andn2_b64 vcc, exec, s[0:1]
	s_cbranch_vccnz .LBB6_450
; %bb.449:
	global_load_ubyte v2, v[0:1], off
	s_movk_i32 s0, 0x7f00
	s_brev_b32 s1, 16
	s_waitcnt vmcnt(0)
	v_lshlrev_b16_e32 v3, 8, v2
	v_lshlrev_b32_e32 v2, 25, v2
	v_lshrrev_b32_e32 v4, 4, v2
	v_and_or_b32 v5, v3, s0, 0.5
	v_or_b32_e32 v4, 0x70000000, v4
	v_add_f32_e32 v5, -0.5, v5
	v_mul_f32_e32 v4, 0x7800000, v4
	v_cmp_gt_u32_e32 vcc, s1, v2
	v_bfe_i32 v3, v3, 0, 16
	v_cndmask_b32_e32 v2, v4, v5, vcc
	s_brev_b32 s0, 1
	v_and_or_b32 v2, v3, s0, v2
	v_cvt_f64_f32_e32 v[2:3], v2
.LBB6_450:
	s_mov_b64 s[22:23], 0
	s_mov_b64 s[0:1], -1
.LBB6_451:
	s_andn2_b64 vcc, exec, s[22:23]
	s_cbranch_vccnz .LBB6_462
; %bb.452:
	s_cmp_gt_i32 s28, 14
	s_cbranch_scc0 .LBB6_455
; %bb.453:
	s_cmp_eq_u32 s28, 15
	s_cbranch_scc0 .LBB6_456
; %bb.454:
	global_load_ushort v2, v[0:1], off
	s_mov_b64 s[0:1], -1
	s_mov_b64 s[20:21], 0
	s_waitcnt vmcnt(0)
	v_lshlrev_b32_e32 v2, 16, v2
	v_cvt_f64_f32_e32 v[2:3], v2
	s_branch .LBB6_457
.LBB6_455:
	s_mov_b64 s[22:23], -1
                                        ; implicit-def: $vgpr2_vgpr3
	s_branch .LBB6_458
.LBB6_456:
	s_mov_b64 s[20:21], -1
                                        ; implicit-def: $vgpr2_vgpr3
.LBB6_457:
	s_mov_b64 s[22:23], 0
.LBB6_458:
	s_and_b64 vcc, exec, s[22:23]
	s_cbranch_vccz .LBB6_462
; %bb.459:
	s_cmp_eq_u32 s28, 11
	s_cbranch_scc0 .LBB6_461
; %bb.460:
	global_load_ubyte v3, v[0:1], off
	v_mov_b32_e32 v4, 0x3ff00000
	v_mov_b32_e32 v2, 0
	s_mov_b64 s[0:1], -1
	s_mov_b64 s[20:21], 0
	s_waitcnt vmcnt(0)
	v_cmp_ne_u16_e32 vcc, 0, v3
	v_cndmask_b32_e32 v3, 0, v4, vcc
	s_branch .LBB6_462
.LBB6_461:
	s_mov_b64 s[20:21], -1
                                        ; implicit-def: $vgpr2_vgpr3
.LBB6_462:
	s_branch .LBB6_265
.LBB6_463:
	s_cmp_lt_i32 s28, 5
	s_cbranch_scc1 .LBB6_468
; %bb.464:
	s_cmp_lt_i32 s28, 8
	s_cbranch_scc1 .LBB6_469
; %bb.465:
	;; [unrolled: 3-line block ×3, first 2 shown]
	s_cmp_gt_i32 s28, 9
	s_cbranch_scc0 .LBB6_471
; %bb.467:
	global_load_dwordx2 v[2:3], v[0:1], off
	s_mov_b64 s[0:1], 0
	s_branch .LBB6_472
.LBB6_468:
	s_mov_b64 s[0:1], -1
                                        ; implicit-def: $vgpr2_vgpr3
	s_branch .LBB6_490
.LBB6_469:
	s_mov_b64 s[0:1], -1
                                        ; implicit-def: $vgpr2_vgpr3
	s_branch .LBB6_478
.LBB6_470:
	s_mov_b64 s[0:1], -1
                                        ; implicit-def: $vgpr2_vgpr3
	s_branch .LBB6_475
.LBB6_471:
	s_mov_b64 s[0:1], -1
                                        ; implicit-def: $vgpr2_vgpr3
.LBB6_472:
	s_andn2_b64 vcc, exec, s[0:1]
	s_cbranch_vccnz .LBB6_474
; %bb.473:
	global_load_dword v2, v[0:1], off
	s_waitcnt vmcnt(0)
	v_cvt_f64_f32_e32 v[2:3], v2
.LBB6_474:
	s_mov_b64 s[0:1], 0
.LBB6_475:
	s_andn2_b64 vcc, exec, s[0:1]
	s_cbranch_vccnz .LBB6_477
; %bb.476:
	global_load_dword v2, v[0:1], off
	s_waitcnt vmcnt(0)
	v_cvt_f32_f16_e32 v2, v2
	v_cvt_f64_f32_e32 v[2:3], v2
.LBB6_477:
	s_mov_b64 s[0:1], 0
.LBB6_478:
	s_andn2_b64 vcc, exec, s[0:1]
	s_cbranch_vccnz .LBB6_489
; %bb.479:
	s_cmp_lt_i32 s28, 6
	s_cbranch_scc1 .LBB6_482
; %bb.480:
	s_cmp_gt_i32 s28, 6
	s_cbranch_scc0 .LBB6_483
; %bb.481:
	global_load_dwordx2 v[2:3], v[0:1], off
	s_mov_b64 s[0:1], 0
	s_branch .LBB6_484
.LBB6_482:
	s_mov_b64 s[0:1], -1
                                        ; implicit-def: $vgpr2_vgpr3
	s_branch .LBB6_487
.LBB6_483:
	s_mov_b64 s[0:1], -1
                                        ; implicit-def: $vgpr2_vgpr3
.LBB6_484:
	s_andn2_b64 vcc, exec, s[0:1]
	s_cbranch_vccnz .LBB6_486
; %bb.485:
	global_load_dword v2, v[0:1], off
	s_waitcnt vmcnt(0)
	v_cvt_f64_f32_e32 v[2:3], v2
.LBB6_486:
	s_mov_b64 s[0:1], 0
.LBB6_487:
	s_andn2_b64 vcc, exec, s[0:1]
	s_cbranch_vccnz .LBB6_489
; %bb.488:
	global_load_ushort v2, v[0:1], off
	s_waitcnt vmcnt(0)
	v_cvt_f32_f16_e32 v2, v2
	v_cvt_f64_f32_e32 v[2:3], v2
.LBB6_489:
	s_mov_b64 s[0:1], 0
.LBB6_490:
	s_andn2_b64 vcc, exec, s[0:1]
	s_cbranch_vccnz .LBB6_510
; %bb.491:
	s_cmp_lt_i32 s28, 2
	s_cbranch_scc1 .LBB6_495
; %bb.492:
	s_cmp_lt_i32 s28, 3
	s_cbranch_scc1 .LBB6_496
; %bb.493:
	s_cmp_gt_i32 s28, 3
	s_cbranch_scc0 .LBB6_497
; %bb.494:
	global_load_dwordx2 v[2:3], v[0:1], off
	s_mov_b64 s[0:1], 0
	s_waitcnt vmcnt(0)
	v_cvt_f64_i32_e32 v[3:4], v3
	v_cvt_f64_u32_e32 v[5:6], v2
	v_ldexp_f64 v[3:4], v[3:4], 32
	v_add_f64 v[2:3], v[3:4], v[5:6]
	s_branch .LBB6_498
.LBB6_495:
	s_mov_b64 s[0:1], -1
                                        ; implicit-def: $vgpr2_vgpr3
	s_branch .LBB6_504
.LBB6_496:
	s_mov_b64 s[0:1], -1
                                        ; implicit-def: $vgpr2_vgpr3
	s_branch .LBB6_501
.LBB6_497:
	s_mov_b64 s[0:1], -1
                                        ; implicit-def: $vgpr2_vgpr3
.LBB6_498:
	s_andn2_b64 vcc, exec, s[0:1]
	s_cbranch_vccnz .LBB6_500
; %bb.499:
	global_load_dword v2, v[0:1], off
	s_waitcnt vmcnt(0)
	v_cvt_f64_i32_e32 v[2:3], v2
.LBB6_500:
	s_mov_b64 s[0:1], 0
.LBB6_501:
	s_andn2_b64 vcc, exec, s[0:1]
	s_cbranch_vccnz .LBB6_503
; %bb.502:
	global_load_sshort v2, v[0:1], off
	s_waitcnt vmcnt(0)
	v_cvt_f64_i32_e32 v[2:3], v2
.LBB6_503:
	s_mov_b64 s[0:1], 0
.LBB6_504:
	s_andn2_b64 vcc, exec, s[0:1]
	s_cbranch_vccnz .LBB6_510
; %bb.505:
	s_cmp_gt_i32 s28, 0
	s_cbranch_scc0 .LBB6_507
; %bb.506:
	global_load_sbyte v2, v[0:1], off
	s_mov_b64 s[0:1], 0
	s_waitcnt vmcnt(0)
	v_cvt_f64_i32_e32 v[2:3], v2
	s_branch .LBB6_508
.LBB6_507:
	s_mov_b64 s[0:1], -1
                                        ; implicit-def: $vgpr2_vgpr3
.LBB6_508:
	s_andn2_b64 vcc, exec, s[0:1]
	s_cbranch_vccnz .LBB6_510
; %bb.509:
	global_load_ubyte v0, v[0:1], off
	s_waitcnt vmcnt(0)
	v_cvt_f64_u32_e32 v[2:3], v0
.LBB6_510:
	s_branch .LBB6_266
.LBB6_511:
	s_mov_b64 s[26:27], 0
                                        ; implicit-def: $vgpr10
	s_mov_b64 s[0:1], s[6:7]
.LBB6_512:
	s_andn2_b64 s[22:23], s[6:7], exec
	s_and_b64 s[0:1], s[0:1], exec
	s_or_b64 s[22:23], s[22:23], s[0:1]
	s_andn2_b64 s[0:1], s[16:17], exec
	s_and_b64 s[20:21], s[20:21], exec
	s_or_b64 s[20:21], s[0:1], s[20:21]
	s_orn2_b64 s[0:1], s[26:27], exec
.LBB6_513:
	s_or_b64 exec, exec, s[24:25]
	s_mov_b64 s[26:27], 0
	s_mov_b64 s[28:29], 0
	;; [unrolled: 1-line block ×3, first 2 shown]
                                        ; implicit-def: $vgpr0_vgpr1
                                        ; implicit-def: $vgpr2_vgpr3
	s_and_saveexec_b64 s[24:25], s[0:1]
	s_cbranch_execz .LBB6_858
; %bb.514:
	v_cmp_gt_i32_e32 vcc, s40, v10
	s_mov_b64 s[36:37], -1
	s_mov_b64 s[0:1], s[20:21]
	s_mov_b64 s[30:31], s[22:23]
	s_and_saveexec_b64 s[26:27], vcc
	s_cbranch_execz .LBB6_772
; %bb.515:
	v_mul_lo_u32 v0, v10, s13
	v_mov_b32_e32 v1, s11
	s_and_b32 s36, 0xffff, s44
	s_cmp_lt_i32 s36, 11
	s_waitcnt vmcnt(0)
	v_ashrrev_i32_e32 v2, 31, v0
	v_add_co_u32_e32 v0, vcc, s10, v0
	v_addc_co_u32_e32 v1, vcc, v1, v2, vcc
	s_cbranch_scc1 .LBB6_522
; %bb.516:
	s_cmp_gt_i32 s36, 25
	s_cbranch_scc0 .LBB6_523
; %bb.517:
	s_cmp_gt_i32 s36, 28
	s_cbranch_scc0 .LBB6_524
	;; [unrolled: 3-line block ×4, first 2 shown]
; %bb.520:
	s_cmp_eq_u32 s36, 46
	s_mov_b64 s[30:31], 0
	s_cbranch_scc0 .LBB6_531
; %bb.521:
	global_load_dword v2, v[0:1], off
	s_mov_b64 s[0:1], -1
	s_waitcnt vmcnt(0)
	v_lshlrev_b32_e32 v2, 16, v2
	v_cvt_f64_f32_e32 v[2:3], v2
	s_branch .LBB6_532
.LBB6_522:
	s_mov_b64 s[30:31], -1
	s_mov_b64 s[0:1], 0
                                        ; implicit-def: $vgpr2_vgpr3
	s_mov_b64 s[28:29], s[20:21]
	s_branch .LBB6_597
.LBB6_523:
	s_mov_b64 s[30:31], -1
	s_mov_b64 s[0:1], 0
	s_mov_b64 s[28:29], s[20:21]
                                        ; implicit-def: $vgpr2_vgpr3
	s_branch .LBB6_563
.LBB6_524:
	s_mov_b64 s[30:31], -1
	s_mov_b64 s[0:1], 0
	s_mov_b64 s[28:29], s[20:21]
                                        ; implicit-def: $vgpr2_vgpr3
	s_branch .LBB6_542
.LBB6_525:
	s_mov_b64 s[30:31], -1
	s_mov_b64 s[0:1], 0
	s_mov_b64 s[28:29], s[20:21]
                                        ; implicit-def: $vgpr2_vgpr3
	s_branch .LBB6_537
.LBB6_526:
	s_andn2_saveexec_b64 s[28:29], s[28:29]
	s_cbranch_execz .LBB6_311
.LBB6_527:
	s_mov_b32 s34, 0x46000000
	v_add_f32_e64 v3, |v2|, s34
	v_and_b32_e32 v3, 0xff, v3
	v_cmp_ne_u32_e32 vcc, 0, v3
	s_andn2_b64 s[26:27], s[26:27], exec
	s_and_b64 s[34:35], vcc, exec
	s_or_b64 s[26:27], s[26:27], s[34:35]
	s_or_b64 exec, exec, s[28:29]
	v_mov_b32_e32 v6, 0
	s_and_saveexec_b64 s[28:29], s[26:27]
	s_cbranch_execnz .LBB6_312
	s_branch .LBB6_313
.LBB6_528:
	s_mov_b64 s[30:31], -1
	s_mov_b64 s[0:1], 0
	s_mov_b64 s[28:29], s[20:21]
                                        ; implicit-def: $vgpr2_vgpr3
	s_branch .LBB6_532
.LBB6_529:
	s_andn2_saveexec_b64 s[28:29], s[28:29]
	s_cbranch_execz .LBB6_324
.LBB6_530:
	s_mov_b32 s34, 0x42800000
	v_add_f32_e64 v3, |v2|, s34
	v_and_b32_e32 v3, 0xff, v3
	v_cmp_ne_u32_e32 vcc, 0, v3
	s_andn2_b64 s[26:27], s[26:27], exec
	s_and_b64 s[34:35], vcc, exec
	s_or_b64 s[26:27], s[26:27], s[34:35]
	s_or_b64 exec, exec, s[28:29]
	v_mov_b32_e32 v6, 0
	s_and_saveexec_b64 s[28:29], s[26:27]
	s_cbranch_execnz .LBB6_325
	s_branch .LBB6_326
.LBB6_531:
	s_mov_b64 s[28:29], -1
                                        ; implicit-def: $vgpr2_vgpr3
	s_mov_b64 s[0:1], 0
.LBB6_532:
	s_and_b64 vcc, exec, s[30:31]
	s_cbranch_vccz .LBB6_536
; %bb.533:
	s_cmp_eq_u32 s36, 44
	s_cbranch_scc0 .LBB6_535
; %bb.534:
	global_load_ubyte v4, v[0:1], off
	s_movk_i32 s28, 0xff
	v_bfrev_b32_e32 v5, 4
	v_mov_b32_e32 v6, 0x7ff80000
	v_bfrev_b32_e32 v7, 28
	s_mov_b64 s[0:1], -1
	s_waitcnt vmcnt(0)
	v_lshlrev_b32_e32 v2, 23, v4
	v_cvt_f64_f32_e32 v[2:3], v2
	v_cmp_ne_u32_e32 vcc, s28, v4
	s_mov_b64 s[28:29], 0
	v_cndmask_b32_e32 v2, v5, v2, vcc
	v_cndmask_b32_e32 v3, v6, v3, vcc
	v_cmp_ne_u32_e32 vcc, 0, v4
	v_cndmask_b32_e32 v3, v7, v3, vcc
	v_cndmask_b32_e32 v2, 0, v2, vcc
	s_branch .LBB6_536
.LBB6_535:
	s_mov_b64 s[28:29], -1
                                        ; implicit-def: $vgpr2_vgpr3
.LBB6_536:
	s_mov_b64 s[30:31], 0
.LBB6_537:
	s_and_b64 vcc, exec, s[30:31]
	s_cbranch_vccz .LBB6_541
; %bb.538:
	s_cmp_eq_u32 s36, 29
	s_cbranch_scc0 .LBB6_540
; %bb.539:
	global_load_dwordx2 v[2:3], v[0:1], off
	s_mov_b64 s[0:1], -1
	s_mov_b64 s[28:29], 0
	s_mov_b64 s[30:31], 0
	s_waitcnt vmcnt(0)
	v_cvt_f64_u32_e32 v[3:4], v3
	v_cvt_f64_u32_e32 v[5:6], v2
	v_ldexp_f64 v[3:4], v[3:4], 32
	v_add_f64 v[2:3], v[3:4], v[5:6]
	s_branch .LBB6_542
.LBB6_540:
	s_mov_b64 s[28:29], -1
                                        ; implicit-def: $vgpr2_vgpr3
.LBB6_541:
	s_mov_b64 s[30:31], 0
.LBB6_542:
	s_and_b64 vcc, exec, s[30:31]
	s_cbranch_vccz .LBB6_562
; %bb.543:
	s_cmp_lt_i32 s36, 27
	s_cbranch_scc1 .LBB6_546
; %bb.544:
	s_cmp_gt_i32 s36, 27
	s_cbranch_scc0 .LBB6_547
; %bb.545:
	global_load_dword v2, v[0:1], off
	s_mov_b64 s[0:1], 0
	s_waitcnt vmcnt(0)
	v_cvt_f64_u32_e32 v[2:3], v2
	s_branch .LBB6_548
.LBB6_546:
	s_mov_b64 s[0:1], -1
                                        ; implicit-def: $vgpr2_vgpr3
	s_branch .LBB6_551
.LBB6_547:
	s_mov_b64 s[0:1], -1
                                        ; implicit-def: $vgpr2_vgpr3
.LBB6_548:
	s_andn2_b64 vcc, exec, s[0:1]
	s_cbranch_vccnz .LBB6_550
; %bb.549:
	global_load_ushort v2, v[0:1], off
	s_waitcnt vmcnt(0)
	v_cvt_f64_u32_e32 v[2:3], v2
.LBB6_550:
	s_mov_b64 s[0:1], 0
.LBB6_551:
	s_andn2_b64 vcc, exec, s[0:1]
	s_cbranch_vccnz .LBB6_561
; %bb.552:
	global_load_ubyte v4, v[0:1], off
	s_movk_i32 s0, 0x7f
	s_waitcnt vmcnt(0)
	v_cmp_lt_i16_e32 vcc, s0, v4
	s_mov_b64 s[0:1], 0
	s_and_saveexec_b64 s[30:31], vcc
	s_xor_b64 s[30:31], exec, s[30:31]
	s_cbranch_execz .LBB6_556
; %bb.553:
	s_movk_i32 s0, 0x80
	v_cmp_eq_u16_e32 vcc, s0, v4
	s_mov_b64 s[0:1], -1
	s_and_saveexec_b64 s[34:35], vcc
; %bb.554:
	s_xor_b64 s[0:1], exec, -1
; %bb.555:
	s_or_b64 exec, exec, s[34:35]
	s_and_b64 s[0:1], s[0:1], exec
.LBB6_556:
	s_or_saveexec_b64 s[30:31], s[30:31]
	v_bfrev_b32_e32 v2, 4
	v_mov_b32_e32 v3, 0x7ff80000
	s_xor_b64 exec, exec, s[30:31]
; %bb.557:
	v_cmp_ne_u16_e32 vcc, 0, v4
	v_mov_b32_e32 v2, 0
	s_andn2_b64 s[0:1], s[0:1], exec
	s_and_b64 s[34:35], vcc, exec
	v_mov_b32_e32 v3, 0
	s_or_b64 s[0:1], s[0:1], s[34:35]
; %bb.558:
	s_or_b64 exec, exec, s[30:31]
	s_and_saveexec_b64 s[30:31], s[0:1]
	s_cbranch_execz .LBB6_560
; %bb.559:
	v_and_b32_e32 v3, 0xffff, v4
	v_lshlrev_b32_e32 v2, 24, v4
	v_and_b32_e32 v4, 7, v3
	v_ffbh_u32_e32 v6, v4
	v_min_u32_e32 v6, 32, v6
	v_subrev_u32_e32 v7, 28, v6
	v_bfe_u32 v5, v3, 3, 4
	v_lshlrev_b32_e32 v3, v7, v3
	v_sub_u32_e32 v6, 29, v6
	v_and_b32_e32 v3, 7, v3
	v_cmp_eq_u32_e32 vcc, 0, v5
	v_cndmask_b32_e32 v5, v5, v6, vcc
	v_cndmask_b32_e32 v3, v4, v3, vcc
	v_mov_b32_e32 v4, 0x3b800000
	v_lshlrev_b32_e32 v3, 20, v3
	v_and_b32_e32 v2, 0x80000000, v2
	v_lshl_add_u32 v4, v5, 23, v4
	v_or3_b32 v2, v2, v4, v3
	v_cvt_f64_f32_e32 v[2:3], v2
.LBB6_560:
	s_or_b64 exec, exec, s[30:31]
.LBB6_561:
	s_mov_b64 s[0:1], -1
.LBB6_562:
	s_mov_b64 s[30:31], 0
.LBB6_563:
	s_and_b64 vcc, exec, s[30:31]
	s_cbranch_vccz .LBB6_596
; %bb.564:
	s_cmp_gt_i32 s36, 22
	s_cbranch_scc0 .LBB6_576
; %bb.565:
	s_cmp_lt_i32 s36, 24
	s_cbranch_scc1 .LBB6_577
; %bb.566:
	s_cmp_gt_i32 s36, 24
	s_cbranch_scc0 .LBB6_578
; %bb.567:
	global_load_ubyte v4, v[0:1], off
	s_movk_i32 s0, 0x7f
	s_waitcnt vmcnt(0)
	v_cmp_lt_i16_e32 vcc, s0, v4
	s_mov_b64 s[0:1], 0
	s_and_saveexec_b64 s[30:31], vcc
	s_xor_b64 s[30:31], exec, s[30:31]
	s_cbranch_execz .LBB6_571
; %bb.568:
	s_movk_i32 s0, 0x80
	v_cmp_eq_u16_e32 vcc, s0, v4
	s_mov_b64 s[0:1], -1
	s_and_saveexec_b64 s[34:35], vcc
; %bb.569:
	s_xor_b64 s[0:1], exec, -1
; %bb.570:
	s_or_b64 exec, exec, s[34:35]
	s_and_b64 s[0:1], s[0:1], exec
.LBB6_571:
	s_or_saveexec_b64 s[30:31], s[30:31]
	v_bfrev_b32_e32 v2, 4
	v_mov_b32_e32 v3, 0x7ff80000
	s_xor_b64 exec, exec, s[30:31]
; %bb.572:
	v_cmp_ne_u16_e32 vcc, 0, v4
	v_mov_b32_e32 v2, 0
	s_andn2_b64 s[0:1], s[0:1], exec
	s_and_b64 s[34:35], vcc, exec
	v_mov_b32_e32 v3, 0
	s_or_b64 s[0:1], s[0:1], s[34:35]
; %bb.573:
	s_or_b64 exec, exec, s[30:31]
	s_and_saveexec_b64 s[30:31], s[0:1]
	s_cbranch_execz .LBB6_575
; %bb.574:
	v_and_b32_e32 v3, 0xffff, v4
	v_lshlrev_b32_e32 v2, 24, v4
	v_and_b32_e32 v4, 3, v3
	v_ffbh_u32_e32 v6, v4
	v_min_u32_e32 v6, 32, v6
	v_subrev_u32_e32 v7, 29, v6
	v_bfe_u32 v5, v3, 2, 5
	v_lshlrev_b32_e32 v3, v7, v3
	v_sub_u32_e32 v6, 30, v6
	v_and_b32_e32 v3, 3, v3
	v_cmp_eq_u32_e32 vcc, 0, v5
	v_cndmask_b32_e32 v5, v5, v6, vcc
	v_cndmask_b32_e32 v3, v4, v3, vcc
	v_mov_b32_e32 v4, 0x37800000
	v_lshlrev_b32_e32 v3, 21, v3
	v_and_b32_e32 v2, 0x80000000, v2
	v_lshl_add_u32 v4, v5, 23, v4
	v_or3_b32 v2, v2, v4, v3
	v_cvt_f64_f32_e32 v[2:3], v2
.LBB6_575:
	s_or_b64 exec, exec, s[30:31]
	s_mov_b64 s[0:1], 0
	s_branch .LBB6_579
.LBB6_576:
	s_mov_b64 s[30:31], -1
                                        ; implicit-def: $vgpr2_vgpr3
	s_branch .LBB6_585
.LBB6_577:
	s_mov_b64 s[0:1], -1
                                        ; implicit-def: $vgpr2_vgpr3
	s_branch .LBB6_582
.LBB6_578:
	s_mov_b64 s[0:1], -1
                                        ; implicit-def: $vgpr2_vgpr3
.LBB6_579:
	s_and_b64 vcc, exec, s[0:1]
	s_cbranch_vccz .LBB6_581
; %bb.580:
	global_load_ubyte v2, v[0:1], off
	s_mov_b32 s0, 0x7f800000
	s_waitcnt vmcnt(0)
	v_lshlrev_b32_e32 v2, 24, v2
	v_and_b32_e32 v3, 0x7f000000, v2
	v_ffbh_u32_e32 v4, v3
	v_min_u32_e32 v4, 32, v4
	v_sub_u32_e64 v4, v4, 4 clamp
	v_lshlrev_b32_e32 v6, v4, v3
	v_lshlrev_b32_e32 v4, 23, v4
	v_lshrrev_b32_e32 v6, 4, v6
	v_add_u32_e32 v5, 0x1000000, v3
	v_sub_u32_e32 v4, v6, v4
	v_ashrrev_i32_e32 v5, 8, v5
	v_add_u32_e32 v4, 0x3c000000, v4
	v_and_or_b32 v4, v5, s0, v4
	v_cmp_ne_u32_e32 vcc, 0, v3
	v_cndmask_b32_e32 v3, 0, v4, vcc
	s_brev_b32 s0, 1
	v_and_or_b32 v2, v2, s0, v3
	v_cvt_f64_f32_e32 v[2:3], v2
.LBB6_581:
	s_mov_b64 s[0:1], 0
.LBB6_582:
	s_andn2_b64 vcc, exec, s[0:1]
	s_cbranch_vccnz .LBB6_584
; %bb.583:
	global_load_ubyte v2, v[0:1], off
	s_movk_i32 s0, 0x7f00
	s_brev_b32 s1, 16
	s_waitcnt vmcnt(0)
	v_lshlrev_b16_e32 v3, 8, v2
	v_lshlrev_b32_e32 v2, 25, v2
	v_lshrrev_b32_e32 v4, 4, v2
	v_and_or_b32 v5, v3, s0, 0.5
	v_or_b32_e32 v4, 0x70000000, v4
	v_add_f32_e32 v5, -0.5, v5
	v_mul_f32_e32 v4, 0x7800000, v4
	v_cmp_gt_u32_e32 vcc, s1, v2
	v_bfe_i32 v3, v3, 0, 16
	v_cndmask_b32_e32 v2, v4, v5, vcc
	s_brev_b32 s0, 1
	v_and_or_b32 v2, v3, s0, v2
	v_cvt_f64_f32_e32 v[2:3], v2
.LBB6_584:
	s_mov_b64 s[30:31], 0
	s_mov_b64 s[0:1], -1
.LBB6_585:
	s_andn2_b64 vcc, exec, s[30:31]
	s_cbranch_vccnz .LBB6_596
; %bb.586:
	s_cmp_gt_i32 s36, 14
	s_cbranch_scc0 .LBB6_589
; %bb.587:
	s_cmp_eq_u32 s36, 15
	s_cbranch_scc0 .LBB6_590
; %bb.588:
	global_load_ushort v2, v[0:1], off
	s_mov_b64 s[0:1], -1
	s_mov_b64 s[28:29], 0
	s_waitcnt vmcnt(0)
	v_lshlrev_b32_e32 v2, 16, v2
	v_cvt_f64_f32_e32 v[2:3], v2
	s_branch .LBB6_591
.LBB6_589:
	s_mov_b64 s[30:31], -1
                                        ; implicit-def: $vgpr2_vgpr3
	s_branch .LBB6_592
.LBB6_590:
	s_mov_b64 s[28:29], -1
                                        ; implicit-def: $vgpr2_vgpr3
.LBB6_591:
	s_mov_b64 s[30:31], 0
.LBB6_592:
	s_and_b64 vcc, exec, s[30:31]
	s_cbranch_vccz .LBB6_596
; %bb.593:
	s_cmp_eq_u32 s36, 11
	s_cbranch_scc0 .LBB6_595
; %bb.594:
	global_load_ubyte v3, v[0:1], off
	v_mov_b32_e32 v4, 0x3ff00000
	v_mov_b32_e32 v2, 0
	s_mov_b64 s[0:1], -1
	s_mov_b64 s[28:29], 0
	s_waitcnt vmcnt(0)
	v_cmp_ne_u16_e32 vcc, 0, v3
	v_cndmask_b32_e32 v3, 0, v4, vcc
	s_branch .LBB6_596
.LBB6_595:
	s_mov_b64 s[28:29], -1
                                        ; implicit-def: $vgpr2_vgpr3
.LBB6_596:
	s_mov_b64 s[30:31], 0
.LBB6_597:
	s_and_b64 vcc, exec, s[30:31]
	s_cbranch_vccz .LBB6_646
; %bb.598:
	s_cmp_lt_i32 s36, 5
	s_cbranch_scc1 .LBB6_603
; %bb.599:
	s_cmp_lt_i32 s36, 8
	s_cbranch_scc1 .LBB6_604
; %bb.600:
	s_cmp_lt_i32 s36, 9
	s_cbranch_scc1 .LBB6_605
; %bb.601:
	s_cmp_gt_i32 s36, 9
	s_cbranch_scc0 .LBB6_606
; %bb.602:
	global_load_dwordx2 v[2:3], v[0:1], off
	s_mov_b64 s[0:1], 0
	s_branch .LBB6_607
.LBB6_603:
	s_mov_b64 s[0:1], -1
                                        ; implicit-def: $vgpr2_vgpr3
	s_branch .LBB6_625
.LBB6_604:
	s_mov_b64 s[0:1], -1
                                        ; implicit-def: $vgpr2_vgpr3
	s_branch .LBB6_613
.LBB6_605:
	s_mov_b64 s[0:1], -1
                                        ; implicit-def: $vgpr2_vgpr3
	s_branch .LBB6_610
.LBB6_606:
	s_mov_b64 s[0:1], -1
                                        ; implicit-def: $vgpr2_vgpr3
.LBB6_607:
	s_andn2_b64 vcc, exec, s[0:1]
	s_cbranch_vccnz .LBB6_609
; %bb.608:
	global_load_dword v2, v[0:1], off
	s_waitcnt vmcnt(0)
	v_cvt_f64_f32_e32 v[2:3], v2
.LBB6_609:
	s_mov_b64 s[0:1], 0
.LBB6_610:
	s_andn2_b64 vcc, exec, s[0:1]
	s_cbranch_vccnz .LBB6_612
; %bb.611:
	global_load_dword v2, v[0:1], off
	s_waitcnt vmcnt(0)
	v_cvt_f32_f16_e32 v2, v2
	v_cvt_f64_f32_e32 v[2:3], v2
.LBB6_612:
	s_mov_b64 s[0:1], 0
.LBB6_613:
	s_andn2_b64 vcc, exec, s[0:1]
	s_cbranch_vccnz .LBB6_624
; %bb.614:
	s_cmp_lt_i32 s36, 6
	s_cbranch_scc1 .LBB6_617
; %bb.615:
	s_cmp_gt_i32 s36, 6
	s_cbranch_scc0 .LBB6_618
; %bb.616:
	global_load_dwordx2 v[2:3], v[0:1], off
	s_mov_b64 s[0:1], 0
	s_branch .LBB6_619
.LBB6_617:
	s_mov_b64 s[0:1], -1
                                        ; implicit-def: $vgpr2_vgpr3
	s_branch .LBB6_622
.LBB6_618:
	s_mov_b64 s[0:1], -1
                                        ; implicit-def: $vgpr2_vgpr3
.LBB6_619:
	s_andn2_b64 vcc, exec, s[0:1]
	s_cbranch_vccnz .LBB6_621
; %bb.620:
	global_load_dword v2, v[0:1], off
	s_waitcnt vmcnt(0)
	v_cvt_f64_f32_e32 v[2:3], v2
.LBB6_621:
	s_mov_b64 s[0:1], 0
.LBB6_622:
	s_andn2_b64 vcc, exec, s[0:1]
	s_cbranch_vccnz .LBB6_624
; %bb.623:
	global_load_ushort v2, v[0:1], off
	s_waitcnt vmcnt(0)
	v_cvt_f32_f16_e32 v2, v2
	v_cvt_f64_f32_e32 v[2:3], v2
.LBB6_624:
	s_mov_b64 s[0:1], 0
.LBB6_625:
	s_andn2_b64 vcc, exec, s[0:1]
	s_cbranch_vccnz .LBB6_645
; %bb.626:
	s_cmp_lt_i32 s36, 2
	s_cbranch_scc1 .LBB6_630
; %bb.627:
	s_cmp_lt_i32 s36, 3
	s_cbranch_scc1 .LBB6_631
; %bb.628:
	s_cmp_gt_i32 s36, 3
	s_cbranch_scc0 .LBB6_632
; %bb.629:
	global_load_dwordx2 v[2:3], v[0:1], off
	s_mov_b64 s[0:1], 0
	s_waitcnt vmcnt(0)
	v_cvt_f64_i32_e32 v[3:4], v3
	v_cvt_f64_u32_e32 v[5:6], v2
	v_ldexp_f64 v[3:4], v[3:4], 32
	v_add_f64 v[2:3], v[3:4], v[5:6]
	s_branch .LBB6_633
.LBB6_630:
	s_mov_b64 s[0:1], -1
                                        ; implicit-def: $vgpr2_vgpr3
	s_branch .LBB6_639
.LBB6_631:
	s_mov_b64 s[0:1], -1
                                        ; implicit-def: $vgpr2_vgpr3
	s_branch .LBB6_636
.LBB6_632:
	s_mov_b64 s[0:1], -1
                                        ; implicit-def: $vgpr2_vgpr3
.LBB6_633:
	s_andn2_b64 vcc, exec, s[0:1]
	s_cbranch_vccnz .LBB6_635
; %bb.634:
	global_load_dword v2, v[0:1], off
	s_waitcnt vmcnt(0)
	v_cvt_f64_i32_e32 v[2:3], v2
.LBB6_635:
	s_mov_b64 s[0:1], 0
.LBB6_636:
	s_andn2_b64 vcc, exec, s[0:1]
	s_cbranch_vccnz .LBB6_638
; %bb.637:
	global_load_sshort v2, v[0:1], off
	s_waitcnt vmcnt(0)
	v_cvt_f64_i32_e32 v[2:3], v2
.LBB6_638:
	s_mov_b64 s[0:1], 0
.LBB6_639:
	s_andn2_b64 vcc, exec, s[0:1]
	s_cbranch_vccnz .LBB6_645
; %bb.640:
	s_cmp_gt_i32 s36, 0
	s_cbranch_scc0 .LBB6_642
; %bb.641:
	global_load_sbyte v2, v[0:1], off
	s_mov_b64 s[0:1], 0
	s_waitcnt vmcnt(0)
	v_cvt_f64_i32_e32 v[2:3], v2
	s_branch .LBB6_643
.LBB6_642:
	s_mov_b64 s[0:1], -1
                                        ; implicit-def: $vgpr2_vgpr3
.LBB6_643:
	s_andn2_b64 vcc, exec, s[0:1]
	s_cbranch_vccnz .LBB6_645
; %bb.644:
	global_load_ubyte v0, v[0:1], off
	s_waitcnt vmcnt(0)
	v_cvt_f64_u32_e32 v[2:3], v0
.LBB6_645:
	s_mov_b64 s[0:1], -1
.LBB6_646:
	s_andn2_b64 vcc, exec, s[0:1]
	s_cbranch_vccnz .LBB6_654
; %bb.647:
	s_waitcnt vmcnt(0)
	v_cmp_nge_f64_e64 s[0:1], v[2:3], -s[14:15]
	v_cmp_nge_f64_e32 vcc, s[14:15], v[2:3]
	v_mul_lo_u32 v4, v10, s12
	v_mov_b32_e32 v5, s9
	s_and_b32 s38, s33, 0xff
	v_ashrrev_i32_e32 v6, 31, v4
	s_or_b64 vcc, s[0:1], vcc
	v_cndmask_b32_e32 v1, 0, v3, vcc
	v_cndmask_b32_e32 v0, 0, v2, vcc
	v_add_co_u32_e32 v4, vcc, s8, v4
	s_cmp_lt_i32 s38, 11
	v_addc_co_u32_e32 v5, vcc, v5, v6, vcc
	s_cbranch_scc1 .LBB6_655
; %bb.648:
	s_and_b32 s39, 0xffff, s38
	s_cmp_gt_i32 s39, 25
	s_cbranch_scc0 .LBB6_656
; %bb.649:
	s_cmp_gt_i32 s39, 28
	s_cbranch_scc0 .LBB6_657
; %bb.650:
	;; [unrolled: 3-line block ×4, first 2 shown]
	s_mov_b64 s[34:35], 0
	s_mov_b64 s[0:1], -1
	s_cmp_eq_u32 s39, 46
	s_mov_b64 s[30:31], 0
	s_cbranch_scc0 .LBB6_660
; %bb.653:
	v_cvt_f32_f64_e32 v2, v[0:1]
	s_movk_i32 s0, 0x7fff
	v_mov_b32_e32 v3, 0x7fc0
	s_mov_b64 s[30:31], -1
	v_bfe_u32 v6, v2, 16, 1
	v_cmp_o_f32_e32 vcc, v2, v2
	v_add3_u32 v2, v2, v6, s0
	v_cndmask_b32_sdwa v2, v3, v2, vcc dst_sel:DWORD dst_unused:UNUSED_PAD src0_sel:DWORD src1_sel:WORD_1
	global_store_dword v[4:5], v2, off
	s_mov_b64 s[0:1], 0
	s_branch .LBB6_660
.LBB6_654:
	s_mov_b64 s[34:35], 0
                                        ; implicit-def: $vgpr10
	s_mov_b64 s[0:1], s[22:23]
	s_branch .LBB6_771
.LBB6_655:
	s_mov_b64 s[34:35], -1
	s_mov_b64 s[30:31], 0
	s_mov_b64 s[0:1], s[22:23]
	s_branch .LBB6_729
.LBB6_656:
	s_mov_b64 s[34:35], -1
	s_mov_b64 s[30:31], 0
	s_mov_b64 s[0:1], s[22:23]
	s_branch .LBB6_687
.LBB6_657:
	s_mov_b64 s[34:35], -1
	s_mov_b64 s[30:31], 0
	s_mov_b64 s[0:1], s[22:23]
	s_branch .LBB6_670
.LBB6_658:
	s_mov_b64 s[34:35], -1
	s_mov_b64 s[30:31], 0
	s_mov_b64 s[0:1], s[22:23]
	s_branch .LBB6_666
.LBB6_659:
	s_mov_b64 s[34:35], -1
	s_mov_b64 s[30:31], 0
	s_mov_b64 s[0:1], s[22:23]
.LBB6_660:
	s_and_b64 vcc, exec, s[34:35]
	s_cbranch_vccz .LBB6_665
; %bb.661:
	s_cmp_eq_u32 s39, 44
	s_mov_b64 s[0:1], -1
	s_cbranch_scc0 .LBB6_665
; %bb.662:
	v_cvt_f32_f64_e32 v2, v[0:1]
	s_movk_i32 s0, 0xff
	v_mov_b32_e32 v6, 0xff
	v_bfe_u32 v3, v2, 23, 8
	v_cmp_ne_u32_e32 vcc, s0, v3
	s_and_saveexec_b64 s[30:31], vcc
; %bb.663:
	s_mov_b32 s0, 0x3fffff
	v_lshrrev_b32_e32 v6, 23, v2
	v_and_b32_e32 v7, 0x400000, v2
	v_and_or_b32 v2, v2, s0, v3
	v_cmp_ne_u32_e32 vcc, 0, v7
	v_cmp_ne_u32_e64 s[0:1], 0, v2
	s_and_b64 s[0:1], vcc, s[0:1]
	v_cndmask_b32_e64 v2, 0, 1, s[0:1]
	v_add_u32_e32 v6, v6, v2
; %bb.664:
	s_or_b64 exec, exec, s[30:31]
	s_mov_b64 s[30:31], -1
	s_mov_b64 s[0:1], 0
	global_store_byte v[4:5], v6, off
.LBB6_665:
	s_mov_b64 s[34:35], 0
.LBB6_666:
	s_and_b64 vcc, exec, s[34:35]
	s_cbranch_vccz .LBB6_669
; %bb.667:
	s_cmp_eq_u32 s39, 29
	s_mov_b64 s[0:1], -1
	s_cbranch_scc0 .LBB6_669
; %bb.668:
	v_trunc_f64_e32 v[2:3], v[0:1]
	s_movk_i32 s0, 0xffe0
	s_mov_b64 s[30:31], -1
	s_mov_b64 s[34:35], 0
	v_ldexp_f64 v[6:7], v[2:3], s0
	s_mov_b32 s0, 0
	s_mov_b32 s1, 0xc1f00000
	v_floor_f64_e32 v[6:7], v[6:7]
	v_fma_f64 v[2:3], v[6:7], s[0:1], v[2:3]
	v_cvt_u32_f64_e32 v7, v[6:7]
	s_mov_b64 s[0:1], 0
	v_cvt_u32_f64_e32 v6, v[2:3]
	global_store_dwordx2 v[4:5], v[6:7], off
	s_branch .LBB6_670
.LBB6_669:
	s_mov_b64 s[34:35], 0
.LBB6_670:
	s_and_b64 vcc, exec, s[34:35]
	s_cbranch_vccz .LBB6_686
; %bb.671:
	s_cmp_lt_i32 s39, 27
	s_mov_b64 s[30:31], -1
	s_cbranch_scc1 .LBB6_677
; %bb.672:
	v_cvt_u32_f64_e32 v2, v[0:1]
	s_cmp_gt_i32 s39, 27
	s_cbranch_scc0 .LBB6_674
; %bb.673:
	s_mov_b64 s[30:31], 0
	global_store_dword v[4:5], v2, off
.LBB6_674:
	s_andn2_b64 vcc, exec, s[30:31]
	s_cbranch_vccnz .LBB6_676
; %bb.675:
	global_store_short v[4:5], v2, off
.LBB6_676:
	s_mov_b64 s[30:31], 0
.LBB6_677:
	s_andn2_b64 vcc, exec, s[30:31]
	s_cbranch_vccnz .LBB6_685
; %bb.678:
	v_cvt_f32_f64_e32 v2, v[0:1]
	s_mov_b32 s30, 0x43800000
	v_mov_b32_e32 v6, 0x80
	v_and_b32_e32 v3, 0x7fffffff, v2
	v_cmp_gt_u32_e32 vcc, s30, v3
	s_and_saveexec_b64 s[30:31], vcc
	s_cbranch_execz .LBB6_684
; %bb.679:
	s_mov_b32 s34, 0x3bffffff
	v_cmp_lt_u32_e32 vcc, s34, v3
	s_mov_b64 s[34:35], 0
                                        ; implicit-def: $vgpr3
	s_and_saveexec_b64 s[36:37], vcc
	s_xor_b64 s[36:37], exec, s[36:37]
	s_cbranch_execz .LBB6_785
; %bb.680:
	v_bfe_u32 v3, v2, 20, 1
	s_mov_b32 s41, 0x487ffff
	v_add3_u32 v3, v2, v3, s41
	s_mov_b64 s[34:35], exec
	v_lshrrev_b32_e32 v3, 20, v3
	s_andn2_saveexec_b64 s[36:37], s[36:37]
	s_cbranch_execnz .LBB6_786
.LBB6_681:
	s_or_b64 exec, exec, s[36:37]
	v_mov_b32_e32 v6, 0
	s_and_saveexec_b64 s[36:37], s[34:35]
.LBB6_682:
	v_lshrrev_b32_e32 v2, 24, v2
	s_movk_i32 s34, 0x80
	v_and_or_b32 v6, v2, s34, v3
.LBB6_683:
	s_or_b64 exec, exec, s[36:37]
.LBB6_684:
	s_or_b64 exec, exec, s[30:31]
	global_store_byte v[4:5], v6, off
.LBB6_685:
	s_mov_b64 s[30:31], -1
.LBB6_686:
	s_mov_b64 s[34:35], 0
.LBB6_687:
	s_and_b64 vcc, exec, s[34:35]
	s_cbranch_vccz .LBB6_728
; %bb.688:
	s_cmp_gt_i32 s39, 22
	s_mov_b64 s[34:35], -1
	s_cbranch_scc0 .LBB6_720
; %bb.689:
	s_cmp_lt_i32 s39, 24
	s_mov_b64 s[30:31], -1
	s_cbranch_scc1 .LBB6_709
; %bb.690:
	s_cmp_gt_i32 s39, 24
	s_cbranch_scc0 .LBB6_698
; %bb.691:
	v_cvt_f32_f64_e32 v2, v[0:1]
	s_mov_b32 s30, 0x47800000
	v_mov_b32_e32 v6, 0x80
	v_and_b32_e32 v3, 0x7fffffff, v2
	v_cmp_gt_u32_e32 vcc, s30, v3
	s_and_saveexec_b64 s[30:31], vcc
	s_cbranch_execz .LBB6_697
; %bb.692:
	s_mov_b32 s34, 0x37ffffff
	v_cmp_lt_u32_e32 vcc, s34, v3
	s_mov_b64 s[34:35], 0
                                        ; implicit-def: $vgpr3
	s_and_saveexec_b64 s[36:37], vcc
	s_xor_b64 s[36:37], exec, s[36:37]
	s_cbranch_execz .LBB6_788
; %bb.693:
	v_bfe_u32 v3, v2, 21, 1
	s_mov_b32 s41, 0x88fffff
	v_add3_u32 v3, v2, v3, s41
	s_mov_b64 s[34:35], exec
	v_lshrrev_b32_e32 v3, 21, v3
	s_andn2_saveexec_b64 s[36:37], s[36:37]
	s_cbranch_execnz .LBB6_789
.LBB6_694:
	s_or_b64 exec, exec, s[36:37]
	v_mov_b32_e32 v6, 0
	s_and_saveexec_b64 s[36:37], s[34:35]
.LBB6_695:
	v_lshrrev_b32_e32 v2, 24, v2
	s_movk_i32 s34, 0x80
	v_and_or_b32 v6, v2, s34, v3
.LBB6_696:
	s_or_b64 exec, exec, s[36:37]
.LBB6_697:
	s_or_b64 exec, exec, s[30:31]
	s_mov_b64 s[30:31], 0
	global_store_byte v[4:5], v6, off
.LBB6_698:
	s_and_b64 vcc, exec, s[30:31]
	s_cbranch_vccz .LBB6_708
; %bb.699:
	v_cvt_f32_f64_e32 v2, v[0:1]
	s_mov_b32 s30, 0x43f00000
                                        ; implicit-def: $vgpr3
	v_and_b32_e32 v6, 0x7fffffff, v2
	v_cmp_gt_u32_e32 vcc, s30, v6
	s_and_saveexec_b64 s[30:31], vcc
	s_xor_b64 s[30:31], exec, s[30:31]
	s_cbranch_execz .LBB6_705
; %bb.700:
	s_mov_b32 s34, 0x3c7fffff
	v_cmp_lt_u32_e32 vcc, s34, v6
                                        ; implicit-def: $vgpr3
	s_and_saveexec_b64 s[34:35], vcc
	s_xor_b64 s[34:35], exec, s[34:35]
; %bb.701:
	v_bfe_u32 v3, v2, 20, 1
	s_mov_b32 s36, 0x407ffff
	v_add3_u32 v3, v2, v3, s36
	v_lshrrev_b32_e32 v6, 20, v3
	v_and_b32_e32 v3, 0xff00000, v3
	s_mov_b32 s36, 0x7f00000
	v_mov_b32_e32 v7, 0x7e
	v_cmp_ne_u32_e32 vcc, s36, v3
	v_cndmask_b32_e32 v3, v7, v6, vcc
; %bb.702:
	s_andn2_saveexec_b64 s[34:35], s[34:35]
; %bb.703:
	s_mov_b32 s36, 0x46800000
	v_add_f32_e64 v3, |v2|, s36
; %bb.704:
	s_or_b64 exec, exec, s[34:35]
                                        ; implicit-def: $vgpr6
.LBB6_705:
	s_andn2_saveexec_b64 s[30:31], s[30:31]
; %bb.706:
	s_mov_b32 s34, 0x7f800000
	v_mov_b32_e32 v3, 0x7e
	v_mov_b32_e32 v7, 0x7f
	v_cmp_lt_u32_e32 vcc, s34, v6
	v_cndmask_b32_e32 v3, v3, v7, vcc
; %bb.707:
	s_or_b64 exec, exec, s[30:31]
	v_lshrrev_b32_e32 v2, 24, v2
	s_movk_i32 s30, 0x80
	v_and_or_b32 v2, v2, s30, v3
	global_store_byte v[4:5], v2, off
.LBB6_708:
	s_mov_b64 s[30:31], 0
.LBB6_709:
	s_andn2_b64 vcc, exec, s[30:31]
	s_cbranch_vccnz .LBB6_719
; %bb.710:
	v_cvt_f32_f64_e32 v2, v[0:1]
	s_mov_b32 s30, 0x47800000
                                        ; implicit-def: $vgpr3
	v_and_b32_e32 v6, 0x7fffffff, v2
	v_cmp_gt_u32_e32 vcc, s30, v6
	s_and_saveexec_b64 s[30:31], vcc
	s_xor_b64 s[30:31], exec, s[30:31]
	s_cbranch_execz .LBB6_716
; %bb.711:
	s_mov_b32 s34, 0x387fffff
	v_cmp_lt_u32_e32 vcc, s34, v6
                                        ; implicit-def: $vgpr3
	s_and_saveexec_b64 s[34:35], vcc
	s_xor_b64 s[34:35], exec, s[34:35]
; %bb.712:
	v_bfe_u32 v3, v2, 21, 1
	s_mov_b32 s36, 0x80fffff
	v_add3_u32 v3, v2, v3, s36
	v_lshrrev_b32_e32 v3, 21, v3
; %bb.713:
	s_andn2_saveexec_b64 s[34:35], s[34:35]
; %bb.714:
	s_mov_b32 s36, 0x43000000
	v_add_f32_e64 v3, |v2|, s36
; %bb.715:
	s_or_b64 exec, exec, s[34:35]
                                        ; implicit-def: $vgpr6
.LBB6_716:
	s_andn2_saveexec_b64 s[30:31], s[30:31]
; %bb.717:
	s_mov_b32 s34, 0x7f800000
	v_mov_b32_e32 v3, 0x7c
	v_mov_b32_e32 v7, 0x7f
	v_cmp_lt_u32_e32 vcc, s34, v6
	v_cndmask_b32_e32 v3, v3, v7, vcc
; %bb.718:
	s_or_b64 exec, exec, s[30:31]
	v_lshrrev_b32_e32 v2, 24, v2
	s_movk_i32 s30, 0x80
	v_and_or_b32 v2, v2, s30, v3
	global_store_byte v[4:5], v2, off
.LBB6_719:
	s_mov_b64 s[34:35], 0
	s_mov_b64 s[30:31], -1
.LBB6_720:
	s_andn2_b64 vcc, exec, s[34:35]
	s_cbranch_vccnz .LBB6_728
; %bb.721:
	s_cmp_gt_i32 s39, 14
	s_mov_b64 s[34:35], -1
	s_cbranch_scc0 .LBB6_725
; %bb.722:
	s_cmp_eq_u32 s39, 15
	s_mov_b64 s[0:1], -1
	s_cbranch_scc0 .LBB6_724
; %bb.723:
	v_cvt_f32_f64_e32 v2, v[0:1]
	s_movk_i32 s0, 0x7fff
	v_mov_b32_e32 v3, 0x7fc0
	s_mov_b64 s[30:31], -1
	v_bfe_u32 v6, v2, 16, 1
	v_cmp_o_f32_e32 vcc, v2, v2
	v_add3_u32 v2, v2, v6, s0
	v_cndmask_b32_sdwa v2, v3, v2, vcc dst_sel:DWORD dst_unused:UNUSED_PAD src0_sel:DWORD src1_sel:WORD_1
	global_store_short v[4:5], v2, off
	s_mov_b64 s[0:1], 0
.LBB6_724:
	s_mov_b64 s[34:35], 0
.LBB6_725:
	s_and_b64 vcc, exec, s[34:35]
	s_cbranch_vccz .LBB6_728
; %bb.726:
	s_cmp_eq_u32 s39, 11
	s_mov_b64 s[0:1], -1
	s_cbranch_scc0 .LBB6_728
; %bb.727:
	v_cmp_neq_f64_e32 vcc, 0, v[0:1]
	s_mov_b64 s[0:1], 0
	s_mov_b64 s[30:31], -1
	v_cndmask_b32_e64 v2, 0, 1, vcc
	global_store_byte v[4:5], v2, off
.LBB6_728:
	s_mov_b64 s[34:35], 0
.LBB6_729:
	s_and_b64 vcc, exec, s[34:35]
	s_cbranch_vccz .LBB6_768
; %bb.730:
	s_and_b32 s34, 0xffff, s38
	s_cmp_lt_i32 s34, 5
	s_mov_b64 s[30:31], -1
	s_cbranch_scc1 .LBB6_751
; %bb.731:
	s_cmp_lt_i32 s34, 8
	s_cbranch_scc1 .LBB6_741
; %bb.732:
	s_cmp_lt_i32 s34, 9
	s_cbranch_scc1 .LBB6_738
; %bb.733:
	s_cmp_gt_i32 s34, 9
	s_cbranch_scc0 .LBB6_735
; %bb.734:
	v_mov_b32_e32 v2, 0
	v_mov_b32_e32 v3, v2
	s_mov_b64 s[30:31], 0
	global_store_dwordx4 v[4:5], v[0:3], off
.LBB6_735:
	s_andn2_b64 vcc, exec, s[30:31]
	s_cbranch_vccnz .LBB6_737
; %bb.736:
	v_cvt_f32_f64_e32 v2, v[0:1]
	v_mov_b32_e32 v3, 0
	global_store_dwordx2 v[4:5], v[2:3], off
.LBB6_737:
	s_mov_b64 s[30:31], 0
.LBB6_738:
	s_andn2_b64 vcc, exec, s[30:31]
	s_cbranch_vccnz .LBB6_740
; %bb.739:
	s_movk_i32 s30, 0x1ff
	v_and_or_b32 v2, v1, s30, v0
	v_cmp_ne_u32_e32 vcc, 0, v2
	v_cndmask_b32_e64 v2, 0, 1, vcc
	v_lshrrev_b32_e32 v3, 8, v1
	s_movk_i32 s30, 0xffe
	v_bfe_u32 v6, v1, 20, 11
	v_and_or_b32 v2, v3, s30, v2
	v_sub_u32_e32 v7, 0x3f1, v6
	v_or_b32_e32 v3, 0x1000, v2
	v_med3_i32 v7, v7, 0, 13
	v_lshrrev_b32_e32 v8, v7, v3
	v_lshlrev_b32_e32 v7, v7, v8
	v_cmp_ne_u32_e32 vcc, v7, v3
	v_cndmask_b32_e64 v3, 0, 1, vcc
	v_add_u32_e32 v6, 0xfffffc10, v6
	v_or_b32_e32 v3, v8, v3
	v_lshl_or_b32 v7, v6, 12, v2
	v_cmp_gt_i32_e32 vcc, 1, v6
	v_cndmask_b32_e32 v3, v7, v3, vcc
	v_and_b32_e32 v7, 7, v3
	v_cmp_lt_i32_e32 vcc, 5, v7
	v_cndmask_b32_e64 v8, 0, 1, vcc
	v_cmp_eq_u32_e32 vcc, 3, v7
	v_cndmask_b32_e64 v7, 0, 1, vcc
	v_or_b32_e32 v7, v7, v8
	v_lshrrev_b32_e32 v3, 2, v3
	v_add_u32_e32 v3, v3, v7
	v_mov_b32_e32 v7, 0x7c00
	v_cmp_gt_i32_e32 vcc, 31, v6
	v_cndmask_b32_e32 v3, v7, v3, vcc
	v_mov_b32_e32 v8, 0x7e00
	v_cmp_ne_u32_e32 vcc, 0, v2
	s_movk_i32 s30, 0x40f
	v_cndmask_b32_e32 v2, v7, v8, vcc
	v_cmp_eq_u32_e32 vcc, s30, v6
	v_cndmask_b32_e32 v2, v3, v2, vcc
	v_lshrrev_b32_e32 v3, 16, v1
	s_mov_b32 s30, 0x8000
	v_and_or_b32 v2, v3, s30, v2
	v_and_b32_e32 v2, 0xffff, v2
	global_store_dword v[4:5], v2, off
.LBB6_740:
	s_mov_b64 s[30:31], 0
.LBB6_741:
	s_andn2_b64 vcc, exec, s[30:31]
	s_cbranch_vccnz .LBB6_750
; %bb.742:
	s_cmp_lt_i32 s34, 6
	s_mov_b64 s[30:31], -1
	s_cbranch_scc1 .LBB6_748
; %bb.743:
	s_cmp_gt_i32 s34, 6
	s_cbranch_scc0 .LBB6_745
; %bb.744:
	s_mov_b64 s[30:31], 0
	global_store_dwordx2 v[4:5], v[0:1], off
.LBB6_745:
	s_andn2_b64 vcc, exec, s[30:31]
	s_cbranch_vccnz .LBB6_747
; %bb.746:
	v_cvt_f32_f64_e32 v2, v[0:1]
	global_store_dword v[4:5], v2, off
.LBB6_747:
	s_mov_b64 s[30:31], 0
.LBB6_748:
	s_andn2_b64 vcc, exec, s[30:31]
	s_cbranch_vccnz .LBB6_750
; %bb.749:
	s_movk_i32 s30, 0x1ff
	v_and_or_b32 v2, v1, s30, v0
	v_cmp_ne_u32_e32 vcc, 0, v2
	v_cndmask_b32_e64 v2, 0, 1, vcc
	v_lshrrev_b32_e32 v3, 8, v1
	s_movk_i32 s30, 0xffe
	v_bfe_u32 v6, v1, 20, 11
	v_and_or_b32 v2, v3, s30, v2
	v_sub_u32_e32 v7, 0x3f1, v6
	v_or_b32_e32 v3, 0x1000, v2
	v_med3_i32 v7, v7, 0, 13
	v_lshrrev_b32_e32 v8, v7, v3
	v_lshlrev_b32_e32 v7, v7, v8
	v_cmp_ne_u32_e32 vcc, v7, v3
	v_cndmask_b32_e64 v3, 0, 1, vcc
	v_add_u32_e32 v6, 0xfffffc10, v6
	v_or_b32_e32 v3, v8, v3
	v_lshl_or_b32 v7, v6, 12, v2
	v_cmp_gt_i32_e32 vcc, 1, v6
	v_cndmask_b32_e32 v3, v7, v3, vcc
	v_and_b32_e32 v7, 7, v3
	v_cmp_lt_i32_e32 vcc, 5, v7
	v_cndmask_b32_e64 v8, 0, 1, vcc
	v_cmp_eq_u32_e32 vcc, 3, v7
	v_cndmask_b32_e64 v7, 0, 1, vcc
	v_or_b32_e32 v7, v7, v8
	v_lshrrev_b32_e32 v3, 2, v3
	v_add_u32_e32 v3, v3, v7
	v_mov_b32_e32 v7, 0x7c00
	v_cmp_gt_i32_e32 vcc, 31, v6
	v_cndmask_b32_e32 v3, v7, v3, vcc
	v_mov_b32_e32 v8, 0x7e00
	v_cmp_ne_u32_e32 vcc, 0, v2
	s_movk_i32 s30, 0x40f
	v_cndmask_b32_e32 v2, v7, v8, vcc
	v_cmp_eq_u32_e32 vcc, s30, v6
	v_cndmask_b32_e32 v2, v3, v2, vcc
	v_lshrrev_b32_e32 v3, 16, v1
	s_mov_b32 s30, 0x8000
	v_and_or_b32 v2, v3, s30, v2
	global_store_short v[4:5], v2, off
.LBB6_750:
	s_mov_b64 s[30:31], 0
.LBB6_751:
	s_andn2_b64 vcc, exec, s[30:31]
	s_cbranch_vccnz .LBB6_767
; %bb.752:
	s_cmp_lt_i32 s34, 2
	s_mov_b64 s[30:31], -1
	s_cbranch_scc1 .LBB6_762
; %bb.753:
	s_cmp_lt_i32 s34, 3
	s_cbranch_scc1 .LBB6_759
; %bb.754:
	s_cmp_gt_i32 s34, 3
	s_cbranch_scc0 .LBB6_756
; %bb.755:
	v_trunc_f64_e32 v[2:3], v[0:1]
	s_movk_i32 s30, 0xffe0
	v_ldexp_f64 v[6:7], v[2:3], s30
	s_mov_b32 s30, 0
	s_mov_b32 s31, 0xc1f00000
	v_floor_f64_e32 v[6:7], v[6:7]
	v_fma_f64 v[2:3], v[6:7], s[30:31], v[2:3]
	v_cvt_i32_f64_e32 v7, v[6:7]
	s_mov_b64 s[30:31], 0
	v_cvt_u32_f64_e32 v6, v[2:3]
	global_store_dwordx2 v[4:5], v[6:7], off
.LBB6_756:
	s_andn2_b64 vcc, exec, s[30:31]
	s_cbranch_vccnz .LBB6_758
; %bb.757:
	v_cvt_i32_f64_e32 v2, v[0:1]
	global_store_dword v[4:5], v2, off
.LBB6_758:
	s_mov_b64 s[30:31], 0
.LBB6_759:
	s_andn2_b64 vcc, exec, s[30:31]
	s_cbranch_vccnz .LBB6_761
; %bb.760:
	v_cvt_i32_f64_e32 v2, v[0:1]
	global_store_short v[4:5], v2, off
.LBB6_761:
	s_mov_b64 s[30:31], 0
.LBB6_762:
	s_andn2_b64 vcc, exec, s[30:31]
	s_cbranch_vccnz .LBB6_767
; %bb.763:
	s_cmp_gt_i32 s34, 0
	s_mov_b64 s[30:31], -1
	s_cbranch_scc0 .LBB6_765
; %bb.764:
	v_cvt_i32_f64_e32 v2, v[0:1]
	s_mov_b64 s[30:31], 0
	global_store_byte v[4:5], v2, off
.LBB6_765:
	s_andn2_b64 vcc, exec, s[30:31]
	s_cbranch_vccnz .LBB6_767
; %bb.766:
	v_trunc_f64_e32 v[0:1], v[0:1]
	s_movk_i32 s30, 0xffe0
	v_ldexp_f64 v[2:3], v[0:1], s30
	s_mov_b32 s30, 0
	s_mov_b32 s31, 0xc1f00000
	v_floor_f64_e32 v[2:3], v[2:3]
	v_fma_f64 v[0:1], v[2:3], s[30:31], v[0:1]
	v_cvt_u32_f64_e32 v0, v[0:1]
	global_store_byte v[4:5], v0, off
.LBB6_767:
	s_mov_b64 s[30:31], -1
.LBB6_768:
	s_andn2_b64 vcc, exec, s[30:31]
	s_cbranch_vccnz .LBB6_770
; %bb.769:
	v_add_u32_e32 v10, 0x80, v10
	s_mov_b64 s[34:35], -1
	s_branch .LBB6_771
.LBB6_770:
	s_mov_b64 s[34:35], 0
                                        ; implicit-def: $vgpr10
.LBB6_771:
	s_andn2_b64 s[30:31], s[22:23], exec
	s_and_b64 s[0:1], s[0:1], exec
	s_or_b64 s[30:31], s[30:31], s[0:1]
	s_andn2_b64 s[0:1], s[20:21], exec
	s_and_b64 s[28:29], s[28:29], exec
	s_or_b64 s[0:1], s[0:1], s[28:29]
	s_orn2_b64 s[36:37], s[34:35], exec
.LBB6_772:
	s_or_b64 exec, exec, s[26:27]
	s_mov_b64 s[34:35], 0
	s_mov_b64 s[28:29], 0
	;; [unrolled: 1-line block ×3, first 2 shown]
                                        ; implicit-def: $vgpr0_vgpr1
                                        ; implicit-def: $vgpr2_vgpr3
	s_and_saveexec_b64 s[26:27], s[36:37]
	s_cbranch_execz .LBB6_857
; %bb.773:
	v_cmp_gt_i32_e32 vcc, s40, v10
	s_mov_b64 s[36:37], 0
	s_mov_b64 s[40:41], s[0:1]
	;; [unrolled: 1-line block ×3, first 2 shown]
                                        ; implicit-def: $vgpr0_vgpr1
                                        ; implicit-def: $vgpr2_vgpr3
	s_and_saveexec_b64 s[28:29], vcc
	s_cbranch_execz .LBB6_856
; %bb.774:
	v_mul_lo_u32 v0, v10, s13
	v_mov_b32_e32 v1, s11
	s_and_b32 s45, 0xffff, s44
	s_cmp_lt_i32 s45, 11
	s_waitcnt vmcnt(0)
	v_ashrrev_i32_e32 v2, 31, v0
	v_add_co_u32_e32 v0, vcc, s10, v0
	v_addc_co_u32_e32 v1, vcc, v1, v2, vcc
	s_cbranch_scc1 .LBB6_781
; %bb.775:
	s_cmp_gt_i32 s45, 25
	s_cbranch_scc0 .LBB6_782
; %bb.776:
	s_cmp_gt_i32 s45, 28
	s_cbranch_scc0 .LBB6_783
	;; [unrolled: 3-line block ×4, first 2 shown]
; %bb.779:
	s_cmp_eq_u32 s45, 46
	s_mov_b64 s[40:41], 0
	s_cbranch_scc0 .LBB6_790
; %bb.780:
	global_load_dword v2, v[0:1], off
	s_mov_b64 s[38:39], -1
	s_waitcnt vmcnt(0)
	v_lshlrev_b32_e32 v2, 16, v2
	v_cvt_f64_f32_e32 v[2:3], v2
	s_branch .LBB6_792
.LBB6_781:
	s_mov_b64 s[40:41], -1
                                        ; implicit-def: $vgpr2_vgpr3
	s_mov_b64 s[34:35], s[0:1]
	s_branch .LBB6_855
.LBB6_782:
	s_mov_b64 s[40:41], -1
	s_mov_b64 s[34:35], s[0:1]
                                        ; implicit-def: $vgpr2_vgpr3
	s_branch .LBB6_823
.LBB6_783:
	s_mov_b64 s[40:41], -1
	s_mov_b64 s[34:35], s[0:1]
                                        ; implicit-def: $vgpr2_vgpr3
	s_branch .LBB6_802
.LBB6_784:
	s_mov_b64 s[40:41], -1
	s_mov_b64 s[34:35], s[0:1]
                                        ; implicit-def: $vgpr2_vgpr3
	s_branch .LBB6_797
.LBB6_785:
	s_andn2_saveexec_b64 s[36:37], s[36:37]
	s_cbranch_execz .LBB6_681
.LBB6_786:
	s_mov_b32 s41, 0x46000000
	v_add_f32_e64 v3, |v2|, s41
	v_and_b32_e32 v3, 0xff, v3
	v_cmp_ne_u32_e32 vcc, 0, v3
	s_andn2_b64 s[34:35], s[34:35], exec
	s_and_b64 s[42:43], vcc, exec
	s_or_b64 s[34:35], s[34:35], s[42:43]
	s_or_b64 exec, exec, s[36:37]
	v_mov_b32_e32 v6, 0
	s_and_saveexec_b64 s[36:37], s[34:35]
	s_cbranch_execnz .LBB6_682
	s_branch .LBB6_683
.LBB6_787:
	s_mov_b64 s[40:41], -1
	s_mov_b64 s[34:35], s[0:1]
	s_branch .LBB6_791
.LBB6_788:
	s_andn2_saveexec_b64 s[36:37], s[36:37]
	s_cbranch_execz .LBB6_694
.LBB6_789:
	s_mov_b32 s41, 0x42800000
	v_add_f32_e64 v3, |v2|, s41
	v_and_b32_e32 v3, 0xff, v3
	v_cmp_ne_u32_e32 vcc, 0, v3
	s_andn2_b64 s[34:35], s[34:35], exec
	s_and_b64 s[42:43], vcc, exec
	s_or_b64 s[34:35], s[34:35], s[42:43]
	s_or_b64 exec, exec, s[36:37]
	v_mov_b32_e32 v6, 0
	s_and_saveexec_b64 s[36:37], s[34:35]
	s_cbranch_execnz .LBB6_695
	s_branch .LBB6_696
.LBB6_790:
	s_mov_b64 s[34:35], -1
.LBB6_791:
                                        ; implicit-def: $vgpr2_vgpr3
.LBB6_792:
	s_and_b64 vcc, exec, s[40:41]
	s_cbranch_vccz .LBB6_796
; %bb.793:
	s_cmp_eq_u32 s45, 44
	s_cbranch_scc0 .LBB6_795
; %bb.794:
	global_load_ubyte v4, v[0:1], off
	s_movk_i32 s38, 0xff
	v_bfrev_b32_e32 v5, 4
	v_mov_b32_e32 v6, 0x7ff80000
	v_bfrev_b32_e32 v7, 28
	s_mov_b64 s[34:35], 0
	s_waitcnt vmcnt(0)
	v_lshlrev_b32_e32 v2, 23, v4
	v_cvt_f64_f32_e32 v[2:3], v2
	v_cmp_ne_u32_e32 vcc, s38, v4
	s_mov_b64 s[38:39], -1
	v_cndmask_b32_e32 v2, v5, v2, vcc
	v_cndmask_b32_e32 v3, v6, v3, vcc
	v_cmp_ne_u32_e32 vcc, 0, v4
	v_cndmask_b32_e32 v3, v7, v3, vcc
	v_cndmask_b32_e32 v2, 0, v2, vcc
	s_branch .LBB6_796
.LBB6_795:
	s_mov_b64 s[34:35], -1
                                        ; implicit-def: $vgpr2_vgpr3
.LBB6_796:
	s_mov_b64 s[40:41], 0
.LBB6_797:
	s_and_b64 vcc, exec, s[40:41]
	s_cbranch_vccz .LBB6_801
; %bb.798:
	s_cmp_eq_u32 s45, 29
	s_cbranch_scc0 .LBB6_800
; %bb.799:
	global_load_dwordx2 v[2:3], v[0:1], off
	s_mov_b64 s[34:35], 0
	s_mov_b64 s[38:39], -1
	s_mov_b64 s[40:41], 0
	s_waitcnt vmcnt(0)
	v_cvt_f64_u32_e32 v[3:4], v3
	v_cvt_f64_u32_e32 v[5:6], v2
	v_ldexp_f64 v[3:4], v[3:4], 32
	v_add_f64 v[2:3], v[3:4], v[5:6]
	s_branch .LBB6_802
.LBB6_800:
	s_mov_b64 s[34:35], -1
                                        ; implicit-def: $vgpr2_vgpr3
.LBB6_801:
	s_mov_b64 s[40:41], 0
.LBB6_802:
	s_and_b64 vcc, exec, s[40:41]
	s_cbranch_vccz .LBB6_822
; %bb.803:
	s_cmp_lt_i32 s45, 27
	s_cbranch_scc1 .LBB6_806
; %bb.804:
	s_cmp_gt_i32 s45, 27
	s_cbranch_scc0 .LBB6_807
; %bb.805:
	global_load_dword v2, v[0:1], off
	s_mov_b64 s[38:39], 0
	s_waitcnt vmcnt(0)
	v_cvt_f64_u32_e32 v[2:3], v2
	s_branch .LBB6_808
.LBB6_806:
	s_mov_b64 s[38:39], -1
                                        ; implicit-def: $vgpr2_vgpr3
	s_branch .LBB6_811
.LBB6_807:
	s_mov_b64 s[38:39], -1
                                        ; implicit-def: $vgpr2_vgpr3
.LBB6_808:
	s_andn2_b64 vcc, exec, s[38:39]
	s_cbranch_vccnz .LBB6_810
; %bb.809:
	global_load_ushort v2, v[0:1], off
	s_waitcnt vmcnt(0)
	v_cvt_f64_u32_e32 v[2:3], v2
.LBB6_810:
	s_mov_b64 s[38:39], 0
.LBB6_811:
	s_andn2_b64 vcc, exec, s[38:39]
	s_cbranch_vccnz .LBB6_821
; %bb.812:
	global_load_ubyte v4, v[0:1], off
	s_movk_i32 s38, 0x7f
	s_waitcnt vmcnt(0)
	v_cmp_lt_i16_e32 vcc, s38, v4
	s_mov_b64 s[38:39], 0
	s_and_saveexec_b64 s[40:41], vcc
	s_xor_b64 s[40:41], exec, s[40:41]
	s_cbranch_execz .LBB6_816
; %bb.813:
	s_movk_i32 s38, 0x80
	v_cmp_eq_u16_e32 vcc, s38, v4
	s_mov_b64 s[38:39], -1
	s_and_saveexec_b64 s[42:43], vcc
; %bb.814:
	s_xor_b64 s[38:39], exec, -1
; %bb.815:
	s_or_b64 exec, exec, s[42:43]
	s_and_b64 s[38:39], s[38:39], exec
.LBB6_816:
	s_or_saveexec_b64 s[40:41], s[40:41]
	v_bfrev_b32_e32 v2, 4
	v_mov_b32_e32 v3, 0x7ff80000
	s_xor_b64 exec, exec, s[40:41]
; %bb.817:
	v_cmp_ne_u16_e32 vcc, 0, v4
	v_mov_b32_e32 v2, 0
	s_andn2_b64 s[38:39], s[38:39], exec
	s_and_b64 s[42:43], vcc, exec
	v_mov_b32_e32 v3, 0
	s_or_b64 s[38:39], s[38:39], s[42:43]
; %bb.818:
	s_or_b64 exec, exec, s[40:41]
	s_and_saveexec_b64 s[40:41], s[38:39]
	s_cbranch_execz .LBB6_820
; %bb.819:
	v_and_b32_e32 v3, 0xffff, v4
	v_lshlrev_b32_e32 v2, 24, v4
	v_and_b32_e32 v4, 7, v3
	v_ffbh_u32_e32 v6, v4
	v_min_u32_e32 v6, 32, v6
	v_subrev_u32_e32 v7, 28, v6
	v_bfe_u32 v5, v3, 3, 4
	v_lshlrev_b32_e32 v3, v7, v3
	v_sub_u32_e32 v6, 29, v6
	v_and_b32_e32 v3, 7, v3
	v_cmp_eq_u32_e32 vcc, 0, v5
	v_cndmask_b32_e32 v5, v5, v6, vcc
	v_cndmask_b32_e32 v3, v4, v3, vcc
	v_mov_b32_e32 v4, 0x3b800000
	v_lshlrev_b32_e32 v3, 20, v3
	v_and_b32_e32 v2, 0x80000000, v2
	v_lshl_add_u32 v4, v5, 23, v4
	v_or3_b32 v2, v2, v4, v3
	v_cvt_f64_f32_e32 v[2:3], v2
.LBB6_820:
	s_or_b64 exec, exec, s[40:41]
.LBB6_821:
	s_mov_b64 s[38:39], -1
.LBB6_822:
	s_mov_b64 s[40:41], 0
.LBB6_823:
	s_and_b64 vcc, exec, s[40:41]
	s_cbranch_vccz .LBB6_854
; %bb.824:
	s_cmp_gt_i32 s45, 22
	s_cbranch_scc0 .LBB6_836
; %bb.825:
	s_cmp_lt_i32 s45, 24
	s_cbranch_scc1 .LBB6_837
; %bb.826:
	s_cmp_gt_i32 s45, 24
	s_cbranch_scc0 .LBB6_838
; %bb.827:
	global_load_ubyte v4, v[0:1], off
	s_movk_i32 s36, 0x7f
	s_waitcnt vmcnt(0)
	v_cmp_lt_i16_e32 vcc, s36, v4
	s_mov_b64 s[36:37], 0
	s_and_saveexec_b64 s[38:39], vcc
	s_xor_b64 s[38:39], exec, s[38:39]
	s_cbranch_execz .LBB6_831
; %bb.828:
	s_movk_i32 s36, 0x80
	v_cmp_eq_u16_e32 vcc, s36, v4
	s_mov_b64 s[36:37], -1
	s_and_saveexec_b64 s[40:41], vcc
; %bb.829:
	s_xor_b64 s[36:37], exec, -1
; %bb.830:
	s_or_b64 exec, exec, s[40:41]
	s_and_b64 s[36:37], s[36:37], exec
.LBB6_831:
	s_or_saveexec_b64 s[38:39], s[38:39]
	v_bfrev_b32_e32 v2, 4
	v_mov_b32_e32 v3, 0x7ff80000
	s_xor_b64 exec, exec, s[38:39]
; %bb.832:
	v_cmp_ne_u16_e32 vcc, 0, v4
	v_mov_b32_e32 v2, 0
	s_andn2_b64 s[36:37], s[36:37], exec
	s_and_b64 s[40:41], vcc, exec
	v_mov_b32_e32 v3, 0
	s_or_b64 s[36:37], s[36:37], s[40:41]
; %bb.833:
	s_or_b64 exec, exec, s[38:39]
	s_and_saveexec_b64 s[38:39], s[36:37]
	s_cbranch_execz .LBB6_835
; %bb.834:
	v_and_b32_e32 v3, 0xffff, v4
	v_lshlrev_b32_e32 v2, 24, v4
	v_and_b32_e32 v4, 3, v3
	v_ffbh_u32_e32 v6, v4
	v_min_u32_e32 v6, 32, v6
	v_subrev_u32_e32 v7, 29, v6
	v_bfe_u32 v5, v3, 2, 5
	v_lshlrev_b32_e32 v3, v7, v3
	v_sub_u32_e32 v6, 30, v6
	v_and_b32_e32 v3, 3, v3
	v_cmp_eq_u32_e32 vcc, 0, v5
	v_cndmask_b32_e32 v5, v5, v6, vcc
	v_cndmask_b32_e32 v3, v4, v3, vcc
	v_mov_b32_e32 v4, 0x37800000
	v_lshlrev_b32_e32 v3, 21, v3
	v_and_b32_e32 v2, 0x80000000, v2
	v_lshl_add_u32 v4, v5, 23, v4
	v_or3_b32 v2, v2, v4, v3
	v_cvt_f64_f32_e32 v[2:3], v2
.LBB6_835:
	s_or_b64 exec, exec, s[38:39]
	s_mov_b64 s[36:37], 0
	s_branch .LBB6_839
.LBB6_836:
	s_mov_b64 s[36:37], -1
                                        ; implicit-def: $vgpr2_vgpr3
	s_branch .LBB6_845
.LBB6_837:
	s_mov_b64 s[36:37], -1
                                        ; implicit-def: $vgpr2_vgpr3
	s_branch .LBB6_842
.LBB6_838:
	s_mov_b64 s[36:37], -1
                                        ; implicit-def: $vgpr2_vgpr3
.LBB6_839:
	s_and_b64 vcc, exec, s[36:37]
	s_cbranch_vccz .LBB6_841
; %bb.840:
	global_load_ubyte v2, v[0:1], off
	s_mov_b32 s36, 0x7f800000
	s_waitcnt vmcnt(0)
	v_lshlrev_b32_e32 v2, 24, v2
	v_and_b32_e32 v3, 0x7f000000, v2
	v_ffbh_u32_e32 v4, v3
	v_min_u32_e32 v4, 32, v4
	v_sub_u32_e64 v4, v4, 4 clamp
	v_lshlrev_b32_e32 v6, v4, v3
	v_lshlrev_b32_e32 v4, 23, v4
	v_lshrrev_b32_e32 v6, 4, v6
	v_add_u32_e32 v5, 0x1000000, v3
	v_sub_u32_e32 v4, v6, v4
	v_ashrrev_i32_e32 v5, 8, v5
	v_add_u32_e32 v4, 0x3c000000, v4
	v_and_or_b32 v4, v5, s36, v4
	v_cmp_ne_u32_e32 vcc, 0, v3
	v_cndmask_b32_e32 v3, 0, v4, vcc
	s_brev_b32 s36, 1
	v_and_or_b32 v2, v2, s36, v3
	v_cvt_f64_f32_e32 v[2:3], v2
.LBB6_841:
	s_mov_b64 s[36:37], 0
.LBB6_842:
	s_andn2_b64 vcc, exec, s[36:37]
	s_cbranch_vccnz .LBB6_844
; %bb.843:
	global_load_ubyte v2, v[0:1], off
	s_movk_i32 s36, 0x7f00
	s_brev_b32 s37, 16
	s_waitcnt vmcnt(0)
	v_lshlrev_b16_e32 v3, 8, v2
	v_lshlrev_b32_e32 v2, 25, v2
	v_lshrrev_b32_e32 v4, 4, v2
	v_and_or_b32 v5, v3, s36, 0.5
	v_or_b32_e32 v4, 0x70000000, v4
	v_add_f32_e32 v5, -0.5, v5
	v_mul_f32_e32 v4, 0x7800000, v4
	v_cmp_gt_u32_e32 vcc, s37, v2
	v_bfe_i32 v3, v3, 0, 16
	v_cndmask_b32_e32 v2, v4, v5, vcc
	s_brev_b32 s36, 1
	v_and_or_b32 v2, v3, s36, v2
	v_cvt_f64_f32_e32 v[2:3], v2
.LBB6_844:
	s_mov_b64 s[36:37], 0
	s_mov_b64 s[38:39], -1
.LBB6_845:
	s_andn2_b64 vcc, exec, s[36:37]
	s_mov_b64 s[36:37], 0
	s_cbranch_vccnz .LBB6_854
; %bb.846:
	s_cmp_gt_i32 s45, 14
	s_cbranch_scc0 .LBB6_849
; %bb.847:
	s_cmp_eq_u32 s45, 15
	s_cbranch_scc0 .LBB6_850
; %bb.848:
	global_load_ushort v2, v[0:1], off
	s_mov_b64 s[34:35], 0
	s_mov_b64 s[38:39], -1
	s_waitcnt vmcnt(0)
	v_lshlrev_b32_e32 v2, 16, v2
	v_cvt_f64_f32_e32 v[2:3], v2
	s_branch .LBB6_851
.LBB6_849:
	s_mov_b64 s[40:41], -1
                                        ; implicit-def: $vgpr2_vgpr3
	s_branch .LBB6_852
.LBB6_850:
	s_mov_b64 s[34:35], -1
                                        ; implicit-def: $vgpr2_vgpr3
.LBB6_851:
	s_mov_b64 s[40:41], 0
.LBB6_852:
	s_and_b64 vcc, exec, s[40:41]
	s_cbranch_vccz .LBB6_854
; %bb.853:
	s_cmp_lg_u32 s45, 11
	s_cselect_b64 s[40:41], -1, 0
	s_andn2_b64 s[34:35], s[34:35], exec
	s_and_b64 s[40:41], s[40:41], exec
	s_mov_b64 s[36:37], -1
	s_or_b64 s[34:35], s[34:35], s[40:41]
.LBB6_854:
	s_mov_b64 s[40:41], 0
.LBB6_855:
	s_and_b64 s[42:43], s[40:41], exec
	s_andn2_b64 s[40:41], s[0:1], exec
	s_and_b64 s[34:35], s[34:35], exec
	s_and_b64 s[38:39], s[38:39], exec
	;; [unrolled: 1-line block ×3, first 2 shown]
	s_or_b64 s[40:41], s[40:41], s[34:35]
.LBB6_856:
	s_or_b64 exec, exec, s[28:29]
	s_and_b64 s[34:35], s[36:37], exec
	s_andn2_b64 s[0:1], s[0:1], exec
	s_and_b64 s[36:37], s[40:41], exec
	s_and_b64 s[38:39], s[38:39], exec
	;; [unrolled: 1-line block ×3, first 2 shown]
	s_or_b64 s[0:1], s[0:1], s[36:37]
.LBB6_857:
	s_or_b64 exec, exec, s[26:27]
	s_andn2_b64 s[22:23], s[22:23], exec
	s_and_b64 s[26:27], s[30:31], exec
	s_andn2_b64 s[20:21], s[20:21], exec
	s_and_b64 s[0:1], s[0:1], exec
	s_or_b64 s[22:23], s[22:23], s[26:27]
	s_and_b64 s[30:31], s[38:39], exec
	s_and_b64 s[28:29], s[28:29], exec
	;; [unrolled: 1-line block ×3, first 2 shown]
	s_or_b64 s[20:21], s[20:21], s[0:1]
.LBB6_858:
	s_or_b64 exec, exec, s[24:25]
	s_andn2_b64 s[0:1], s[6:7], exec
	s_and_b64 s[6:7], s[22:23], exec
	s_andn2_b64 s[16:17], s[16:17], exec
	s_and_b64 s[20:21], s[20:21], exec
	s_or_b64 s[6:7], s[0:1], s[6:7]
	s_and_b64 s[0:1], s[30:31], exec
	s_and_b64 s[24:25], s[28:29], exec
	;; [unrolled: 1-line block ×3, first 2 shown]
	s_or_b64 s[16:17], s[16:17], s[20:21]
	s_or_b64 exec, exec, s[18:19]
	s_mov_b64 s[18:19], 0
	s_and_saveexec_b64 s[20:21], s[16:17]
	s_cbranch_execz .LBB6_262
.LBB6_859:
	s_mov_b64 s[18:19], exec
	s_andn2_b64 s[22:23], s[22:23], exec
	s_trap 2
	s_or_b64 exec, exec, s[20:21]
	s_and_saveexec_b64 s[16:17], s[22:23]
	s_xor_b64 s[16:17], exec, s[16:17]
	s_cbranch_execnz .LBB6_263
.LBB6_860:
	s_or_b64 exec, exec, s[16:17]
	s_and_saveexec_b64 s[16:17], s[24:25]
	s_cbranch_execz .LBB6_906
.LBB6_861:
	s_sext_i32_i16 s20, s44
	s_cmp_lt_i32 s20, 5
	s_cbranch_scc1 .LBB6_866
; %bb.862:
	s_cmp_lt_i32 s20, 8
	s_cbranch_scc1 .LBB6_867
; %bb.863:
	;; [unrolled: 3-line block ×3, first 2 shown]
	s_cmp_gt_i32 s20, 9
	s_cbranch_scc0 .LBB6_869
; %bb.865:
	global_load_dwordx2 v[2:3], v[0:1], off
	s_mov_b64 s[20:21], 0
	s_branch .LBB6_870
.LBB6_866:
                                        ; implicit-def: $vgpr2_vgpr3
	s_branch .LBB6_887
.LBB6_867:
                                        ; implicit-def: $vgpr2_vgpr3
	s_branch .LBB6_876
.LBB6_868:
	s_mov_b64 s[20:21], -1
                                        ; implicit-def: $vgpr2_vgpr3
	s_branch .LBB6_873
.LBB6_869:
	s_mov_b64 s[20:21], -1
                                        ; implicit-def: $vgpr2_vgpr3
.LBB6_870:
	s_andn2_b64 vcc, exec, s[20:21]
	s_cbranch_vccnz .LBB6_872
; %bb.871:
	global_load_dword v2, v[0:1], off
	s_waitcnt vmcnt(0)
	v_cvt_f64_f32_e32 v[2:3], v2
.LBB6_872:
	s_mov_b64 s[20:21], 0
.LBB6_873:
	s_andn2_b64 vcc, exec, s[20:21]
	s_cbranch_vccnz .LBB6_875
; %bb.874:
	global_load_dword v2, v[0:1], off
	s_waitcnt vmcnt(0)
	v_cvt_f32_f16_e32 v2, v2
	v_cvt_f64_f32_e32 v[2:3], v2
.LBB6_875:
	s_cbranch_execnz .LBB6_886
.LBB6_876:
	s_sext_i32_i16 s20, s44
	s_cmp_lt_i32 s20, 6
	s_cbranch_scc1 .LBB6_879
; %bb.877:
	s_cmp_gt_i32 s20, 6
	s_cbranch_scc0 .LBB6_880
; %bb.878:
	global_load_dwordx2 v[2:3], v[0:1], off
	s_mov_b64 s[20:21], 0
	s_branch .LBB6_881
.LBB6_879:
	s_mov_b64 s[20:21], -1
                                        ; implicit-def: $vgpr2_vgpr3
	s_branch .LBB6_884
.LBB6_880:
	s_mov_b64 s[20:21], -1
                                        ; implicit-def: $vgpr2_vgpr3
.LBB6_881:
	s_andn2_b64 vcc, exec, s[20:21]
	s_cbranch_vccnz .LBB6_883
; %bb.882:
	global_load_dword v2, v[0:1], off
	s_waitcnt vmcnt(0)
	v_cvt_f64_f32_e32 v[2:3], v2
.LBB6_883:
	s_mov_b64 s[20:21], 0
.LBB6_884:
	s_andn2_b64 vcc, exec, s[20:21]
	s_cbranch_vccnz .LBB6_886
; %bb.885:
	global_load_ushort v2, v[0:1], off
	s_waitcnt vmcnt(0)
	v_cvt_f32_f16_e32 v2, v2
	v_cvt_f64_f32_e32 v[2:3], v2
.LBB6_886:
	s_cbranch_execnz .LBB6_905
.LBB6_887:
	s_sext_i32_i16 s20, s44
	s_cmp_lt_i32 s20, 2
	s_cbranch_scc1 .LBB6_891
; %bb.888:
	s_cmp_lt_i32 s20, 3
	s_cbranch_scc1 .LBB6_892
; %bb.889:
	s_cmp_gt_i32 s20, 3
	s_cbranch_scc0 .LBB6_893
; %bb.890:
	global_load_dwordx2 v[2:3], v[0:1], off
	s_mov_b64 s[20:21], 0
	s_waitcnt vmcnt(0)
	v_cvt_f64_i32_e32 v[3:4], v3
	v_cvt_f64_u32_e32 v[5:6], v2
	v_ldexp_f64 v[3:4], v[3:4], 32
	v_add_f64 v[2:3], v[3:4], v[5:6]
	s_branch .LBB6_894
.LBB6_891:
                                        ; implicit-def: $vgpr2_vgpr3
	s_branch .LBB6_900
.LBB6_892:
	s_mov_b64 s[20:21], -1
                                        ; implicit-def: $vgpr2_vgpr3
	s_branch .LBB6_897
.LBB6_893:
	s_mov_b64 s[20:21], -1
                                        ; implicit-def: $vgpr2_vgpr3
.LBB6_894:
	s_andn2_b64 vcc, exec, s[20:21]
	s_cbranch_vccnz .LBB6_896
; %bb.895:
	global_load_dword v2, v[0:1], off
	s_waitcnt vmcnt(0)
	v_cvt_f64_i32_e32 v[2:3], v2
.LBB6_896:
	s_mov_b64 s[20:21], 0
.LBB6_897:
	s_andn2_b64 vcc, exec, s[20:21]
	s_cbranch_vccnz .LBB6_899
; %bb.898:
	global_load_sshort v2, v[0:1], off
	s_waitcnt vmcnt(0)
	v_cvt_f64_i32_e32 v[2:3], v2
.LBB6_899:
	s_cbranch_execnz .LBB6_905
.LBB6_900:
	s_sext_i32_i16 s20, s44
	s_cmp_gt_i32 s20, 0
	s_cbranch_scc0 .LBB6_902
; %bb.901:
	global_load_sbyte v2, v[0:1], off
	s_mov_b64 s[20:21], 0
	s_waitcnt vmcnt(0)
	v_cvt_f64_i32_e32 v[2:3], v2
	s_branch .LBB6_903
.LBB6_902:
	s_mov_b64 s[20:21], -1
                                        ; implicit-def: $vgpr2_vgpr3
.LBB6_903:
	s_andn2_b64 vcc, exec, s[20:21]
	s_cbranch_vccnz .LBB6_905
; %bb.904:
	global_load_ubyte v0, v[0:1], off
	s_waitcnt vmcnt(0)
	v_cvt_f64_u32_e32 v[2:3], v0
.LBB6_905:
	s_or_b64 s[0:1], s[0:1], exec
.LBB6_906:
	s_or_b64 exec, exec, s[16:17]
	s_mov_b64 s[22:23], 0
	s_mov_b64 s[20:21], 0
                                        ; implicit-def: $sgpr28
                                        ; implicit-def: $vgpr4_vgpr5
                                        ; implicit-def: $vgpr0_vgpr1
	s_and_saveexec_b64 s[16:17], s[0:1]
	s_cbranch_execz .LBB6_914
; %bb.907:
	s_waitcnt vmcnt(0)
	v_cmp_nge_f64_e64 s[0:1], v[2:3], -s[14:15]
	v_cmp_nge_f64_e32 vcc, s[14:15], v[2:3]
	v_mul_lo_u32 v4, v10, s12
	v_mov_b32_e32 v5, s9
	s_and_b32 s28, s33, 0xff
	v_ashrrev_i32_e32 v6, 31, v4
	s_or_b64 vcc, s[0:1], vcc
	v_cndmask_b32_e32 v1, 0, v3, vcc
	v_cndmask_b32_e32 v0, 0, v2, vcc
	v_add_co_u32_e32 v4, vcc, s8, v4
	s_cmp_lt_i32 s28, 11
	v_addc_co_u32_e32 v5, vcc, v5, v6, vcc
	s_cbranch_scc1 .LBB6_917
; %bb.908:
	s_and_b32 s29, 0xffff, s28
	s_mov_b64 s[22:23], -1
	s_cmp_gt_i32 s29, 25
	s_mov_b64 s[0:1], s[6:7]
	s_cbranch_scc0 .LBB6_945
; %bb.909:
	s_mov_b64 s[20:21], -1
	s_cmp_gt_i32 s29, 28
	s_mov_b64 s[0:1], s[6:7]
	s_cbranch_scc0 .LBB6_929
; %bb.910:
	s_cmp_gt_i32 s29, 43
	s_mov_b64 s[0:1], s[6:7]
	s_cbranch_scc0 .LBB6_925
; %bb.911:
	;; [unrolled: 4-line block ×3, first 2 shown]
	s_cmp_eq_u32 s29, 46
	s_mov_b64 s[0:1], -1
	s_cbranch_scc0 .LBB6_918
; %bb.913:
	v_cvt_f32_f64_e32 v2, v[0:1]
	s_movk_i32 s0, 0x7fff
	v_mov_b32_e32 v3, 0x7fc0
	s_mov_b64 s[20:21], 0
	v_bfe_u32 v6, v2, 16, 1
	v_cmp_o_f32_e32 vcc, v2, v2
	v_add3_u32 v2, v2, v6, s0
	v_cndmask_b32_sdwa v2, v3, v2, vcc dst_sel:DWORD dst_unused:UNUSED_PAD src0_sel:DWORD src1_sel:WORD_1
	global_store_dword v[4:5], v2, off
	s_mov_b64 s[0:1], 0
	s_branch .LBB6_919
.LBB6_914:
	s_or_b64 exec, exec, s[16:17]
	s_and_saveexec_b64 s[0:1], s[6:7]
	s_cbranch_execnz .LBB6_987
.LBB6_915:
	s_or_b64 exec, exec, s[0:1]
	s_and_saveexec_b64 s[0:1], s[22:23]
	s_xor_b64 s[0:1], exec, s[0:1]
	s_cbranch_execz .LBB6_988
.LBB6_916:
	v_cmp_neq_f64_e32 vcc, 0, v[0:1]
	s_waitcnt vmcnt(0)
	v_cndmask_b32_e64 v2, 0, 1, vcc
	global_store_byte v[4:5], v2, off
	s_or_b64 exec, exec, s[0:1]
	s_and_saveexec_b64 s[0:1], s[20:21]
	s_xor_b64 s[0:1], exec, s[0:1]
	s_cbranch_execz .LBB6_1026
	s_branch .LBB6_989
.LBB6_917:
	s_mov_b64 s[20:21], -1
	s_mov_b64 s[0:1], s[6:7]
	s_branch .LBB6_986
.LBB6_918:
	s_mov_b64 s[20:21], 0
.LBB6_919:
	s_and_b64 vcc, exec, s[20:21]
	s_cbranch_vccz .LBB6_924
; %bb.920:
	s_cmp_eq_u32 s29, 44
	s_mov_b64 s[0:1], -1
	s_cbranch_scc0 .LBB6_924
; %bb.921:
	v_cvt_f32_f64_e32 v2, v[0:1]
	s_movk_i32 s0, 0xff
	v_mov_b32_e32 v6, 0xff
	v_bfe_u32 v3, v2, 23, 8
	v_cmp_ne_u32_e32 vcc, s0, v3
	s_and_saveexec_b64 s[20:21], vcc
; %bb.922:
	s_mov_b32 s0, 0x3fffff
	v_lshrrev_b32_e32 v6, 23, v2
	v_and_b32_e32 v7, 0x400000, v2
	v_and_or_b32 v2, v2, s0, v3
	v_cmp_ne_u32_e32 vcc, 0, v7
	v_cmp_ne_u32_e64 s[0:1], 0, v2
	s_and_b64 s[0:1], vcc, s[0:1]
	v_cndmask_b32_e64 v2, 0, 1, s[0:1]
	v_add_u32_e32 v6, v6, v2
; %bb.923:
	s_or_b64 exec, exec, s[20:21]
	s_mov_b64 s[0:1], 0
	global_store_byte v[4:5], v6, off
.LBB6_924:
	s_mov_b64 s[20:21], 0
.LBB6_925:
	s_and_b64 vcc, exec, s[20:21]
	s_cbranch_vccz .LBB6_928
; %bb.926:
	s_cmp_eq_u32 s29, 29
	s_mov_b64 s[0:1], -1
	s_cbranch_scc0 .LBB6_928
; %bb.927:
	v_trunc_f64_e32 v[2:3], v[0:1]
	s_movk_i32 s0, 0xffe0
	s_mov_b64 s[20:21], 0
	v_ldexp_f64 v[6:7], v[2:3], s0
	s_mov_b32 s0, 0
	s_mov_b32 s1, 0xc1f00000
	v_floor_f64_e32 v[6:7], v[6:7]
	v_fma_f64 v[2:3], v[6:7], s[0:1], v[2:3]
	v_cvt_u32_f64_e32 v7, v[6:7]
	s_mov_b64 s[0:1], 0
	v_cvt_u32_f64_e32 v6, v[2:3]
	global_store_dwordx2 v[4:5], v[6:7], off
	s_branch .LBB6_929
.LBB6_928:
	s_mov_b64 s[20:21], 0
.LBB6_929:
	s_and_b64 vcc, exec, s[20:21]
	s_cbranch_vccz .LBB6_944
; %bb.930:
	s_cmp_lt_i32 s29, 27
	s_mov_b64 s[20:21], -1
	s_cbranch_scc1 .LBB6_936
; %bb.931:
	v_cvt_u32_f64_e32 v2, v[0:1]
	s_cmp_gt_i32 s29, 27
	s_cbranch_scc0 .LBB6_933
; %bb.932:
	s_mov_b64 s[20:21], 0
	global_store_dword v[4:5], v2, off
.LBB6_933:
	s_andn2_b64 vcc, exec, s[20:21]
	s_cbranch_vccnz .LBB6_935
; %bb.934:
	global_store_short v[4:5], v2, off
.LBB6_935:
	s_mov_b64 s[20:21], 0
.LBB6_936:
	s_andn2_b64 vcc, exec, s[20:21]
	s_cbranch_vccnz .LBB6_944
; %bb.937:
	v_cvt_f32_f64_e32 v2, v[0:1]
	s_mov_b32 s20, 0x43800000
	v_mov_b32_e32 v6, 0x80
	v_and_b32_e32 v3, 0x7fffffff, v2
	v_cmp_gt_u32_e32 vcc, s20, v3
	s_and_saveexec_b64 s[20:21], vcc
	s_cbranch_execz .LBB6_943
; %bb.938:
	s_mov_b32 s22, 0x3bffffff
	v_cmp_lt_u32_e32 vcc, s22, v3
	s_mov_b64 s[22:23], 0
                                        ; implicit-def: $vgpr3
	s_and_saveexec_b64 s[24:25], vcc
	s_xor_b64 s[24:25], exec, s[24:25]
	s_cbranch_execz .LBB6_1041
; %bb.939:
	v_bfe_u32 v3, v2, 20, 1
	s_mov_b32 s26, 0x487ffff
	v_add3_u32 v3, v2, v3, s26
	s_mov_b64 s[22:23], exec
	v_lshrrev_b32_e32 v3, 20, v3
	s_andn2_saveexec_b64 s[24:25], s[24:25]
	s_cbranch_execnz .LBB6_1042
.LBB6_940:
	s_or_b64 exec, exec, s[24:25]
	v_mov_b32_e32 v6, 0
	s_and_saveexec_b64 s[24:25], s[22:23]
.LBB6_941:
	v_lshrrev_b32_e32 v2, 24, v2
	s_movk_i32 s22, 0x80
	v_and_or_b32 v6, v2, s22, v3
.LBB6_942:
	s_or_b64 exec, exec, s[24:25]
.LBB6_943:
	s_or_b64 exec, exec, s[20:21]
	global_store_byte v[4:5], v6, off
.LBB6_944:
	s_mov_b64 s[22:23], 0
.LBB6_945:
	s_mov_b64 s[20:21], 0
	s_and_b64 vcc, exec, s[22:23]
	s_cbranch_vccz .LBB6_985
; %bb.946:
	s_cmp_gt_i32 s29, 22
	s_mov_b64 s[22:23], -1
	s_cbranch_scc0 .LBB6_978
; %bb.947:
	s_cmp_lt_i32 s29, 24
	s_cbranch_scc1 .LBB6_967
; %bb.948:
	s_cmp_gt_i32 s29, 24
	s_cbranch_scc0 .LBB6_956
; %bb.949:
	v_cvt_f32_f64_e32 v2, v[0:1]
	s_mov_b32 s22, 0x47800000
	v_mov_b32_e32 v6, 0x80
	v_and_b32_e32 v3, 0x7fffffff, v2
	v_cmp_gt_u32_e32 vcc, s22, v3
	s_and_saveexec_b64 s[22:23], vcc
	s_cbranch_execz .LBB6_955
; %bb.950:
	s_mov_b32 s24, 0x37ffffff
	v_cmp_lt_u32_e32 vcc, s24, v3
	s_mov_b64 s[24:25], 0
                                        ; implicit-def: $vgpr3
	s_and_saveexec_b64 s[26:27], vcc
	s_xor_b64 s[26:27], exec, s[26:27]
	s_cbranch_execz .LBB6_1166
; %bb.951:
	v_bfe_u32 v3, v2, 21, 1
	s_mov_b32 s30, 0x88fffff
	v_add3_u32 v3, v2, v3, s30
	s_mov_b64 s[24:25], exec
	v_lshrrev_b32_e32 v3, 21, v3
	s_andn2_saveexec_b64 s[26:27], s[26:27]
	s_cbranch_execnz .LBB6_1167
.LBB6_952:
	s_or_b64 exec, exec, s[26:27]
	v_mov_b32_e32 v6, 0
	s_and_saveexec_b64 s[26:27], s[24:25]
.LBB6_953:
	v_lshrrev_b32_e32 v2, 24, v2
	s_movk_i32 s24, 0x80
	v_and_or_b32 v6, v2, s24, v3
.LBB6_954:
	s_or_b64 exec, exec, s[26:27]
.LBB6_955:
	s_or_b64 exec, exec, s[22:23]
	s_mov_b64 s[22:23], 0
	global_store_byte v[4:5], v6, off
.LBB6_956:
	s_and_b64 vcc, exec, s[22:23]
	s_cbranch_vccz .LBB6_966
; %bb.957:
	v_cvt_f32_f64_e32 v2, v[0:1]
	s_mov_b32 s22, 0x43f00000
                                        ; implicit-def: $vgpr3
	v_and_b32_e32 v6, 0x7fffffff, v2
	v_cmp_gt_u32_e32 vcc, s22, v6
	s_and_saveexec_b64 s[22:23], vcc
	s_xor_b64 s[22:23], exec, s[22:23]
	s_cbranch_execz .LBB6_963
; %bb.958:
	s_mov_b32 s24, 0x3c7fffff
	v_cmp_lt_u32_e32 vcc, s24, v6
                                        ; implicit-def: $vgpr3
	s_and_saveexec_b64 s[24:25], vcc
	s_xor_b64 s[24:25], exec, s[24:25]
; %bb.959:
	v_bfe_u32 v3, v2, 20, 1
	s_mov_b32 s26, 0x407ffff
	v_add3_u32 v3, v2, v3, s26
	v_lshrrev_b32_e32 v6, 20, v3
	v_and_b32_e32 v3, 0xff00000, v3
	s_mov_b32 s26, 0x7f00000
	v_mov_b32_e32 v7, 0x7e
	v_cmp_ne_u32_e32 vcc, s26, v3
	v_cndmask_b32_e32 v3, v7, v6, vcc
; %bb.960:
	s_andn2_saveexec_b64 s[24:25], s[24:25]
; %bb.961:
	s_mov_b32 s26, 0x46800000
	v_add_f32_e64 v3, |v2|, s26
; %bb.962:
	s_or_b64 exec, exec, s[24:25]
                                        ; implicit-def: $vgpr6
.LBB6_963:
	s_andn2_saveexec_b64 s[22:23], s[22:23]
; %bb.964:
	s_mov_b32 s24, 0x7f800000
	v_mov_b32_e32 v3, 0x7e
	v_mov_b32_e32 v7, 0x7f
	v_cmp_lt_u32_e32 vcc, s24, v6
	v_cndmask_b32_e32 v3, v3, v7, vcc
; %bb.965:
	s_or_b64 exec, exec, s[22:23]
	v_lshrrev_b32_e32 v2, 24, v2
	s_movk_i32 s22, 0x80
	v_and_or_b32 v2, v2, s22, v3
	global_store_byte v[4:5], v2, off
.LBB6_966:
	s_mov_b64 s[22:23], 0
.LBB6_967:
	s_andn2_b64 vcc, exec, s[22:23]
	s_cbranch_vccnz .LBB6_977
; %bb.968:
	v_cvt_f32_f64_e32 v2, v[0:1]
	s_mov_b32 s22, 0x47800000
                                        ; implicit-def: $vgpr3
	v_and_b32_e32 v6, 0x7fffffff, v2
	v_cmp_gt_u32_e32 vcc, s22, v6
	s_and_saveexec_b64 s[22:23], vcc
	s_xor_b64 s[22:23], exec, s[22:23]
	s_cbranch_execz .LBB6_974
; %bb.969:
	s_mov_b32 s24, 0x387fffff
	v_cmp_lt_u32_e32 vcc, s24, v6
                                        ; implicit-def: $vgpr3
	s_and_saveexec_b64 s[24:25], vcc
	s_xor_b64 s[24:25], exec, s[24:25]
; %bb.970:
	v_bfe_u32 v3, v2, 21, 1
	s_mov_b32 s26, 0x80fffff
	v_add3_u32 v3, v2, v3, s26
	v_lshrrev_b32_e32 v3, 21, v3
; %bb.971:
	s_andn2_saveexec_b64 s[24:25], s[24:25]
; %bb.972:
	s_mov_b32 s26, 0x43000000
	v_add_f32_e64 v3, |v2|, s26
; %bb.973:
	s_or_b64 exec, exec, s[24:25]
                                        ; implicit-def: $vgpr6
.LBB6_974:
	s_andn2_saveexec_b64 s[22:23], s[22:23]
; %bb.975:
	s_mov_b32 s24, 0x7f800000
	v_mov_b32_e32 v3, 0x7c
	v_mov_b32_e32 v7, 0x7f
	v_cmp_lt_u32_e32 vcc, s24, v6
	v_cndmask_b32_e32 v3, v3, v7, vcc
; %bb.976:
	s_or_b64 exec, exec, s[22:23]
	v_lshrrev_b32_e32 v2, 24, v2
	s_movk_i32 s22, 0x80
	v_and_or_b32 v2, v2, s22, v3
	global_store_byte v[4:5], v2, off
.LBB6_977:
	s_mov_b64 s[22:23], 0
.LBB6_978:
	s_andn2_b64 vcc, exec, s[22:23]
	s_mov_b64 s[22:23], 0
	s_cbranch_vccnz .LBB6_986
; %bb.979:
	s_cmp_gt_i32 s29, 14
	s_mov_b64 s[24:25], -1
	s_cbranch_scc0 .LBB6_983
; %bb.980:
	s_cmp_eq_u32 s29, 15
	s_mov_b64 s[0:1], -1
	s_cbranch_scc0 .LBB6_982
; %bb.981:
	v_cvt_f32_f64_e32 v2, v[0:1]
	s_movk_i32 s0, 0x7fff
	v_mov_b32_e32 v3, 0x7fc0
	v_bfe_u32 v6, v2, 16, 1
	v_cmp_o_f32_e32 vcc, v2, v2
	v_add3_u32 v2, v2, v6, s0
	v_cndmask_b32_sdwa v2, v3, v2, vcc dst_sel:DWORD dst_unused:UNUSED_PAD src0_sel:DWORD src1_sel:WORD_1
	global_store_short v[4:5], v2, off
	s_mov_b64 s[0:1], 0
.LBB6_982:
	s_mov_b64 s[24:25], 0
.LBB6_983:
	s_and_b64 vcc, exec, s[24:25]
	s_cbranch_vccz .LBB6_986
; %bb.984:
	s_cmp_lg_u32 s29, 11
	s_cselect_b64 s[24:25], -1, 0
	s_andn2_b64 s[0:1], s[0:1], exec
	s_and_b64 s[24:25], s[24:25], exec
	s_mov_b64 s[22:23], -1
	s_or_b64 s[0:1], s[0:1], s[24:25]
	s_branch .LBB6_986
.LBB6_985:
	s_mov_b64 s[22:23], 0
.LBB6_986:
	s_andn2_b64 s[6:7], s[6:7], exec
	s_and_b64 s[0:1], s[0:1], exec
	s_and_b64 s[20:21], s[20:21], exec
	;; [unrolled: 1-line block ×3, first 2 shown]
	s_or_b64 s[6:7], s[6:7], s[0:1]
	s_or_b64 exec, exec, s[16:17]
	s_and_saveexec_b64 s[0:1], s[6:7]
	s_cbranch_execz .LBB6_915
.LBB6_987:
	s_or_b64 s[18:19], s[18:19], exec
	s_andn2_b64 s[22:23], s[22:23], exec
	s_trap 2
	s_or_b64 exec, exec, s[0:1]
	s_and_saveexec_b64 s[0:1], s[22:23]
	s_xor_b64 s[0:1], exec, s[0:1]
	s_cbranch_execnz .LBB6_916
.LBB6_988:
	s_or_b64 exec, exec, s[0:1]
	s_and_saveexec_b64 s[0:1], s[20:21]
	s_xor_b64 s[0:1], exec, s[0:1]
	s_cbranch_execz .LBB6_1026
.LBB6_989:
	s_sext_i32_i16 s16, s28
	s_cmp_lt_i32 s16, 5
	s_mov_b64 s[6:7], -1
	s_cbranch_scc1 .LBB6_1010
; %bb.990:
	s_cmp_lt_i32 s16, 8
	s_cbranch_scc1 .LBB6_1000
; %bb.991:
	s_cmp_lt_i32 s16, 9
	s_cbranch_scc1 .LBB6_997
; %bb.992:
	s_cmp_gt_i32 s16, 9
	s_cbranch_scc0 .LBB6_994
; %bb.993:
	s_waitcnt vmcnt(0)
	v_mov_b32_e32 v2, 0
	v_mov_b32_e32 v3, v2
	s_mov_b64 s[6:7], 0
	global_store_dwordx4 v[4:5], v[0:3], off
.LBB6_994:
	s_andn2_b64 vcc, exec, s[6:7]
	s_cbranch_vccnz .LBB6_996
; %bb.995:
	s_waitcnt vmcnt(0)
	v_cvt_f32_f64_e32 v2, v[0:1]
	v_mov_b32_e32 v3, 0
	global_store_dwordx2 v[4:5], v[2:3], off
.LBB6_996:
	s_mov_b64 s[6:7], 0
.LBB6_997:
	s_andn2_b64 vcc, exec, s[6:7]
	s_cbranch_vccnz .LBB6_999
; %bb.998:
	s_movk_i32 s6, 0x1ff
	s_waitcnt vmcnt(0)
	v_and_or_b32 v2, v1, s6, v0
	v_cmp_ne_u32_e32 vcc, 0, v2
	v_cndmask_b32_e64 v2, 0, 1, vcc
	v_lshrrev_b32_e32 v3, 8, v1
	s_movk_i32 s6, 0xffe
	v_bfe_u32 v6, v1, 20, 11
	v_and_or_b32 v2, v3, s6, v2
	v_sub_u32_e32 v7, 0x3f1, v6
	v_or_b32_e32 v3, 0x1000, v2
	v_med3_i32 v7, v7, 0, 13
	v_lshrrev_b32_e32 v8, v7, v3
	v_lshlrev_b32_e32 v7, v7, v8
	v_cmp_ne_u32_e32 vcc, v7, v3
	v_cndmask_b32_e64 v3, 0, 1, vcc
	v_add_u32_e32 v6, 0xfffffc10, v6
	v_or_b32_e32 v3, v8, v3
	v_lshl_or_b32 v7, v6, 12, v2
	v_cmp_gt_i32_e32 vcc, 1, v6
	v_cndmask_b32_e32 v3, v7, v3, vcc
	v_and_b32_e32 v7, 7, v3
	v_cmp_lt_i32_e32 vcc, 5, v7
	v_cndmask_b32_e64 v8, 0, 1, vcc
	v_cmp_eq_u32_e32 vcc, 3, v7
	v_cndmask_b32_e64 v7, 0, 1, vcc
	v_or_b32_e32 v7, v7, v8
	v_lshrrev_b32_e32 v3, 2, v3
	v_add_u32_e32 v3, v3, v7
	v_mov_b32_e32 v7, 0x7c00
	v_cmp_gt_i32_e32 vcc, 31, v6
	v_cndmask_b32_e32 v3, v7, v3, vcc
	v_mov_b32_e32 v8, 0x7e00
	v_cmp_ne_u32_e32 vcc, 0, v2
	s_movk_i32 s6, 0x40f
	v_cndmask_b32_e32 v2, v7, v8, vcc
	v_cmp_eq_u32_e32 vcc, s6, v6
	v_cndmask_b32_e32 v2, v3, v2, vcc
	v_lshrrev_b32_e32 v3, 16, v1
	s_mov_b32 s6, 0x8000
	v_and_or_b32 v2, v3, s6, v2
	v_and_b32_e32 v2, 0xffff, v2
	global_store_dword v[4:5], v2, off
.LBB6_999:
	s_mov_b64 s[6:7], 0
.LBB6_1000:
	s_andn2_b64 vcc, exec, s[6:7]
	s_cbranch_vccnz .LBB6_1009
; %bb.1001:
	s_sext_i32_i16 s16, s28
	s_cmp_lt_i32 s16, 6
	s_mov_b64 s[6:7], -1
	s_cbranch_scc1 .LBB6_1007
; %bb.1002:
	s_cmp_gt_i32 s16, 6
	s_cbranch_scc0 .LBB6_1004
; %bb.1003:
	s_mov_b64 s[6:7], 0
	global_store_dwordx2 v[4:5], v[0:1], off
.LBB6_1004:
	s_andn2_b64 vcc, exec, s[6:7]
	s_cbranch_vccnz .LBB6_1006
; %bb.1005:
	s_waitcnt vmcnt(0)
	v_cvt_f32_f64_e32 v2, v[0:1]
	global_store_dword v[4:5], v2, off
.LBB6_1006:
	s_mov_b64 s[6:7], 0
.LBB6_1007:
	s_andn2_b64 vcc, exec, s[6:7]
	s_cbranch_vccnz .LBB6_1009
; %bb.1008:
	s_movk_i32 s6, 0x1ff
	s_waitcnt vmcnt(0)
	v_and_or_b32 v2, v1, s6, v0
	v_cmp_ne_u32_e32 vcc, 0, v2
	v_cndmask_b32_e64 v2, 0, 1, vcc
	v_lshrrev_b32_e32 v3, 8, v1
	s_movk_i32 s6, 0xffe
	v_bfe_u32 v6, v1, 20, 11
	v_and_or_b32 v2, v3, s6, v2
	v_sub_u32_e32 v7, 0x3f1, v6
	v_or_b32_e32 v3, 0x1000, v2
	v_med3_i32 v7, v7, 0, 13
	v_lshrrev_b32_e32 v8, v7, v3
	v_lshlrev_b32_e32 v7, v7, v8
	v_cmp_ne_u32_e32 vcc, v7, v3
	v_cndmask_b32_e64 v3, 0, 1, vcc
	v_add_u32_e32 v6, 0xfffffc10, v6
	v_or_b32_e32 v3, v8, v3
	v_lshl_or_b32 v7, v6, 12, v2
	v_cmp_gt_i32_e32 vcc, 1, v6
	v_cndmask_b32_e32 v3, v7, v3, vcc
	v_and_b32_e32 v7, 7, v3
	v_cmp_lt_i32_e32 vcc, 5, v7
	v_cndmask_b32_e64 v8, 0, 1, vcc
	v_cmp_eq_u32_e32 vcc, 3, v7
	v_cndmask_b32_e64 v7, 0, 1, vcc
	v_or_b32_e32 v7, v7, v8
	v_lshrrev_b32_e32 v3, 2, v3
	v_add_u32_e32 v3, v3, v7
	v_mov_b32_e32 v7, 0x7c00
	v_cmp_gt_i32_e32 vcc, 31, v6
	v_cndmask_b32_e32 v3, v7, v3, vcc
	v_mov_b32_e32 v8, 0x7e00
	v_cmp_ne_u32_e32 vcc, 0, v2
	s_movk_i32 s6, 0x40f
	v_cndmask_b32_e32 v2, v7, v8, vcc
	v_cmp_eq_u32_e32 vcc, s6, v6
	v_cndmask_b32_e32 v2, v3, v2, vcc
	v_lshrrev_b32_e32 v3, 16, v1
	s_mov_b32 s6, 0x8000
	v_and_or_b32 v2, v3, s6, v2
	global_store_short v[4:5], v2, off
.LBB6_1009:
	s_mov_b64 s[6:7], 0
.LBB6_1010:
	s_andn2_b64 vcc, exec, s[6:7]
	s_cbranch_vccnz .LBB6_1026
; %bb.1011:
	s_sext_i32_i16 s16, s28
	s_cmp_lt_i32 s16, 2
	s_mov_b64 s[6:7], -1
	s_cbranch_scc1 .LBB6_1021
; %bb.1012:
	s_cmp_lt_i32 s16, 3
	s_cbranch_scc1 .LBB6_1018
; %bb.1013:
	s_cmp_gt_i32 s16, 3
	s_cbranch_scc0 .LBB6_1015
; %bb.1014:
	s_waitcnt vmcnt(0)
	v_trunc_f64_e32 v[2:3], v[0:1]
	s_movk_i32 s6, 0xffe0
	v_ldexp_f64 v[6:7], v[2:3], s6
	s_mov_b32 s6, 0
	s_mov_b32 s7, 0xc1f00000
	v_floor_f64_e32 v[6:7], v[6:7]
	v_fma_f64 v[2:3], v[6:7], s[6:7], v[2:3]
	v_cvt_i32_f64_e32 v7, v[6:7]
	s_mov_b64 s[6:7], 0
	v_cvt_u32_f64_e32 v6, v[2:3]
	global_store_dwordx2 v[4:5], v[6:7], off
.LBB6_1015:
	s_andn2_b64 vcc, exec, s[6:7]
	s_cbranch_vccnz .LBB6_1017
; %bb.1016:
	s_waitcnt vmcnt(0)
	v_cvt_i32_f64_e32 v2, v[0:1]
	global_store_dword v[4:5], v2, off
.LBB6_1017:
	s_mov_b64 s[6:7], 0
.LBB6_1018:
	s_andn2_b64 vcc, exec, s[6:7]
	s_cbranch_vccnz .LBB6_1020
; %bb.1019:
	s_waitcnt vmcnt(0)
	v_cvt_i32_f64_e32 v2, v[0:1]
	global_store_short v[4:5], v2, off
.LBB6_1020:
	s_mov_b64 s[6:7], 0
.LBB6_1021:
	s_andn2_b64 vcc, exec, s[6:7]
	s_cbranch_vccnz .LBB6_1026
; %bb.1022:
	s_sext_i32_i16 s6, s28
	s_cmp_gt_i32 s6, 0
	s_mov_b64 s[6:7], -1
	s_cbranch_scc0 .LBB6_1024
; %bb.1023:
	s_waitcnt vmcnt(0)
	v_cvt_i32_f64_e32 v2, v[0:1]
	s_mov_b64 s[6:7], 0
	global_store_byte v[4:5], v2, off
.LBB6_1024:
	s_andn2_b64 vcc, exec, s[6:7]
	s_cbranch_vccnz .LBB6_1026
; %bb.1025:
	v_trunc_f64_e32 v[0:1], v[0:1]
	s_movk_i32 s6, 0xffe0
	s_waitcnt vmcnt(0)
	v_ldexp_f64 v[2:3], v[0:1], s6
	s_mov_b32 s6, 0
	s_mov_b32 s7, 0xc1f00000
	v_floor_f64_e32 v[2:3], v[2:3]
	v_fma_f64 v[0:1], v[2:3], s[6:7], v[0:1]
	v_cvt_u32_f64_e32 v0, v[0:1]
	global_store_byte v[4:5], v0, off
.LBB6_1026:
	s_or_b64 exec, exec, s[0:1]
	s_and_b64 s[6:7], s[18:19], exec
                                        ; implicit-def: $vgpr10
.LBB6_1027:
	s_or_saveexec_b64 s[4:5], s[4:5]
	s_mov_b64 s[0:1], 0
                                        ; implicit-def: $sgpr22
                                        ; implicit-def: $vgpr4_vgpr5
                                        ; implicit-def: $vgpr0_vgpr1
	s_xor_b64 exec, exec, s[4:5]
	s_cbranch_execz .LBB6_1975
; %bb.1028:
	v_mul_lo_u32 v4, s13, v10
	v_mov_b32_e32 v0, s11
	s_and_b32 s24, 0xffff, s44
	s_cmp_lt_i32 s24, 11
	v_ashrrev_i32_e32 v1, 31, v4
	s_waitcnt vmcnt(0)
	v_add_co_u32_e32 v2, vcc, s10, v4
	v_addc_co_u32_e32 v3, vcc, v0, v1, vcc
	s_cbranch_scc1 .LBB6_1035
; %bb.1029:
	s_cmp_gt_i32 s24, 25
	s_cbranch_scc0 .LBB6_1037
; %bb.1030:
	s_cmp_gt_i32 s24, 28
	s_cbranch_scc0 .LBB6_1038
	;; [unrolled: 3-line block ×4, first 2 shown]
; %bb.1033:
	s_cmp_eq_u32 s24, 46
	s_mov_b64 s[16:17], 0
	s_cbranch_scc0 .LBB6_1043
; %bb.1034:
	global_load_dword v0, v[2:3], off
	s_mov_b64 s[18:19], -1
	s_waitcnt vmcnt(0)
	v_lshlrev_b32_e32 v0, 16, v0
	v_cvt_f64_f32_e32 v[0:1], v0
	s_branch .LBB6_1044
.LBB6_1035:
	s_mov_b64 s[18:19], 0
                                        ; implicit-def: $vgpr0_vgpr1
	s_mov_b64 s[16:17], s[6:7]
	s_cbranch_execnz .LBB6_1107
.LBB6_1036:
	s_andn2_b64 vcc, exec, s[18:19]
                                        ; implicit-def: $vgpr2_vgpr3
	s_cbranch_vccz .LBB6_1152
	s_branch .LBB6_1973
.LBB6_1037:
	s_mov_b64 s[18:19], 0
                                        ; implicit-def: $vgpr0_vgpr1
	s_cbranch_execnz .LBB6_1074
	s_branch .LBB6_1103
.LBB6_1038:
	s_mov_b64 s[16:17], -1
	s_mov_b64 s[18:19], 0
                                        ; implicit-def: $vgpr0_vgpr1
	s_branch .LBB6_1053
.LBB6_1039:
	s_mov_b64 s[18:19], 0
                                        ; implicit-def: $vgpr0_vgpr1
	s_cbranch_execnz .LBB6_1049
	s_branch .LBB6_1052
.LBB6_1040:
	s_mov_b64 s[16:17], -1
	s_mov_b64 s[18:19], 0
                                        ; implicit-def: $vgpr0_vgpr1
	s_branch .LBB6_1044
.LBB6_1041:
	s_andn2_saveexec_b64 s[24:25], s[24:25]
	s_cbranch_execz .LBB6_940
.LBB6_1042:
	s_mov_b32 s26, 0x46000000
	v_add_f32_e64 v3, |v2|, s26
	v_and_b32_e32 v3, 0xff, v3
	v_cmp_ne_u32_e32 vcc, 0, v3
	s_andn2_b64 s[22:23], s[22:23], exec
	s_and_b64 s[26:27], vcc, exec
	s_or_b64 s[22:23], s[22:23], s[26:27]
	s_or_b64 exec, exec, s[24:25]
	v_mov_b32_e32 v6, 0
	s_and_saveexec_b64 s[24:25], s[22:23]
	s_cbranch_execnz .LBB6_941
	s_branch .LBB6_942
.LBB6_1043:
	s_mov_b64 s[0:1], -1
                                        ; implicit-def: $vgpr0_vgpr1
	s_mov_b64 s[18:19], 0
.LBB6_1044:
	s_and_b64 vcc, exec, s[16:17]
	s_cbranch_vccz .LBB6_1047
; %bb.1045:
	s_cmp_eq_u32 s24, 44
	s_cbranch_scc0 .LBB6_1048
; %bb.1046:
	global_load_ubyte v5, v[2:3], off
	s_movk_i32 s16, 0xff
	v_bfrev_b32_e32 v6, 4
	v_mov_b32_e32 v7, 0x7ff80000
	v_bfrev_b32_e32 v8, 28
	s_mov_b64 s[0:1], 0
	s_mov_b64 s[18:19], -1
	s_waitcnt vmcnt(0)
	v_lshlrev_b32_e32 v0, 23, v5
	v_cvt_f64_f32_e32 v[0:1], v0
	v_cmp_ne_u32_e32 vcc, s16, v5
	v_cndmask_b32_e32 v0, v6, v0, vcc
	v_cndmask_b32_e32 v1, v7, v1, vcc
	v_cmp_ne_u32_e32 vcc, 0, v5
	v_cndmask_b32_e32 v1, v8, v1, vcc
	v_cndmask_b32_e32 v0, 0, v0, vcc
.LBB6_1047:
	s_branch .LBB6_1052
.LBB6_1048:
	s_mov_b64 s[0:1], -1
                                        ; implicit-def: $vgpr0_vgpr1
	s_branch .LBB6_1052
.LBB6_1049:
	s_cmp_eq_u32 s24, 29
	s_cbranch_scc0 .LBB6_1051
; %bb.1050:
	global_load_dwordx2 v[0:1], v[2:3], off
	s_mov_b64 s[0:1], 0
	s_mov_b64 s[18:19], -1
	s_mov_b64 s[16:17], 0
	s_waitcnt vmcnt(0)
	v_cvt_f64_u32_e32 v[5:6], v1
	v_cvt_f64_u32_e32 v[0:1], v0
	v_ldexp_f64 v[5:6], v[5:6], 32
	v_add_f64 v[0:1], v[5:6], v[0:1]
	s_branch .LBB6_1053
.LBB6_1051:
	s_mov_b64 s[0:1], -1
                                        ; implicit-def: $vgpr0_vgpr1
.LBB6_1052:
	s_mov_b64 s[16:17], 0
.LBB6_1053:
	s_and_b64 vcc, exec, s[16:17]
	s_cbranch_vccz .LBB6_1073
; %bb.1054:
	s_cmp_lt_i32 s24, 27
	s_cbranch_scc1 .LBB6_1057
; %bb.1055:
	s_cmp_gt_i32 s24, 27
	s_cbranch_scc0 .LBB6_1058
; %bb.1056:
	global_load_dword v0, v[2:3], off
	s_mov_b64 s[16:17], 0
	s_waitcnt vmcnt(0)
	v_cvt_f64_u32_e32 v[0:1], v0
	s_branch .LBB6_1059
.LBB6_1057:
	s_mov_b64 s[16:17], -1
                                        ; implicit-def: $vgpr0_vgpr1
	s_branch .LBB6_1062
.LBB6_1058:
	s_mov_b64 s[16:17], -1
                                        ; implicit-def: $vgpr0_vgpr1
.LBB6_1059:
	s_andn2_b64 vcc, exec, s[16:17]
	s_cbranch_vccnz .LBB6_1061
; %bb.1060:
	global_load_ushort v0, v[2:3], off
	s_waitcnt vmcnt(0)
	v_cvt_f64_u32_e32 v[0:1], v0
.LBB6_1061:
	s_mov_b64 s[16:17], 0
.LBB6_1062:
	s_andn2_b64 vcc, exec, s[16:17]
	s_cbranch_vccnz .LBB6_1072
; %bb.1063:
	global_load_ubyte v5, v[2:3], off
	s_movk_i32 s16, 0x7f
	s_waitcnt vmcnt(0)
	v_cmp_lt_i16_e32 vcc, s16, v5
	s_mov_b64 s[16:17], 0
	s_and_saveexec_b64 s[18:19], vcc
	s_xor_b64 s[18:19], exec, s[18:19]
	s_cbranch_execz .LBB6_1067
; %bb.1064:
	s_movk_i32 s16, 0x80
	v_cmp_eq_u16_e32 vcc, s16, v5
	s_mov_b64 s[16:17], -1
	s_and_saveexec_b64 s[20:21], vcc
; %bb.1065:
	s_xor_b64 s[16:17], exec, -1
; %bb.1066:
	s_or_b64 exec, exec, s[20:21]
	s_and_b64 s[16:17], s[16:17], exec
.LBB6_1067:
	s_or_saveexec_b64 s[18:19], s[18:19]
	v_bfrev_b32_e32 v0, 4
	v_mov_b32_e32 v1, 0x7ff80000
	s_xor_b64 exec, exec, s[18:19]
; %bb.1068:
	v_cmp_ne_u16_e32 vcc, 0, v5
	v_mov_b32_e32 v0, 0
	s_andn2_b64 s[16:17], s[16:17], exec
	s_and_b64 s[20:21], vcc, exec
	v_mov_b32_e32 v1, 0
	s_or_b64 s[16:17], s[16:17], s[20:21]
; %bb.1069:
	s_or_b64 exec, exec, s[18:19]
	s_and_saveexec_b64 s[18:19], s[16:17]
	s_cbranch_execz .LBB6_1071
; %bb.1070:
	v_and_b32_e32 v1, 0xffff, v5
	v_lshlrev_b32_e32 v0, 24, v5
	v_and_b32_e32 v5, 7, v1
	v_ffbh_u32_e32 v7, v5
	v_min_u32_e32 v7, 32, v7
	v_subrev_u32_e32 v8, 28, v7
	v_bfe_u32 v6, v1, 3, 4
	v_lshlrev_b32_e32 v1, v8, v1
	v_sub_u32_e32 v7, 29, v7
	v_and_b32_e32 v1, 7, v1
	v_cmp_eq_u32_e32 vcc, 0, v6
	v_cndmask_b32_e32 v6, v6, v7, vcc
	v_cndmask_b32_e32 v1, v5, v1, vcc
	v_mov_b32_e32 v5, 0x3b800000
	v_lshlrev_b32_e32 v1, 20, v1
	v_and_b32_e32 v0, 0x80000000, v0
	v_lshl_add_u32 v5, v6, 23, v5
	v_or3_b32 v0, v0, v5, v1
	v_cvt_f64_f32_e32 v[0:1], v0
.LBB6_1071:
	s_or_b64 exec, exec, s[18:19]
.LBB6_1072:
	s_mov_b64 s[18:19], -1
.LBB6_1073:
	s_branch .LBB6_1103
.LBB6_1074:
	s_cmp_gt_i32 s24, 22
	s_cbranch_scc0 .LBB6_1086
; %bb.1075:
	s_cmp_lt_i32 s24, 24
	s_cbranch_scc1 .LBB6_1087
; %bb.1076:
	s_cmp_gt_i32 s24, 24
	s_cbranch_scc0 .LBB6_1088
; %bb.1077:
	global_load_ubyte v5, v[2:3], off
	s_movk_i32 s2, 0x7f
	s_waitcnt vmcnt(0)
	v_cmp_lt_i16_e32 vcc, s2, v5
	s_mov_b64 s[2:3], 0
	s_and_saveexec_b64 s[16:17], vcc
	s_xor_b64 s[16:17], exec, s[16:17]
	s_cbranch_execz .LBB6_1081
; %bb.1078:
	s_movk_i32 s2, 0x80
	v_cmp_eq_u16_e32 vcc, s2, v5
	s_mov_b64 s[2:3], -1
	s_and_saveexec_b64 s[18:19], vcc
; %bb.1079:
	s_xor_b64 s[2:3], exec, -1
; %bb.1080:
	s_or_b64 exec, exec, s[18:19]
	s_and_b64 s[2:3], s[2:3], exec
.LBB6_1081:
	s_or_saveexec_b64 s[16:17], s[16:17]
	v_bfrev_b32_e32 v0, 4
	v_mov_b32_e32 v1, 0x7ff80000
	s_xor_b64 exec, exec, s[16:17]
; %bb.1082:
	v_cmp_ne_u16_e32 vcc, 0, v5
	v_mov_b32_e32 v0, 0
	s_andn2_b64 s[2:3], s[2:3], exec
	s_and_b64 s[18:19], vcc, exec
	v_mov_b32_e32 v1, 0
	s_or_b64 s[2:3], s[2:3], s[18:19]
; %bb.1083:
	s_or_b64 exec, exec, s[16:17]
	s_and_saveexec_b64 s[16:17], s[2:3]
	s_cbranch_execz .LBB6_1085
; %bb.1084:
	v_and_b32_e32 v1, 0xffff, v5
	v_lshlrev_b32_e32 v0, 24, v5
	v_and_b32_e32 v5, 3, v1
	v_ffbh_u32_e32 v7, v5
	v_min_u32_e32 v7, 32, v7
	v_subrev_u32_e32 v8, 29, v7
	v_bfe_u32 v6, v1, 2, 5
	v_lshlrev_b32_e32 v1, v8, v1
	v_sub_u32_e32 v7, 30, v7
	v_and_b32_e32 v1, 3, v1
	v_cmp_eq_u32_e32 vcc, 0, v6
	v_cndmask_b32_e32 v6, v6, v7, vcc
	v_cndmask_b32_e32 v1, v5, v1, vcc
	v_mov_b32_e32 v5, 0x37800000
	v_lshlrev_b32_e32 v1, 21, v1
	v_and_b32_e32 v0, 0x80000000, v0
	v_lshl_add_u32 v5, v6, 23, v5
	v_or3_b32 v0, v0, v5, v1
	v_cvt_f64_f32_e32 v[0:1], v0
.LBB6_1085:
	s_or_b64 exec, exec, s[16:17]
	s_mov_b64 s[2:3], 0
	s_branch .LBB6_1089
.LBB6_1086:
                                        ; implicit-def: $vgpr0_vgpr1
	s_mov_b64 s[2:3], 0
	s_branch .LBB6_1095
.LBB6_1087:
	s_mov_b64 s[2:3], -1
                                        ; implicit-def: $vgpr0_vgpr1
	s_branch .LBB6_1092
.LBB6_1088:
	s_mov_b64 s[2:3], -1
                                        ; implicit-def: $vgpr0_vgpr1
.LBB6_1089:
	s_and_b64 vcc, exec, s[2:3]
	s_cbranch_vccz .LBB6_1091
; %bb.1090:
	global_load_ubyte v0, v[2:3], off
	s_mov_b32 s2, 0x7f800000
	s_waitcnt vmcnt(0)
	v_lshlrev_b32_e32 v0, 24, v0
	v_and_b32_e32 v1, 0x7f000000, v0
	v_ffbh_u32_e32 v5, v1
	v_min_u32_e32 v5, 32, v5
	v_sub_u32_e64 v5, v5, 4 clamp
	v_lshlrev_b32_e32 v7, v5, v1
	v_lshlrev_b32_e32 v5, 23, v5
	v_lshrrev_b32_e32 v7, 4, v7
	v_add_u32_e32 v6, 0x1000000, v1
	v_sub_u32_e32 v5, v7, v5
	v_ashrrev_i32_e32 v6, 8, v6
	v_add_u32_e32 v5, 0x3c000000, v5
	v_and_or_b32 v5, v6, s2, v5
	v_cmp_ne_u32_e32 vcc, 0, v1
	v_cndmask_b32_e32 v1, 0, v5, vcc
	s_brev_b32 s2, 1
	v_and_or_b32 v0, v0, s2, v1
	v_cvt_f64_f32_e32 v[0:1], v0
.LBB6_1091:
	s_mov_b64 s[2:3], 0
.LBB6_1092:
	s_andn2_b64 vcc, exec, s[2:3]
	s_cbranch_vccnz .LBB6_1094
; %bb.1093:
	global_load_ubyte v0, v[2:3], off
	s_movk_i32 s2, 0x7f00
	s_brev_b32 s3, 16
	s_waitcnt vmcnt(0)
	v_lshlrev_b16_e32 v1, 8, v0
	v_lshlrev_b32_e32 v0, 25, v0
	v_lshrrev_b32_e32 v5, 4, v0
	v_and_or_b32 v6, v1, s2, 0.5
	v_or_b32_e32 v5, 0x70000000, v5
	v_add_f32_e32 v6, -0.5, v6
	v_mul_f32_e32 v5, 0x7800000, v5
	v_cmp_gt_u32_e32 vcc, s3, v0
	v_bfe_i32 v1, v1, 0, 16
	v_cndmask_b32_e32 v0, v5, v6, vcc
	s_brev_b32 s2, 1
	v_and_or_b32 v0, v1, s2, v0
	v_cvt_f64_f32_e32 v[0:1], v0
.LBB6_1094:
	s_mov_b64 s[18:19], -1
	s_mov_b64 s[2:3], 0
	s_cbranch_execnz .LBB6_1103
.LBB6_1095:
	s_cmp_gt_i32 s24, 14
	s_cbranch_scc0 .LBB6_1098
; %bb.1096:
	s_cmp_eq_u32 s24, 15
	s_cbranch_scc0 .LBB6_1099
; %bb.1097:
	global_load_ushort v0, v[2:3], off
	s_mov_b64 s[0:1], 0
	s_mov_b64 s[18:19], -1
	s_waitcnt vmcnt(0)
	v_lshlrev_b32_e32 v0, 16, v0
	v_cvt_f64_f32_e32 v[0:1], v0
	s_branch .LBB6_1100
.LBB6_1098:
	s_mov_b64 s[16:17], -1
                                        ; implicit-def: $vgpr0_vgpr1
	s_branch .LBB6_1101
.LBB6_1099:
	s_mov_b64 s[0:1], -1
                                        ; implicit-def: $vgpr0_vgpr1
.LBB6_1100:
	s_mov_b64 s[16:17], 0
.LBB6_1101:
	s_and_b64 vcc, exec, s[16:17]
	s_cbranch_vccz .LBB6_1103
; %bb.1102:
	s_cmp_lg_u32 s24, 11
	s_mov_b64 s[2:3], -1
	s_cselect_b64 s[0:1], -1, 0
.LBB6_1103:
	s_and_b64 vcc, exec, s[0:1]
	s_mov_b64 s[16:17], s[6:7]
	s_cbranch_vccnz .LBB6_1164
; %bb.1104:
	s_andn2_b64 vcc, exec, s[2:3]
	s_cbranch_vccnz .LBB6_1106
.LBB6_1105:
	global_load_ubyte v1, v[2:3], off
	v_mov_b32_e32 v5, 0x3ff00000
	v_mov_b32_e32 v0, 0
	s_mov_b64 s[18:19], -1
	s_waitcnt vmcnt(0)
	v_cmp_ne_u16_e32 vcc, 0, v1
	v_cndmask_b32_e32 v1, 0, v5, vcc
.LBB6_1106:
	s_branch .LBB6_1036
.LBB6_1107:
	s_cmp_lt_i32 s24, 5
	s_cbranch_scc1 .LBB6_1112
; %bb.1108:
	s_cmp_lt_i32 s24, 8
	s_cbranch_scc1 .LBB6_1113
; %bb.1109:
	;; [unrolled: 3-line block ×3, first 2 shown]
	s_cmp_gt_i32 s24, 9
	s_cbranch_scc0 .LBB6_1115
; %bb.1111:
	global_load_dwordx2 v[0:1], v[2:3], off
	s_mov_b64 s[0:1], 0
	s_branch .LBB6_1116
.LBB6_1112:
                                        ; implicit-def: $vgpr0_vgpr1
	s_branch .LBB6_1133
.LBB6_1113:
                                        ; implicit-def: $vgpr0_vgpr1
	s_branch .LBB6_1122
.LBB6_1114:
	s_mov_b64 s[0:1], -1
                                        ; implicit-def: $vgpr0_vgpr1
	s_branch .LBB6_1119
.LBB6_1115:
	s_mov_b64 s[0:1], -1
                                        ; implicit-def: $vgpr0_vgpr1
.LBB6_1116:
	s_andn2_b64 vcc, exec, s[0:1]
	s_cbranch_vccnz .LBB6_1118
; %bb.1117:
	global_load_dword v0, v[2:3], off
	s_waitcnt vmcnt(0)
	v_cvt_f64_f32_e32 v[0:1], v0
.LBB6_1118:
	s_mov_b64 s[0:1], 0
.LBB6_1119:
	s_andn2_b64 vcc, exec, s[0:1]
	s_cbranch_vccnz .LBB6_1121
; %bb.1120:
	global_load_dword v0, v[2:3], off
	s_waitcnt vmcnt(0)
	v_cvt_f32_f16_e32 v0, v0
	v_cvt_f64_f32_e32 v[0:1], v0
.LBB6_1121:
	s_cbranch_execnz .LBB6_1132
.LBB6_1122:
	s_cmp_lt_i32 s24, 6
	s_cbranch_scc1 .LBB6_1125
; %bb.1123:
	s_cmp_gt_i32 s24, 6
	s_cbranch_scc0 .LBB6_1126
; %bb.1124:
	global_load_dwordx2 v[0:1], v[2:3], off
	s_mov_b64 s[0:1], 0
	s_branch .LBB6_1127
.LBB6_1125:
	s_mov_b64 s[0:1], -1
                                        ; implicit-def: $vgpr0_vgpr1
	s_branch .LBB6_1130
.LBB6_1126:
	s_mov_b64 s[0:1], -1
                                        ; implicit-def: $vgpr0_vgpr1
.LBB6_1127:
	s_andn2_b64 vcc, exec, s[0:1]
	s_cbranch_vccnz .LBB6_1129
; %bb.1128:
	global_load_dword v0, v[2:3], off
	s_waitcnt vmcnt(0)
	v_cvt_f64_f32_e32 v[0:1], v0
.LBB6_1129:
	s_mov_b64 s[0:1], 0
.LBB6_1130:
	s_andn2_b64 vcc, exec, s[0:1]
	s_cbranch_vccnz .LBB6_1132
; %bb.1131:
	global_load_ushort v0, v[2:3], off
	s_waitcnt vmcnt(0)
	v_cvt_f32_f16_e32 v0, v0
	v_cvt_f64_f32_e32 v[0:1], v0
.LBB6_1132:
	s_cbranch_execnz .LBB6_1151
.LBB6_1133:
	s_cmp_lt_i32 s24, 2
	s_cbranch_scc1 .LBB6_1137
; %bb.1134:
	s_cmp_lt_i32 s24, 3
	s_cbranch_scc1 .LBB6_1138
; %bb.1135:
	s_cmp_gt_i32 s24, 3
	s_cbranch_scc0 .LBB6_1139
; %bb.1136:
	global_load_dwordx2 v[0:1], v[2:3], off
	s_mov_b64 s[0:1], 0
	s_waitcnt vmcnt(0)
	v_cvt_f64_i32_e32 v[5:6], v1
	v_cvt_f64_u32_e32 v[0:1], v0
	v_ldexp_f64 v[5:6], v[5:6], 32
	v_add_f64 v[0:1], v[5:6], v[0:1]
	s_branch .LBB6_1140
.LBB6_1137:
                                        ; implicit-def: $vgpr0_vgpr1
	s_branch .LBB6_1146
.LBB6_1138:
	s_mov_b64 s[0:1], -1
                                        ; implicit-def: $vgpr0_vgpr1
	s_branch .LBB6_1143
.LBB6_1139:
	s_mov_b64 s[0:1], -1
                                        ; implicit-def: $vgpr0_vgpr1
.LBB6_1140:
	s_andn2_b64 vcc, exec, s[0:1]
	s_cbranch_vccnz .LBB6_1142
; %bb.1141:
	global_load_dword v0, v[2:3], off
	s_waitcnt vmcnt(0)
	v_cvt_f64_i32_e32 v[0:1], v0
.LBB6_1142:
	s_mov_b64 s[0:1], 0
.LBB6_1143:
	s_andn2_b64 vcc, exec, s[0:1]
	s_cbranch_vccnz .LBB6_1145
; %bb.1144:
	global_load_sshort v0, v[2:3], off
	s_waitcnt vmcnt(0)
	v_cvt_f64_i32_e32 v[0:1], v0
.LBB6_1145:
	s_cbranch_execnz .LBB6_1151
.LBB6_1146:
	s_cmp_gt_i32 s24, 0
	s_cbranch_scc0 .LBB6_1148
; %bb.1147:
	global_load_sbyte v0, v[2:3], off
	s_mov_b64 s[0:1], 0
	s_waitcnt vmcnt(0)
	v_cvt_f64_i32_e32 v[0:1], v0
	s_branch .LBB6_1149
.LBB6_1148:
	s_mov_b64 s[0:1], -1
                                        ; implicit-def: $vgpr0_vgpr1
.LBB6_1149:
	s_andn2_b64 vcc, exec, s[0:1]
	s_cbranch_vccnz .LBB6_1151
; %bb.1150:
	global_load_ubyte v0, v[2:3], off
	s_waitcnt vmcnt(0)
	v_cvt_f64_u32_e32 v[0:1], v0
.LBB6_1151:
                                        ; implicit-def: $vgpr2_vgpr3
.LBB6_1152:
	s_lshl_b32 s13, s13, 7
	v_add_u32_e32 v4, s13, v4
	v_ashrrev_i32_e32 v3, 31, v4
	v_mov_b32_e32 v5, s11
	v_add_co_u32_e32 v2, vcc, s10, v4
	s_cmp_lt_i32 s24, 11
	v_addc_co_u32_e32 v3, vcc, v5, v3, vcc
	s_cbranch_scc1 .LBB6_1159
; %bb.1153:
	s_cmp_gt_i32 s24, 25
	s_mov_b64 s[2:3], 0
	s_cbranch_scc0 .LBB6_1161
; %bb.1154:
	s_cmp_gt_i32 s24, 28
	s_cbranch_scc0 .LBB6_1162
; %bb.1155:
	s_cmp_gt_i32 s24, 43
	;; [unrolled: 3-line block ×3, first 2 shown]
	s_cbranch_scc0 .LBB6_1165
; %bb.1157:
	s_cmp_eq_u32 s24, 46
	s_mov_b64 s[20:21], 0
	s_cbranch_scc0 .LBB6_1168
; %bb.1158:
	global_load_dword v5, v[2:3], off
	s_mov_b64 s[0:1], 0
	s_mov_b64 s[18:19], -1
	s_waitcnt vmcnt(0)
	v_lshlrev_b32_e32 v5, 16, v5
	v_cvt_f64_f32_e32 v[8:9], v5
	s_branch .LBB6_1169
.LBB6_1159:
	s_mov_b64 s[18:19], 0
                                        ; implicit-def: $vgpr8_vgpr9
	s_cbranch_execnz .LBB6_1234
.LBB6_1160:
	s_andn2_b64 vcc, exec, s[18:19]
	s_cbranch_vccnz .LBB6_1973
	s_branch .LBB6_1281
.LBB6_1161:
	s_mov_b64 s[18:19], 0
	s_mov_b64 s[0:1], 0
                                        ; implicit-def: $vgpr8_vgpr9
	s_cbranch_execnz .LBB6_1200
	s_branch .LBB6_1230
.LBB6_1162:
	s_mov_b64 s[20:21], -1
	s_mov_b64 s[18:19], 0
	s_mov_b64 s[0:1], 0
                                        ; implicit-def: $vgpr8_vgpr9
	s_branch .LBB6_1179
.LBB6_1163:
	s_mov_b64 s[20:21], -1
	s_mov_b64 s[18:19], 0
	s_mov_b64 s[0:1], 0
                                        ; implicit-def: $vgpr8_vgpr9
	s_branch .LBB6_1174
.LBB6_1164:
	s_or_b64 s[16:17], s[6:7], exec
	s_trap 2
	s_cbranch_execz .LBB6_1105
	s_branch .LBB6_1106
.LBB6_1165:
	s_mov_b64 s[20:21], -1
	s_mov_b64 s[18:19], 0
	s_mov_b64 s[0:1], 0
                                        ; implicit-def: $vgpr8_vgpr9
	s_branch .LBB6_1169
.LBB6_1166:
	s_andn2_saveexec_b64 s[26:27], s[26:27]
	s_cbranch_execz .LBB6_952
.LBB6_1167:
	s_mov_b32 s30, 0x42800000
	v_add_f32_e64 v3, |v2|, s30
	v_and_b32_e32 v3, 0xff, v3
	v_cmp_ne_u32_e32 vcc, 0, v3
	s_andn2_b64 s[24:25], s[24:25], exec
	s_and_b64 s[30:31], vcc, exec
	s_or_b64 s[24:25], s[24:25], s[30:31]
	s_or_b64 exec, exec, s[26:27]
	v_mov_b32_e32 v6, 0
	s_and_saveexec_b64 s[26:27], s[24:25]
	s_cbranch_execnz .LBB6_953
	s_branch .LBB6_954
.LBB6_1168:
	s_mov_b64 s[0:1], -1
                                        ; implicit-def: $vgpr8_vgpr9
	s_mov_b64 s[18:19], 0
.LBB6_1169:
	s_and_b64 vcc, exec, s[20:21]
	s_cbranch_vccz .LBB6_1173
; %bb.1170:
	s_cmp_eq_u32 s24, 44
	s_cbranch_scc0 .LBB6_1172
; %bb.1171:
	global_load_ubyte v7, v[2:3], off
	s_movk_i32 s18, 0xff
	v_bfrev_b32_e32 v8, 4
	v_mov_b32_e32 v9, 0x7ff80000
	v_bfrev_b32_e32 v11, 28
	s_mov_b64 s[0:1], 0
	s_waitcnt vmcnt(0)
	v_lshlrev_b32_e32 v5, 23, v7
	v_cvt_f64_f32_e32 v[5:6], v5
	v_cmp_ne_u32_e32 vcc, s18, v7
	s_mov_b64 s[18:19], -1
	v_cndmask_b32_e32 v5, v8, v5, vcc
	v_cndmask_b32_e32 v6, v9, v6, vcc
	v_cmp_ne_u32_e32 vcc, 0, v7
	v_cndmask_b32_e32 v9, v11, v6, vcc
	v_cndmask_b32_e32 v8, 0, v5, vcc
	s_branch .LBB6_1173
.LBB6_1172:
	s_mov_b64 s[0:1], -1
                                        ; implicit-def: $vgpr8_vgpr9
.LBB6_1173:
	s_mov_b64 s[20:21], 0
.LBB6_1174:
	s_and_b64 vcc, exec, s[20:21]
	s_cbranch_vccz .LBB6_1178
; %bb.1175:
	s_cmp_eq_u32 s24, 29
	s_cbranch_scc0 .LBB6_1177
; %bb.1176:
	global_load_dwordx2 v[5:6], v[2:3], off
	s_mov_b64 s[0:1], 0
	s_mov_b64 s[18:19], -1
	s_mov_b64 s[20:21], 0
	s_waitcnt vmcnt(0)
	v_cvt_f64_u32_e32 v[6:7], v6
	v_cvt_f64_u32_e32 v[8:9], v5
	v_ldexp_f64 v[6:7], v[6:7], 32
	v_add_f64 v[8:9], v[6:7], v[8:9]
	s_branch .LBB6_1179
.LBB6_1177:
	s_mov_b64 s[0:1], -1
                                        ; implicit-def: $vgpr8_vgpr9
.LBB6_1178:
	s_mov_b64 s[20:21], 0
.LBB6_1179:
	s_and_b64 vcc, exec, s[20:21]
	s_cbranch_vccz .LBB6_1199
; %bb.1180:
	s_cmp_lt_i32 s24, 27
	s_cbranch_scc1 .LBB6_1183
; %bb.1181:
	s_cmp_gt_i32 s24, 27
	s_cbranch_scc0 .LBB6_1184
; %bb.1182:
	global_load_dword v5, v[2:3], off
	s_mov_b64 s[18:19], 0
	s_waitcnt vmcnt(0)
	v_cvt_f64_u32_e32 v[8:9], v5
	s_branch .LBB6_1185
.LBB6_1183:
	s_mov_b64 s[18:19], -1
                                        ; implicit-def: $vgpr8_vgpr9
	s_branch .LBB6_1188
.LBB6_1184:
	s_mov_b64 s[18:19], -1
                                        ; implicit-def: $vgpr8_vgpr9
.LBB6_1185:
	s_andn2_b64 vcc, exec, s[18:19]
	s_cbranch_vccnz .LBB6_1187
; %bb.1186:
	global_load_ushort v5, v[2:3], off
	s_waitcnt vmcnt(0)
	v_cvt_f64_u32_e32 v[8:9], v5
.LBB6_1187:
	s_mov_b64 s[18:19], 0
.LBB6_1188:
	s_andn2_b64 vcc, exec, s[18:19]
	s_cbranch_vccnz .LBB6_1198
; %bb.1189:
	global_load_ubyte v5, v[2:3], off
	s_movk_i32 s18, 0x7f
	s_waitcnt vmcnt(0)
	v_cmp_lt_i16_e32 vcc, s18, v5
	s_mov_b64 s[18:19], 0
	s_and_saveexec_b64 s[20:21], vcc
	s_xor_b64 s[20:21], exec, s[20:21]
	s_cbranch_execz .LBB6_1193
; %bb.1190:
	s_movk_i32 s18, 0x80
	v_cmp_eq_u16_e32 vcc, s18, v5
	s_mov_b64 s[18:19], -1
	s_and_saveexec_b64 s[22:23], vcc
; %bb.1191:
	s_xor_b64 s[18:19], exec, -1
; %bb.1192:
	s_or_b64 exec, exec, s[22:23]
	s_and_b64 s[18:19], s[18:19], exec
.LBB6_1193:
	s_or_saveexec_b64 s[20:21], s[20:21]
	v_bfrev_b32_e32 v8, 4
	v_mov_b32_e32 v9, 0x7ff80000
	s_xor_b64 exec, exec, s[20:21]
; %bb.1194:
	v_cmp_ne_u16_e32 vcc, 0, v5
	v_mov_b32_e32 v8, 0
	s_andn2_b64 s[18:19], s[18:19], exec
	s_and_b64 s[22:23], vcc, exec
	v_mov_b32_e32 v9, 0
	s_or_b64 s[18:19], s[18:19], s[22:23]
; %bb.1195:
	s_or_b64 exec, exec, s[20:21]
	s_and_saveexec_b64 s[20:21], s[18:19]
	s_cbranch_execz .LBB6_1197
; %bb.1196:
	v_lshlrev_b32_e32 v6, 24, v5
	v_and_b32_e32 v5, 0xffff, v5
	v_and_b32_e32 v7, 7, v5
	v_ffbh_u32_e32 v9, v7
	v_min_u32_e32 v9, 32, v9
	v_subrev_u32_e32 v11, 28, v9
	v_bfe_u32 v8, v5, 3, 4
	v_lshlrev_b32_e32 v5, v11, v5
	v_sub_u32_e32 v9, 29, v9
	v_and_b32_e32 v5, 7, v5
	v_cmp_eq_u32_e32 vcc, 0, v8
	v_cndmask_b32_e32 v8, v8, v9, vcc
	v_cndmask_b32_e32 v5, v7, v5, vcc
	v_mov_b32_e32 v7, 0x3b800000
	v_lshlrev_b32_e32 v5, 20, v5
	v_and_b32_e32 v6, 0x80000000, v6
	v_lshl_add_u32 v7, v8, 23, v7
	v_or3_b32 v5, v6, v7, v5
	v_cvt_f64_f32_e32 v[8:9], v5
.LBB6_1197:
	s_or_b64 exec, exec, s[20:21]
.LBB6_1198:
	s_mov_b64 s[18:19], -1
.LBB6_1199:
	s_branch .LBB6_1230
.LBB6_1200:
	s_cmp_gt_i32 s24, 22
	s_cbranch_scc0 .LBB6_1212
; %bb.1201:
	s_cmp_lt_i32 s24, 24
	s_cbranch_scc1 .LBB6_1213
; %bb.1202:
	s_cmp_gt_i32 s24, 24
	s_cbranch_scc0 .LBB6_1214
; %bb.1203:
	global_load_ubyte v5, v[2:3], off
	s_movk_i32 s2, 0x7f
	s_waitcnt vmcnt(0)
	v_cmp_lt_i16_e32 vcc, s2, v5
	s_mov_b64 s[2:3], 0
	s_and_saveexec_b64 s[18:19], vcc
	s_xor_b64 s[18:19], exec, s[18:19]
	s_cbranch_execz .LBB6_1207
; %bb.1204:
	s_movk_i32 s2, 0x80
	v_cmp_eq_u16_e32 vcc, s2, v5
	s_mov_b64 s[2:3], -1
	s_and_saveexec_b64 s[20:21], vcc
; %bb.1205:
	s_xor_b64 s[2:3], exec, -1
; %bb.1206:
	s_or_b64 exec, exec, s[20:21]
	s_and_b64 s[2:3], s[2:3], exec
.LBB6_1207:
	s_or_saveexec_b64 s[18:19], s[18:19]
	v_bfrev_b32_e32 v8, 4
	v_mov_b32_e32 v9, 0x7ff80000
	s_xor_b64 exec, exec, s[18:19]
; %bb.1208:
	v_cmp_ne_u16_e32 vcc, 0, v5
	v_mov_b32_e32 v8, 0
	s_andn2_b64 s[2:3], s[2:3], exec
	s_and_b64 s[20:21], vcc, exec
	v_mov_b32_e32 v9, 0
	s_or_b64 s[2:3], s[2:3], s[20:21]
; %bb.1209:
	s_or_b64 exec, exec, s[18:19]
	s_and_saveexec_b64 s[18:19], s[2:3]
	s_cbranch_execz .LBB6_1211
; %bb.1210:
	v_lshlrev_b32_e32 v6, 24, v5
	v_and_b32_e32 v5, 0xffff, v5
	v_and_b32_e32 v7, 3, v5
	v_ffbh_u32_e32 v9, v7
	v_min_u32_e32 v9, 32, v9
	v_subrev_u32_e32 v11, 29, v9
	v_bfe_u32 v8, v5, 2, 5
	v_lshlrev_b32_e32 v5, v11, v5
	v_sub_u32_e32 v9, 30, v9
	v_and_b32_e32 v5, 3, v5
	v_cmp_eq_u32_e32 vcc, 0, v8
	v_cndmask_b32_e32 v8, v8, v9, vcc
	v_cndmask_b32_e32 v5, v7, v5, vcc
	v_mov_b32_e32 v7, 0x37800000
	v_lshlrev_b32_e32 v5, 21, v5
	v_and_b32_e32 v6, 0x80000000, v6
	v_lshl_add_u32 v7, v8, 23, v7
	v_or3_b32 v5, v6, v7, v5
	v_cvt_f64_f32_e32 v[8:9], v5
.LBB6_1211:
	s_or_b64 exec, exec, s[18:19]
	s_mov_b64 s[2:3], 0
	s_branch .LBB6_1215
.LBB6_1212:
	s_mov_b64 s[2:3], -1
                                        ; implicit-def: $vgpr8_vgpr9
	s_branch .LBB6_1221
.LBB6_1213:
	s_mov_b64 s[2:3], -1
                                        ; implicit-def: $vgpr8_vgpr9
	s_branch .LBB6_1218
.LBB6_1214:
	s_mov_b64 s[2:3], -1
                                        ; implicit-def: $vgpr8_vgpr9
.LBB6_1215:
	s_and_b64 vcc, exec, s[2:3]
	s_cbranch_vccz .LBB6_1217
; %bb.1216:
	global_load_ubyte v5, v[2:3], off
	s_mov_b32 s2, 0x7f800000
	s_waitcnt vmcnt(0)
	v_lshlrev_b32_e32 v5, 24, v5
	v_and_b32_e32 v6, 0x7f000000, v5
	v_ffbh_u32_e32 v7, v6
	v_min_u32_e32 v7, 32, v7
	v_sub_u32_e64 v7, v7, 4 clamp
	v_lshlrev_b32_e32 v9, v7, v6
	v_lshlrev_b32_e32 v7, 23, v7
	v_lshrrev_b32_e32 v9, 4, v9
	v_add_u32_e32 v8, 0x1000000, v6
	v_sub_u32_e32 v7, v9, v7
	v_ashrrev_i32_e32 v8, 8, v8
	v_add_u32_e32 v7, 0x3c000000, v7
	v_and_or_b32 v7, v8, s2, v7
	v_cmp_ne_u32_e32 vcc, 0, v6
	v_cndmask_b32_e32 v6, 0, v7, vcc
	s_brev_b32 s2, 1
	v_and_or_b32 v5, v5, s2, v6
	v_cvt_f64_f32_e32 v[8:9], v5
.LBB6_1217:
	s_mov_b64 s[2:3], 0
.LBB6_1218:
	s_andn2_b64 vcc, exec, s[2:3]
	s_cbranch_vccnz .LBB6_1220
; %bb.1219:
	global_load_ubyte v5, v[2:3], off
	s_movk_i32 s2, 0x7f00
	s_brev_b32 s3, 16
	s_waitcnt vmcnt(0)
	v_lshlrev_b16_e32 v6, 8, v5
	v_lshlrev_b32_e32 v5, 25, v5
	v_lshrrev_b32_e32 v7, 4, v5
	v_and_or_b32 v8, v6, s2, 0.5
	v_or_b32_e32 v7, 0x70000000, v7
	v_add_f32_e32 v8, -0.5, v8
	v_mul_f32_e32 v7, 0x7800000, v7
	v_cmp_gt_u32_e32 vcc, s3, v5
	v_bfe_i32 v6, v6, 0, 16
	v_cndmask_b32_e32 v5, v7, v8, vcc
	s_brev_b32 s2, 1
	v_and_or_b32 v5, v6, s2, v5
	v_cvt_f64_f32_e32 v[8:9], v5
.LBB6_1220:
	s_mov_b64 s[2:3], 0
	s_mov_b64 s[18:19], -1
.LBB6_1221:
	s_andn2_b64 vcc, exec, s[2:3]
	s_mov_b64 s[2:3], 0
	s_cbranch_vccnz .LBB6_1230
; %bb.1222:
	s_cmp_gt_i32 s24, 14
	s_cbranch_scc0 .LBB6_1225
; %bb.1223:
	s_cmp_eq_u32 s24, 15
	s_cbranch_scc0 .LBB6_1226
; %bb.1224:
	global_load_ushort v5, v[2:3], off
	s_mov_b64 s[0:1], 0
	s_mov_b64 s[18:19], -1
	s_waitcnt vmcnt(0)
	v_lshlrev_b32_e32 v5, 16, v5
	v_cvt_f64_f32_e32 v[8:9], v5
	s_branch .LBB6_1227
.LBB6_1225:
	s_mov_b64 s[20:21], -1
                                        ; implicit-def: $vgpr8_vgpr9
	s_branch .LBB6_1228
.LBB6_1226:
	s_mov_b64 s[0:1], -1
                                        ; implicit-def: $vgpr8_vgpr9
.LBB6_1227:
	s_mov_b64 s[20:21], 0
.LBB6_1228:
	s_and_b64 vcc, exec, s[20:21]
	s_cbranch_vccz .LBB6_1230
; %bb.1229:
	s_cmp_lg_u32 s24, 11
	s_mov_b64 s[2:3], -1
	s_cselect_b64 s[0:1], -1, 0
.LBB6_1230:
	s_and_b64 vcc, exec, s[0:1]
	s_cbranch_vccnz .LBB6_1293
; %bb.1231:
	s_andn2_b64 vcc, exec, s[2:3]
	s_cbranch_vccnz .LBB6_1233
.LBB6_1232:
	global_load_ubyte v5, v[2:3], off
	v_mov_b32_e32 v6, 0x3ff00000
	v_mov_b32_e32 v8, 0
	s_mov_b64 s[18:19], -1
	s_waitcnt vmcnt(0)
	v_cmp_ne_u16_e32 vcc, 0, v5
	v_cndmask_b32_e32 v9, 0, v6, vcc
.LBB6_1233:
	s_branch .LBB6_1160
.LBB6_1234:
	s_cmp_lt_i32 s24, 5
	s_cbranch_scc1 .LBB6_1239
; %bb.1235:
	s_cmp_lt_i32 s24, 8
	s_cbranch_scc1 .LBB6_1240
; %bb.1236:
	;; [unrolled: 3-line block ×3, first 2 shown]
	s_cmp_gt_i32 s24, 9
	s_cbranch_scc0 .LBB6_1242
; %bb.1238:
	global_load_dwordx2 v[8:9], v[2:3], off
	s_mov_b64 s[0:1], 0
	s_branch .LBB6_1243
.LBB6_1239:
                                        ; implicit-def: $vgpr8_vgpr9
	s_branch .LBB6_1261
.LBB6_1240:
	s_mov_b64 s[0:1], -1
                                        ; implicit-def: $vgpr8_vgpr9
	s_branch .LBB6_1249
.LBB6_1241:
	s_mov_b64 s[0:1], -1
                                        ; implicit-def: $vgpr8_vgpr9
	s_branch .LBB6_1246
.LBB6_1242:
	s_mov_b64 s[0:1], -1
                                        ; implicit-def: $vgpr8_vgpr9
.LBB6_1243:
	s_andn2_b64 vcc, exec, s[0:1]
	s_cbranch_vccnz .LBB6_1245
; %bb.1244:
	global_load_dword v5, v[2:3], off
	s_waitcnt vmcnt(0)
	v_cvt_f64_f32_e32 v[8:9], v5
.LBB6_1245:
	s_mov_b64 s[0:1], 0
.LBB6_1246:
	s_andn2_b64 vcc, exec, s[0:1]
	s_cbranch_vccnz .LBB6_1248
; %bb.1247:
	global_load_dword v5, v[2:3], off
	s_waitcnt vmcnt(0)
	v_cvt_f32_f16_e32 v5, v5
	v_cvt_f64_f32_e32 v[8:9], v5
.LBB6_1248:
	s_mov_b64 s[0:1], 0
.LBB6_1249:
	s_andn2_b64 vcc, exec, s[0:1]
	s_cbranch_vccnz .LBB6_1260
; %bb.1250:
	s_cmp_lt_i32 s24, 6
	s_cbranch_scc1 .LBB6_1253
; %bb.1251:
	s_cmp_gt_i32 s24, 6
	s_cbranch_scc0 .LBB6_1254
; %bb.1252:
	global_load_dwordx2 v[8:9], v[2:3], off
	s_mov_b64 s[0:1], 0
	s_branch .LBB6_1255
.LBB6_1253:
	s_mov_b64 s[0:1], -1
                                        ; implicit-def: $vgpr8_vgpr9
	s_branch .LBB6_1258
.LBB6_1254:
	s_mov_b64 s[0:1], -1
                                        ; implicit-def: $vgpr8_vgpr9
.LBB6_1255:
	s_andn2_b64 vcc, exec, s[0:1]
	s_cbranch_vccnz .LBB6_1257
; %bb.1256:
	global_load_dword v5, v[2:3], off
	s_waitcnt vmcnt(0)
	v_cvt_f64_f32_e32 v[8:9], v5
.LBB6_1257:
	s_mov_b64 s[0:1], 0
.LBB6_1258:
	s_andn2_b64 vcc, exec, s[0:1]
	s_cbranch_vccnz .LBB6_1260
; %bb.1259:
	global_load_ushort v5, v[2:3], off
	s_waitcnt vmcnt(0)
	v_cvt_f32_f16_e32 v5, v5
	v_cvt_f64_f32_e32 v[8:9], v5
.LBB6_1260:
	s_cbranch_execnz .LBB6_1280
.LBB6_1261:
	s_cmp_lt_i32 s24, 2
	s_cbranch_scc1 .LBB6_1265
; %bb.1262:
	s_cmp_lt_i32 s24, 3
	s_cbranch_scc1 .LBB6_1266
; %bb.1263:
	s_cmp_gt_i32 s24, 3
	s_cbranch_scc0 .LBB6_1267
; %bb.1264:
	global_load_dwordx2 v[5:6], v[2:3], off
	s_mov_b64 s[0:1], 0
	s_waitcnt vmcnt(0)
	v_cvt_f64_i32_e32 v[6:7], v6
	v_cvt_f64_u32_e32 v[8:9], v5
	v_ldexp_f64 v[6:7], v[6:7], 32
	v_add_f64 v[8:9], v[6:7], v[8:9]
	s_branch .LBB6_1268
.LBB6_1265:
	s_mov_b64 s[0:1], -1
                                        ; implicit-def: $vgpr8_vgpr9
	s_branch .LBB6_1274
.LBB6_1266:
	s_mov_b64 s[0:1], -1
                                        ; implicit-def: $vgpr8_vgpr9
	s_branch .LBB6_1271
.LBB6_1267:
	s_mov_b64 s[0:1], -1
                                        ; implicit-def: $vgpr8_vgpr9
.LBB6_1268:
	s_andn2_b64 vcc, exec, s[0:1]
	s_cbranch_vccnz .LBB6_1270
; %bb.1269:
	global_load_dword v5, v[2:3], off
	s_waitcnt vmcnt(0)
	v_cvt_f64_i32_e32 v[8:9], v5
.LBB6_1270:
	s_mov_b64 s[0:1], 0
.LBB6_1271:
	s_andn2_b64 vcc, exec, s[0:1]
	s_cbranch_vccnz .LBB6_1273
; %bb.1272:
	global_load_sshort v5, v[2:3], off
	s_waitcnt vmcnt(0)
	v_cvt_f64_i32_e32 v[8:9], v5
.LBB6_1273:
	s_mov_b64 s[0:1], 0
.LBB6_1274:
	s_andn2_b64 vcc, exec, s[0:1]
	s_cbranch_vccnz .LBB6_1280
; %bb.1275:
	s_cmp_gt_i32 s24, 0
	s_cbranch_scc0 .LBB6_1277
; %bb.1276:
	global_load_sbyte v5, v[2:3], off
	s_mov_b64 s[0:1], 0
	s_waitcnt vmcnt(0)
	v_cvt_f64_i32_e32 v[8:9], v5
	s_branch .LBB6_1278
.LBB6_1277:
	s_mov_b64 s[0:1], -1
                                        ; implicit-def: $vgpr8_vgpr9
.LBB6_1278:
	s_andn2_b64 vcc, exec, s[0:1]
	s_cbranch_vccnz .LBB6_1280
; %bb.1279:
	global_load_ubyte v2, v[2:3], off
	s_waitcnt vmcnt(0)
	v_cvt_f64_u32_e32 v[8:9], v2
.LBB6_1280:
.LBB6_1281:
	v_add_u32_e32 v4, s13, v4
	v_ashrrev_i32_e32 v3, 31, v4
	v_mov_b32_e32 v5, s11
	v_add_co_u32_e32 v2, vcc, s10, v4
	s_cmp_lt_i32 s24, 11
	v_addc_co_u32_e32 v3, vcc, v5, v3, vcc
	s_cbranch_scc1 .LBB6_1288
; %bb.1282:
	s_cmp_gt_i32 s24, 25
	s_mov_b64 s[2:3], 0
	s_cbranch_scc0 .LBB6_1290
; %bb.1283:
	s_cmp_gt_i32 s24, 28
	s_cbranch_scc0 .LBB6_1291
; %bb.1284:
	s_cmp_gt_i32 s24, 43
	;; [unrolled: 3-line block ×3, first 2 shown]
	s_cbranch_scc0 .LBB6_1294
; %bb.1286:
	s_cmp_eq_u32 s24, 46
	s_mov_b64 s[20:21], 0
	s_cbranch_scc0 .LBB6_1295
; %bb.1287:
	global_load_dword v5, v[2:3], off
	s_mov_b64 s[0:1], 0
	s_mov_b64 s[18:19], -1
	s_waitcnt vmcnt(0)
	v_lshlrev_b32_e32 v5, 16, v5
	v_cvt_f64_f32_e32 v[6:7], v5
	s_branch .LBB6_1296
.LBB6_1288:
	s_mov_b64 s[18:19], 0
                                        ; implicit-def: $vgpr6_vgpr7
	s_cbranch_execnz .LBB6_1362
.LBB6_1289:
	s_andn2_b64 vcc, exec, s[18:19]
	s_cbranch_vccnz .LBB6_1973
	s_branch .LBB6_1410
.LBB6_1290:
	s_mov_b64 s[20:21], -1
	s_mov_b64 s[18:19], 0
	s_mov_b64 s[0:1], 0
                                        ; implicit-def: $vgpr6_vgpr7
	s_branch .LBB6_1327
.LBB6_1291:
	s_mov_b64 s[20:21], -1
	s_mov_b64 s[18:19], 0
	s_mov_b64 s[0:1], 0
                                        ; implicit-def: $vgpr6_vgpr7
	s_branch .LBB6_1306
.LBB6_1292:
	s_mov_b64 s[20:21], -1
	s_mov_b64 s[18:19], 0
	s_mov_b64 s[0:1], 0
                                        ; implicit-def: $vgpr6_vgpr7
	s_branch .LBB6_1301
.LBB6_1293:
	s_trap 2
	s_or_b64 s[16:17], s[16:17], exec
	s_cbranch_execz .LBB6_1232
	s_branch .LBB6_1233
.LBB6_1294:
	s_mov_b64 s[20:21], -1
	s_mov_b64 s[18:19], 0
	s_mov_b64 s[0:1], 0
                                        ; implicit-def: $vgpr6_vgpr7
	s_branch .LBB6_1296
.LBB6_1295:
	s_mov_b64 s[0:1], -1
                                        ; implicit-def: $vgpr6_vgpr7
	s_mov_b64 s[18:19], 0
.LBB6_1296:
	s_and_b64 vcc, exec, s[20:21]
	s_cbranch_vccz .LBB6_1300
; %bb.1297:
	s_cmp_eq_u32 s24, 44
	s_cbranch_scc0 .LBB6_1299
; %bb.1298:
	global_load_ubyte v7, v[2:3], off
	s_movk_i32 s18, 0xff
	v_bfrev_b32_e32 v11, 4
	v_mov_b32_e32 v12, 0x7ff80000
	v_bfrev_b32_e32 v13, 28
	s_mov_b64 s[0:1], 0
	s_waitcnt vmcnt(0)
	v_lshlrev_b32_e32 v5, 23, v7
	v_cvt_f64_f32_e32 v[5:6], v5
	v_cmp_ne_u32_e32 vcc, s18, v7
	s_mov_b64 s[18:19], -1
	v_cndmask_b32_e32 v5, v11, v5, vcc
	v_cndmask_b32_e32 v6, v12, v6, vcc
	v_cmp_ne_u32_e32 vcc, 0, v7
	v_cndmask_b32_e32 v7, v13, v6, vcc
	v_cndmask_b32_e32 v6, 0, v5, vcc
	s_branch .LBB6_1300
.LBB6_1299:
	s_mov_b64 s[0:1], -1
                                        ; implicit-def: $vgpr6_vgpr7
.LBB6_1300:
	s_mov_b64 s[20:21], 0
.LBB6_1301:
	s_and_b64 vcc, exec, s[20:21]
	s_cbranch_vccz .LBB6_1305
; %bb.1302:
	s_cmp_eq_u32 s24, 29
	s_cbranch_scc0 .LBB6_1304
; %bb.1303:
	global_load_dwordx2 v[5:6], v[2:3], off
	s_mov_b64 s[0:1], 0
	s_mov_b64 s[18:19], -1
	s_mov_b64 s[20:21], 0
	s_waitcnt vmcnt(0)
	v_cvt_f64_u32_e32 v[6:7], v6
	v_cvt_f64_u32_e32 v[11:12], v5
	v_ldexp_f64 v[6:7], v[6:7], 32
	v_add_f64 v[6:7], v[6:7], v[11:12]
	s_branch .LBB6_1306
.LBB6_1304:
	s_mov_b64 s[0:1], -1
                                        ; implicit-def: $vgpr6_vgpr7
.LBB6_1305:
	s_mov_b64 s[20:21], 0
.LBB6_1306:
	s_and_b64 vcc, exec, s[20:21]
	s_cbranch_vccz .LBB6_1326
; %bb.1307:
	s_cmp_lt_i32 s24, 27
	s_cbranch_scc1 .LBB6_1310
; %bb.1308:
	s_cmp_gt_i32 s24, 27
	s_cbranch_scc0 .LBB6_1311
; %bb.1309:
	global_load_dword v5, v[2:3], off
	s_mov_b64 s[18:19], 0
	s_waitcnt vmcnt(0)
	v_cvt_f64_u32_e32 v[6:7], v5
	s_branch .LBB6_1312
.LBB6_1310:
	s_mov_b64 s[18:19], -1
                                        ; implicit-def: $vgpr6_vgpr7
	s_branch .LBB6_1315
.LBB6_1311:
	s_mov_b64 s[18:19], -1
                                        ; implicit-def: $vgpr6_vgpr7
.LBB6_1312:
	s_andn2_b64 vcc, exec, s[18:19]
	s_cbranch_vccnz .LBB6_1314
; %bb.1313:
	global_load_ushort v5, v[2:3], off
	s_waitcnt vmcnt(0)
	v_cvt_f64_u32_e32 v[6:7], v5
.LBB6_1314:
	s_mov_b64 s[18:19], 0
.LBB6_1315:
	s_andn2_b64 vcc, exec, s[18:19]
	s_cbranch_vccnz .LBB6_1325
; %bb.1316:
	global_load_ubyte v5, v[2:3], off
	s_movk_i32 s18, 0x7f
	s_waitcnt vmcnt(0)
	v_cmp_lt_i16_e32 vcc, s18, v5
	s_mov_b64 s[18:19], 0
	s_and_saveexec_b64 s[20:21], vcc
	s_xor_b64 s[20:21], exec, s[20:21]
	s_cbranch_execz .LBB6_1320
; %bb.1317:
	s_movk_i32 s18, 0x80
	v_cmp_eq_u16_e32 vcc, s18, v5
	s_mov_b64 s[18:19], -1
	s_and_saveexec_b64 s[22:23], vcc
; %bb.1318:
	s_xor_b64 s[18:19], exec, -1
; %bb.1319:
	s_or_b64 exec, exec, s[22:23]
	s_and_b64 s[18:19], s[18:19], exec
.LBB6_1320:
	s_or_saveexec_b64 s[20:21], s[20:21]
	v_bfrev_b32_e32 v6, 4
	v_mov_b32_e32 v7, 0x7ff80000
	s_xor_b64 exec, exec, s[20:21]
; %bb.1321:
	v_cmp_ne_u16_e32 vcc, 0, v5
	v_mov_b32_e32 v6, 0
	s_andn2_b64 s[18:19], s[18:19], exec
	s_and_b64 s[22:23], vcc, exec
	v_mov_b32_e32 v7, 0
	s_or_b64 s[18:19], s[18:19], s[22:23]
; %bb.1322:
	s_or_b64 exec, exec, s[20:21]
	s_and_saveexec_b64 s[20:21], s[18:19]
	s_cbranch_execz .LBB6_1324
; %bb.1323:
	v_lshlrev_b32_e32 v6, 24, v5
	v_and_b32_e32 v5, 0xffff, v5
	v_and_b32_e32 v7, 7, v5
	v_ffbh_u32_e32 v12, v7
	v_min_u32_e32 v12, 32, v12
	v_subrev_u32_e32 v13, 28, v12
	v_bfe_u32 v11, v5, 3, 4
	v_lshlrev_b32_e32 v5, v13, v5
	v_sub_u32_e32 v12, 29, v12
	v_and_b32_e32 v5, 7, v5
	v_cmp_eq_u32_e32 vcc, 0, v11
	v_cndmask_b32_e32 v11, v11, v12, vcc
	v_cndmask_b32_e32 v5, v7, v5, vcc
	v_mov_b32_e32 v7, 0x3b800000
	v_lshlrev_b32_e32 v5, 20, v5
	v_and_b32_e32 v6, 0x80000000, v6
	v_lshl_add_u32 v7, v11, 23, v7
	v_or3_b32 v5, v6, v7, v5
	v_cvt_f64_f32_e32 v[6:7], v5
.LBB6_1324:
	s_or_b64 exec, exec, s[20:21]
.LBB6_1325:
	s_mov_b64 s[18:19], -1
.LBB6_1326:
	s_mov_b64 s[20:21], 0
.LBB6_1327:
	s_and_b64 vcc, exec, s[20:21]
	s_cbranch_vccz .LBB6_1358
; %bb.1328:
	s_cmp_gt_i32 s24, 22
	s_cbranch_scc0 .LBB6_1340
; %bb.1329:
	s_cmp_lt_i32 s24, 24
	s_cbranch_scc1 .LBB6_1341
; %bb.1330:
	s_cmp_gt_i32 s24, 24
	s_cbranch_scc0 .LBB6_1342
; %bb.1331:
	global_load_ubyte v5, v[2:3], off
	s_movk_i32 s2, 0x7f
	s_waitcnt vmcnt(0)
	v_cmp_lt_i16_e32 vcc, s2, v5
	s_mov_b64 s[2:3], 0
	s_and_saveexec_b64 s[18:19], vcc
	s_xor_b64 s[18:19], exec, s[18:19]
	s_cbranch_execz .LBB6_1335
; %bb.1332:
	s_movk_i32 s2, 0x80
	v_cmp_eq_u16_e32 vcc, s2, v5
	s_mov_b64 s[2:3], -1
	s_and_saveexec_b64 s[20:21], vcc
; %bb.1333:
	s_xor_b64 s[2:3], exec, -1
; %bb.1334:
	s_or_b64 exec, exec, s[20:21]
	s_and_b64 s[2:3], s[2:3], exec
.LBB6_1335:
	s_or_saveexec_b64 s[18:19], s[18:19]
	v_bfrev_b32_e32 v6, 4
	v_mov_b32_e32 v7, 0x7ff80000
	s_xor_b64 exec, exec, s[18:19]
; %bb.1336:
	v_cmp_ne_u16_e32 vcc, 0, v5
	v_mov_b32_e32 v6, 0
	s_andn2_b64 s[2:3], s[2:3], exec
	s_and_b64 s[20:21], vcc, exec
	v_mov_b32_e32 v7, 0
	s_or_b64 s[2:3], s[2:3], s[20:21]
; %bb.1337:
	s_or_b64 exec, exec, s[18:19]
	s_and_saveexec_b64 s[18:19], s[2:3]
	s_cbranch_execz .LBB6_1339
; %bb.1338:
	v_lshlrev_b32_e32 v6, 24, v5
	v_and_b32_e32 v5, 0xffff, v5
	v_and_b32_e32 v7, 3, v5
	v_ffbh_u32_e32 v12, v7
	v_min_u32_e32 v12, 32, v12
	v_subrev_u32_e32 v13, 29, v12
	v_bfe_u32 v11, v5, 2, 5
	v_lshlrev_b32_e32 v5, v13, v5
	v_sub_u32_e32 v12, 30, v12
	v_and_b32_e32 v5, 3, v5
	v_cmp_eq_u32_e32 vcc, 0, v11
	v_cndmask_b32_e32 v11, v11, v12, vcc
	v_cndmask_b32_e32 v5, v7, v5, vcc
	v_mov_b32_e32 v7, 0x37800000
	v_lshlrev_b32_e32 v5, 21, v5
	v_and_b32_e32 v6, 0x80000000, v6
	v_lshl_add_u32 v7, v11, 23, v7
	v_or3_b32 v5, v6, v7, v5
	v_cvt_f64_f32_e32 v[6:7], v5
.LBB6_1339:
	s_or_b64 exec, exec, s[18:19]
	s_mov_b64 s[2:3], 0
	s_branch .LBB6_1343
.LBB6_1340:
	s_mov_b64 s[2:3], -1
                                        ; implicit-def: $vgpr6_vgpr7
	s_branch .LBB6_1349
.LBB6_1341:
	s_mov_b64 s[2:3], -1
                                        ; implicit-def: $vgpr6_vgpr7
	s_branch .LBB6_1346
.LBB6_1342:
	s_mov_b64 s[2:3], -1
                                        ; implicit-def: $vgpr6_vgpr7
.LBB6_1343:
	s_and_b64 vcc, exec, s[2:3]
	s_cbranch_vccz .LBB6_1345
; %bb.1344:
	global_load_ubyte v5, v[2:3], off
	s_mov_b32 s2, 0x7f800000
	s_waitcnt vmcnt(0)
	v_lshlrev_b32_e32 v5, 24, v5
	v_and_b32_e32 v6, 0x7f000000, v5
	v_ffbh_u32_e32 v7, v6
	v_min_u32_e32 v7, 32, v7
	v_sub_u32_e64 v7, v7, 4 clamp
	v_lshlrev_b32_e32 v12, v7, v6
	v_lshlrev_b32_e32 v7, 23, v7
	v_lshrrev_b32_e32 v12, 4, v12
	v_add_u32_e32 v11, 0x1000000, v6
	v_sub_u32_e32 v7, v12, v7
	v_ashrrev_i32_e32 v11, 8, v11
	v_add_u32_e32 v7, 0x3c000000, v7
	v_and_or_b32 v7, v11, s2, v7
	v_cmp_ne_u32_e32 vcc, 0, v6
	v_cndmask_b32_e32 v6, 0, v7, vcc
	s_brev_b32 s2, 1
	v_and_or_b32 v5, v5, s2, v6
	v_cvt_f64_f32_e32 v[6:7], v5
.LBB6_1345:
	s_mov_b64 s[2:3], 0
.LBB6_1346:
	s_andn2_b64 vcc, exec, s[2:3]
	s_cbranch_vccnz .LBB6_1348
; %bb.1347:
	global_load_ubyte v5, v[2:3], off
	s_movk_i32 s2, 0x7f00
	s_brev_b32 s3, 16
	s_waitcnt vmcnt(0)
	v_lshlrev_b16_e32 v6, 8, v5
	v_lshlrev_b32_e32 v5, 25, v5
	v_lshrrev_b32_e32 v7, 4, v5
	v_and_or_b32 v11, v6, s2, 0.5
	v_or_b32_e32 v7, 0x70000000, v7
	v_add_f32_e32 v11, -0.5, v11
	v_mul_f32_e32 v7, 0x7800000, v7
	v_cmp_gt_u32_e32 vcc, s3, v5
	v_bfe_i32 v6, v6, 0, 16
	v_cndmask_b32_e32 v5, v7, v11, vcc
	s_brev_b32 s2, 1
	v_and_or_b32 v5, v6, s2, v5
	v_cvt_f64_f32_e32 v[6:7], v5
.LBB6_1348:
	s_mov_b64 s[2:3], 0
	s_mov_b64 s[18:19], -1
.LBB6_1349:
	s_andn2_b64 vcc, exec, s[2:3]
	s_mov_b64 s[2:3], 0
	s_cbranch_vccnz .LBB6_1358
; %bb.1350:
	s_cmp_gt_i32 s24, 14
	s_cbranch_scc0 .LBB6_1353
; %bb.1351:
	s_cmp_eq_u32 s24, 15
	s_cbranch_scc0 .LBB6_1354
; %bb.1352:
	global_load_ushort v5, v[2:3], off
	s_mov_b64 s[0:1], 0
	s_mov_b64 s[18:19], -1
	s_waitcnt vmcnt(0)
	v_lshlrev_b32_e32 v5, 16, v5
	v_cvt_f64_f32_e32 v[6:7], v5
	s_branch .LBB6_1355
.LBB6_1353:
	s_mov_b64 s[20:21], -1
                                        ; implicit-def: $vgpr6_vgpr7
	s_branch .LBB6_1356
.LBB6_1354:
	s_mov_b64 s[0:1], -1
                                        ; implicit-def: $vgpr6_vgpr7
.LBB6_1355:
	s_mov_b64 s[20:21], 0
.LBB6_1356:
	s_and_b64 vcc, exec, s[20:21]
	s_cbranch_vccz .LBB6_1358
; %bb.1357:
	s_cmp_lg_u32 s24, 11
	s_mov_b64 s[2:3], -1
	s_cselect_b64 s[0:1], -1, 0
.LBB6_1358:
	s_and_b64 vcc, exec, s[0:1]
	s_cbranch_vccnz .LBB6_1421
; %bb.1359:
	s_andn2_b64 vcc, exec, s[2:3]
	s_cbranch_vccnz .LBB6_1361
.LBB6_1360:
	global_load_ubyte v5, v[2:3], off
	v_mov_b32_e32 v7, 0x3ff00000
	v_mov_b32_e32 v6, 0
	s_mov_b64 s[18:19], -1
	s_waitcnt vmcnt(0)
	v_cmp_ne_u16_e32 vcc, 0, v5
	v_cndmask_b32_e32 v7, 0, v7, vcc
.LBB6_1361:
	s_branch .LBB6_1289
.LBB6_1362:
	s_cmp_lt_i32 s24, 5
	s_cbranch_scc1 .LBB6_1367
; %bb.1363:
	s_cmp_lt_i32 s24, 8
	s_cbranch_scc1 .LBB6_1368
; %bb.1364:
	;; [unrolled: 3-line block ×3, first 2 shown]
	s_cmp_gt_i32 s24, 9
	s_cbranch_scc0 .LBB6_1370
; %bb.1366:
	global_load_dwordx2 v[6:7], v[2:3], off
	s_mov_b64 s[0:1], 0
	s_branch .LBB6_1371
.LBB6_1367:
	s_mov_b64 s[0:1], -1
                                        ; implicit-def: $vgpr6_vgpr7
	s_branch .LBB6_1389
.LBB6_1368:
	s_mov_b64 s[0:1], -1
                                        ; implicit-def: $vgpr6_vgpr7
	s_branch .LBB6_1377
.LBB6_1369:
	s_mov_b64 s[0:1], -1
                                        ; implicit-def: $vgpr6_vgpr7
	s_branch .LBB6_1374
.LBB6_1370:
	s_mov_b64 s[0:1], -1
                                        ; implicit-def: $vgpr6_vgpr7
.LBB6_1371:
	s_andn2_b64 vcc, exec, s[0:1]
	s_cbranch_vccnz .LBB6_1373
; %bb.1372:
	global_load_dword v5, v[2:3], off
	s_waitcnt vmcnt(0)
	v_cvt_f64_f32_e32 v[6:7], v5
.LBB6_1373:
	s_mov_b64 s[0:1], 0
.LBB6_1374:
	s_andn2_b64 vcc, exec, s[0:1]
	s_cbranch_vccnz .LBB6_1376
; %bb.1375:
	global_load_dword v5, v[2:3], off
	s_waitcnt vmcnt(0)
	v_cvt_f32_f16_e32 v5, v5
	v_cvt_f64_f32_e32 v[6:7], v5
.LBB6_1376:
	s_mov_b64 s[0:1], 0
.LBB6_1377:
	s_andn2_b64 vcc, exec, s[0:1]
	s_cbranch_vccnz .LBB6_1388
; %bb.1378:
	s_cmp_lt_i32 s24, 6
	s_cbranch_scc1 .LBB6_1381
; %bb.1379:
	s_cmp_gt_i32 s24, 6
	s_cbranch_scc0 .LBB6_1382
; %bb.1380:
	global_load_dwordx2 v[6:7], v[2:3], off
	s_mov_b64 s[0:1], 0
	s_branch .LBB6_1383
.LBB6_1381:
	s_mov_b64 s[0:1], -1
                                        ; implicit-def: $vgpr6_vgpr7
	s_branch .LBB6_1386
.LBB6_1382:
	s_mov_b64 s[0:1], -1
                                        ; implicit-def: $vgpr6_vgpr7
.LBB6_1383:
	s_andn2_b64 vcc, exec, s[0:1]
	s_cbranch_vccnz .LBB6_1385
; %bb.1384:
	global_load_dword v5, v[2:3], off
	s_waitcnt vmcnt(0)
	v_cvt_f64_f32_e32 v[6:7], v5
.LBB6_1385:
	s_mov_b64 s[0:1], 0
.LBB6_1386:
	s_andn2_b64 vcc, exec, s[0:1]
	s_cbranch_vccnz .LBB6_1388
; %bb.1387:
	global_load_ushort v5, v[2:3], off
	s_waitcnt vmcnt(0)
	v_cvt_f32_f16_e32 v5, v5
	v_cvt_f64_f32_e32 v[6:7], v5
.LBB6_1388:
	s_mov_b64 s[0:1], 0
.LBB6_1389:
	s_andn2_b64 vcc, exec, s[0:1]
	s_cbranch_vccnz .LBB6_1409
; %bb.1390:
	s_cmp_lt_i32 s24, 2
	s_cbranch_scc1 .LBB6_1394
; %bb.1391:
	s_cmp_lt_i32 s24, 3
	s_cbranch_scc1 .LBB6_1395
; %bb.1392:
	s_cmp_gt_i32 s24, 3
	s_cbranch_scc0 .LBB6_1396
; %bb.1393:
	global_load_dwordx2 v[5:6], v[2:3], off
	s_mov_b64 s[0:1], 0
	s_waitcnt vmcnt(0)
	v_cvt_f64_i32_e32 v[6:7], v6
	v_cvt_f64_u32_e32 v[11:12], v5
	v_ldexp_f64 v[6:7], v[6:7], 32
	v_add_f64 v[6:7], v[6:7], v[11:12]
	s_branch .LBB6_1397
.LBB6_1394:
	s_mov_b64 s[0:1], -1
                                        ; implicit-def: $vgpr6_vgpr7
	s_branch .LBB6_1403
.LBB6_1395:
	s_mov_b64 s[0:1], -1
                                        ; implicit-def: $vgpr6_vgpr7
	s_branch .LBB6_1400
.LBB6_1396:
	s_mov_b64 s[0:1], -1
                                        ; implicit-def: $vgpr6_vgpr7
.LBB6_1397:
	s_andn2_b64 vcc, exec, s[0:1]
	s_cbranch_vccnz .LBB6_1399
; %bb.1398:
	global_load_dword v5, v[2:3], off
	s_waitcnt vmcnt(0)
	v_cvt_f64_i32_e32 v[6:7], v5
.LBB6_1399:
	s_mov_b64 s[0:1], 0
.LBB6_1400:
	s_andn2_b64 vcc, exec, s[0:1]
	s_cbranch_vccnz .LBB6_1402
; %bb.1401:
	global_load_sshort v5, v[2:3], off
	s_waitcnt vmcnt(0)
	v_cvt_f64_i32_e32 v[6:7], v5
.LBB6_1402:
	s_mov_b64 s[0:1], 0
.LBB6_1403:
	s_andn2_b64 vcc, exec, s[0:1]
	s_cbranch_vccnz .LBB6_1409
; %bb.1404:
	s_cmp_gt_i32 s24, 0
	s_cbranch_scc0 .LBB6_1406
; %bb.1405:
	global_load_sbyte v5, v[2:3], off
	s_mov_b64 s[0:1], 0
	s_waitcnt vmcnt(0)
	v_cvt_f64_i32_e32 v[6:7], v5
	s_branch .LBB6_1407
.LBB6_1406:
	s_mov_b64 s[0:1], -1
                                        ; implicit-def: $vgpr6_vgpr7
.LBB6_1407:
	s_andn2_b64 vcc, exec, s[0:1]
	s_cbranch_vccnz .LBB6_1409
; %bb.1408:
	global_load_ubyte v2, v[2:3], off
	s_waitcnt vmcnt(0)
	v_cvt_f64_u32_e32 v[6:7], v2
.LBB6_1409:
.LBB6_1410:
	v_add_u32_e32 v2, s13, v4
	v_ashrrev_i32_e32 v3, 31, v2
	v_mov_b32_e32 v4, s11
	v_add_co_u32_e32 v2, vcc, s10, v2
	s_cmp_lt_i32 s24, 11
	v_addc_co_u32_e32 v3, vcc, v4, v3, vcc
	s_cbranch_scc1 .LBB6_1417
; %bb.1411:
	s_cmp_gt_i32 s24, 25
	s_mov_b64 s[2:3], 0
	s_cbranch_scc0 .LBB6_1418
; %bb.1412:
	s_cmp_gt_i32 s24, 28
	s_cbranch_scc0 .LBB6_1419
; %bb.1413:
	s_cmp_gt_i32 s24, 43
	s_cbranch_scc0 .LBB6_1420
; %bb.1414:
	s_cmp_gt_i32 s24, 45
	s_cbranch_scc0 .LBB6_1422
; %bb.1415:
	s_cmp_eq_u32 s24, 46
	s_mov_b64 s[18:19], 0
	s_cbranch_scc0 .LBB6_1423
; %bb.1416:
	global_load_dword v4, v[2:3], off
	s_mov_b64 s[0:1], 0
	s_mov_b64 s[10:11], -1
	s_waitcnt vmcnt(0)
	v_lshlrev_b32_e32 v4, 16, v4
	v_cvt_f64_f32_e32 v[4:5], v4
	s_branch .LBB6_1424
.LBB6_1417:
	s_mov_b64 s[0:1], -1
	s_mov_b64 s[10:11], 0
                                        ; implicit-def: $vgpr4_vgpr5
	s_branch .LBB6_1490
.LBB6_1418:
	s_mov_b64 s[18:19], -1
	s_mov_b64 s[10:11], 0
	s_mov_b64 s[0:1], 0
                                        ; implicit-def: $vgpr4_vgpr5
	s_branch .LBB6_1455
.LBB6_1419:
	s_mov_b64 s[18:19], -1
	s_mov_b64 s[10:11], 0
	s_mov_b64 s[0:1], 0
                                        ; implicit-def: $vgpr4_vgpr5
	s_branch .LBB6_1434
.LBB6_1420:
	s_mov_b64 s[18:19], -1
	s_mov_b64 s[10:11], 0
	s_mov_b64 s[0:1], 0
                                        ; implicit-def: $vgpr4_vgpr5
	s_branch .LBB6_1429
.LBB6_1421:
	s_trap 2
	s_or_b64 s[16:17], s[16:17], exec
	s_cbranch_execz .LBB6_1360
	s_branch .LBB6_1361
.LBB6_1422:
	s_mov_b64 s[18:19], -1
	s_mov_b64 s[10:11], 0
	s_mov_b64 s[0:1], 0
                                        ; implicit-def: $vgpr4_vgpr5
	s_branch .LBB6_1424
.LBB6_1423:
	s_mov_b64 s[0:1], -1
                                        ; implicit-def: $vgpr4_vgpr5
	s_mov_b64 s[10:11], 0
.LBB6_1424:
	s_and_b64 vcc, exec, s[18:19]
	s_cbranch_vccz .LBB6_1428
; %bb.1425:
	s_cmp_eq_u32 s24, 44
	s_cbranch_scc0 .LBB6_1427
; %bb.1426:
	global_load_ubyte v11, v[2:3], off
	s_movk_i32 s10, 0xff
	v_bfrev_b32_e32 v12, 4
	v_mov_b32_e32 v13, 0x7ff80000
	v_bfrev_b32_e32 v14, 28
	s_mov_b64 s[0:1], 0
	s_waitcnt vmcnt(0)
	v_lshlrev_b32_e32 v4, 23, v11
	v_cvt_f64_f32_e32 v[4:5], v4
	v_cmp_ne_u32_e32 vcc, s10, v11
	s_mov_b64 s[10:11], -1
	v_cndmask_b32_e32 v4, v12, v4, vcc
	v_cndmask_b32_e32 v5, v13, v5, vcc
	v_cmp_ne_u32_e32 vcc, 0, v11
	v_cndmask_b32_e32 v5, v14, v5, vcc
	v_cndmask_b32_e32 v4, 0, v4, vcc
	s_branch .LBB6_1428
.LBB6_1427:
	s_mov_b64 s[0:1], -1
                                        ; implicit-def: $vgpr4_vgpr5
.LBB6_1428:
	s_mov_b64 s[18:19], 0
.LBB6_1429:
	s_and_b64 vcc, exec, s[18:19]
	s_cbranch_vccz .LBB6_1433
; %bb.1430:
	s_cmp_eq_u32 s24, 29
	s_cbranch_scc0 .LBB6_1432
; %bb.1431:
	global_load_dwordx2 v[4:5], v[2:3], off
	s_mov_b64 s[0:1], 0
	s_mov_b64 s[10:11], -1
	s_mov_b64 s[18:19], 0
	s_waitcnt vmcnt(0)
	v_cvt_f64_u32_e32 v[11:12], v5
	v_cvt_f64_u32_e32 v[4:5], v4
	v_ldexp_f64 v[11:12], v[11:12], 32
	v_add_f64 v[4:5], v[11:12], v[4:5]
	s_branch .LBB6_1434
.LBB6_1432:
	s_mov_b64 s[0:1], -1
                                        ; implicit-def: $vgpr4_vgpr5
.LBB6_1433:
	s_mov_b64 s[18:19], 0
.LBB6_1434:
	s_and_b64 vcc, exec, s[18:19]
	s_cbranch_vccz .LBB6_1454
; %bb.1435:
	s_cmp_lt_i32 s24, 27
	s_cbranch_scc1 .LBB6_1438
; %bb.1436:
	s_cmp_gt_i32 s24, 27
	s_cbranch_scc0 .LBB6_1439
; %bb.1437:
	global_load_dword v4, v[2:3], off
	s_mov_b64 s[10:11], 0
	s_waitcnt vmcnt(0)
	v_cvt_f64_u32_e32 v[4:5], v4
	s_branch .LBB6_1440
.LBB6_1438:
	s_mov_b64 s[10:11], -1
                                        ; implicit-def: $vgpr4_vgpr5
	s_branch .LBB6_1443
.LBB6_1439:
	s_mov_b64 s[10:11], -1
                                        ; implicit-def: $vgpr4_vgpr5
.LBB6_1440:
	s_andn2_b64 vcc, exec, s[10:11]
	s_cbranch_vccnz .LBB6_1442
; %bb.1441:
	global_load_ushort v4, v[2:3], off
	s_waitcnt vmcnt(0)
	v_cvt_f64_u32_e32 v[4:5], v4
.LBB6_1442:
	s_mov_b64 s[10:11], 0
.LBB6_1443:
	s_andn2_b64 vcc, exec, s[10:11]
	s_cbranch_vccnz .LBB6_1453
; %bb.1444:
	global_load_ubyte v11, v[2:3], off
	s_movk_i32 s10, 0x7f
	s_waitcnt vmcnt(0)
	v_cmp_lt_i16_e32 vcc, s10, v11
	s_mov_b64 s[10:11], 0
	s_and_saveexec_b64 s[18:19], vcc
	s_xor_b64 s[18:19], exec, s[18:19]
	s_cbranch_execz .LBB6_1448
; %bb.1445:
	s_movk_i32 s10, 0x80
	v_cmp_eq_u16_e32 vcc, s10, v11
	s_mov_b64 s[10:11], -1
	s_and_saveexec_b64 s[20:21], vcc
; %bb.1446:
	s_xor_b64 s[10:11], exec, -1
; %bb.1447:
	s_or_b64 exec, exec, s[20:21]
	s_and_b64 s[10:11], s[10:11], exec
.LBB6_1448:
	s_or_saveexec_b64 s[18:19], s[18:19]
	v_bfrev_b32_e32 v4, 4
	v_mov_b32_e32 v5, 0x7ff80000
	s_xor_b64 exec, exec, s[18:19]
; %bb.1449:
	v_cmp_ne_u16_e32 vcc, 0, v11
	v_mov_b32_e32 v4, 0
	s_andn2_b64 s[10:11], s[10:11], exec
	s_and_b64 s[20:21], vcc, exec
	v_mov_b32_e32 v5, 0
	s_or_b64 s[10:11], s[10:11], s[20:21]
; %bb.1450:
	s_or_b64 exec, exec, s[18:19]
	s_and_saveexec_b64 s[18:19], s[10:11]
	s_cbranch_execz .LBB6_1452
; %bb.1451:
	v_and_b32_e32 v5, 0xffff, v11
	v_lshlrev_b32_e32 v4, 24, v11
	v_and_b32_e32 v11, 7, v5
	v_ffbh_u32_e32 v13, v11
	v_min_u32_e32 v13, 32, v13
	v_subrev_u32_e32 v14, 28, v13
	v_bfe_u32 v12, v5, 3, 4
	v_lshlrev_b32_e32 v5, v14, v5
	v_sub_u32_e32 v13, 29, v13
	v_and_b32_e32 v5, 7, v5
	v_cmp_eq_u32_e32 vcc, 0, v12
	v_cndmask_b32_e32 v12, v12, v13, vcc
	v_cndmask_b32_e32 v5, v11, v5, vcc
	v_mov_b32_e32 v11, 0x3b800000
	v_lshlrev_b32_e32 v5, 20, v5
	v_and_b32_e32 v4, 0x80000000, v4
	v_lshl_add_u32 v11, v12, 23, v11
	v_or3_b32 v4, v4, v11, v5
	v_cvt_f64_f32_e32 v[4:5], v4
.LBB6_1452:
	s_or_b64 exec, exec, s[18:19]
.LBB6_1453:
	s_mov_b64 s[10:11], -1
.LBB6_1454:
	s_mov_b64 s[18:19], 0
.LBB6_1455:
	s_and_b64 vcc, exec, s[18:19]
	s_cbranch_vccz .LBB6_1486
; %bb.1456:
	s_cmp_gt_i32 s24, 22
	s_cbranch_scc0 .LBB6_1468
; %bb.1457:
	s_cmp_lt_i32 s24, 24
	s_cbranch_scc1 .LBB6_1469
; %bb.1458:
	s_cmp_gt_i32 s24, 24
	s_cbranch_scc0 .LBB6_1470
; %bb.1459:
	global_load_ubyte v11, v[2:3], off
	s_movk_i32 s2, 0x7f
	s_waitcnt vmcnt(0)
	v_cmp_lt_i16_e32 vcc, s2, v11
	s_mov_b64 s[2:3], 0
	s_and_saveexec_b64 s[10:11], vcc
	s_xor_b64 s[10:11], exec, s[10:11]
	s_cbranch_execz .LBB6_1463
; %bb.1460:
	s_movk_i32 s2, 0x80
	v_cmp_eq_u16_e32 vcc, s2, v11
	s_mov_b64 s[2:3], -1
	s_and_saveexec_b64 s[18:19], vcc
; %bb.1461:
	s_xor_b64 s[2:3], exec, -1
; %bb.1462:
	s_or_b64 exec, exec, s[18:19]
	s_and_b64 s[2:3], s[2:3], exec
.LBB6_1463:
	s_or_saveexec_b64 s[10:11], s[10:11]
	v_bfrev_b32_e32 v4, 4
	v_mov_b32_e32 v5, 0x7ff80000
	s_xor_b64 exec, exec, s[10:11]
; %bb.1464:
	v_cmp_ne_u16_e32 vcc, 0, v11
	v_mov_b32_e32 v4, 0
	s_andn2_b64 s[2:3], s[2:3], exec
	s_and_b64 s[18:19], vcc, exec
	v_mov_b32_e32 v5, 0
	s_or_b64 s[2:3], s[2:3], s[18:19]
; %bb.1465:
	s_or_b64 exec, exec, s[10:11]
	s_and_saveexec_b64 s[10:11], s[2:3]
	s_cbranch_execz .LBB6_1467
; %bb.1466:
	v_and_b32_e32 v5, 0xffff, v11
	v_lshlrev_b32_e32 v4, 24, v11
	v_and_b32_e32 v11, 3, v5
	v_ffbh_u32_e32 v13, v11
	v_min_u32_e32 v13, 32, v13
	v_subrev_u32_e32 v14, 29, v13
	v_bfe_u32 v12, v5, 2, 5
	v_lshlrev_b32_e32 v5, v14, v5
	v_sub_u32_e32 v13, 30, v13
	v_and_b32_e32 v5, 3, v5
	v_cmp_eq_u32_e32 vcc, 0, v12
	v_cndmask_b32_e32 v12, v12, v13, vcc
	v_cndmask_b32_e32 v5, v11, v5, vcc
	v_mov_b32_e32 v11, 0x37800000
	v_lshlrev_b32_e32 v5, 21, v5
	v_and_b32_e32 v4, 0x80000000, v4
	v_lshl_add_u32 v11, v12, 23, v11
	v_or3_b32 v4, v4, v11, v5
	v_cvt_f64_f32_e32 v[4:5], v4
.LBB6_1467:
	s_or_b64 exec, exec, s[10:11]
	s_mov_b64 s[2:3], 0
	s_branch .LBB6_1471
.LBB6_1468:
	s_mov_b64 s[2:3], -1
                                        ; implicit-def: $vgpr4_vgpr5
	s_branch .LBB6_1477
.LBB6_1469:
	s_mov_b64 s[2:3], -1
                                        ; implicit-def: $vgpr4_vgpr5
	s_branch .LBB6_1474
.LBB6_1470:
	s_mov_b64 s[2:3], -1
                                        ; implicit-def: $vgpr4_vgpr5
.LBB6_1471:
	s_and_b64 vcc, exec, s[2:3]
	s_cbranch_vccz .LBB6_1473
; %bb.1472:
	global_load_ubyte v4, v[2:3], off
	s_mov_b32 s2, 0x7f800000
	s_waitcnt vmcnt(0)
	v_lshlrev_b32_e32 v4, 24, v4
	v_and_b32_e32 v5, 0x7f000000, v4
	v_ffbh_u32_e32 v11, v5
	v_min_u32_e32 v11, 32, v11
	v_sub_u32_e64 v11, v11, 4 clamp
	v_lshlrev_b32_e32 v13, v11, v5
	v_lshlrev_b32_e32 v11, 23, v11
	v_lshrrev_b32_e32 v13, 4, v13
	v_add_u32_e32 v12, 0x1000000, v5
	v_sub_u32_e32 v11, v13, v11
	v_ashrrev_i32_e32 v12, 8, v12
	v_add_u32_e32 v11, 0x3c000000, v11
	v_and_or_b32 v11, v12, s2, v11
	v_cmp_ne_u32_e32 vcc, 0, v5
	v_cndmask_b32_e32 v5, 0, v11, vcc
	s_brev_b32 s2, 1
	v_and_or_b32 v4, v4, s2, v5
	v_cvt_f64_f32_e32 v[4:5], v4
.LBB6_1473:
	s_mov_b64 s[2:3], 0
.LBB6_1474:
	s_andn2_b64 vcc, exec, s[2:3]
	s_cbranch_vccnz .LBB6_1476
; %bb.1475:
	global_load_ubyte v4, v[2:3], off
	s_movk_i32 s2, 0x7f00
	s_brev_b32 s3, 16
	s_waitcnt vmcnt(0)
	v_lshlrev_b16_e32 v5, 8, v4
	v_lshlrev_b32_e32 v4, 25, v4
	v_lshrrev_b32_e32 v11, 4, v4
	v_and_or_b32 v12, v5, s2, 0.5
	v_or_b32_e32 v11, 0x70000000, v11
	v_add_f32_e32 v12, -0.5, v12
	v_mul_f32_e32 v11, 0x7800000, v11
	v_cmp_gt_u32_e32 vcc, s3, v4
	v_bfe_i32 v5, v5, 0, 16
	v_cndmask_b32_e32 v4, v11, v12, vcc
	s_brev_b32 s2, 1
	v_and_or_b32 v4, v5, s2, v4
	v_cvt_f64_f32_e32 v[4:5], v4
.LBB6_1476:
	s_mov_b64 s[2:3], 0
	s_mov_b64 s[10:11], -1
.LBB6_1477:
	s_andn2_b64 vcc, exec, s[2:3]
	s_mov_b64 s[2:3], 0
	s_cbranch_vccnz .LBB6_1486
; %bb.1478:
	s_cmp_gt_i32 s24, 14
	s_cbranch_scc0 .LBB6_1481
; %bb.1479:
	s_cmp_eq_u32 s24, 15
	s_cbranch_scc0 .LBB6_1482
; %bb.1480:
	global_load_ushort v4, v[2:3], off
	s_mov_b64 s[0:1], 0
	s_mov_b64 s[10:11], -1
	s_waitcnt vmcnt(0)
	v_lshlrev_b32_e32 v4, 16, v4
	v_cvt_f64_f32_e32 v[4:5], v4
	s_branch .LBB6_1483
.LBB6_1481:
	s_mov_b64 s[18:19], -1
                                        ; implicit-def: $vgpr4_vgpr5
	s_branch .LBB6_1484
.LBB6_1482:
	s_mov_b64 s[0:1], -1
                                        ; implicit-def: $vgpr4_vgpr5
.LBB6_1483:
	s_mov_b64 s[18:19], 0
.LBB6_1484:
	s_and_b64 vcc, exec, s[18:19]
	s_cbranch_vccz .LBB6_1486
; %bb.1485:
	s_cmp_lg_u32 s24, 11
	s_mov_b64 s[2:3], -1
	s_cselect_b64 s[0:1], -1, 0
.LBB6_1486:
	s_and_b64 vcc, exec, s[0:1]
	s_cbranch_vccnz .LBB6_2019
; %bb.1487:
	s_andn2_b64 vcc, exec, s[2:3]
	s_cbranch_vccnz .LBB6_1489
.LBB6_1488:
	global_load_ubyte v5, v[2:3], off
	v_mov_b32_e32 v11, 0x3ff00000
	v_mov_b32_e32 v4, 0
	s_mov_b64 s[10:11], -1
	s_waitcnt vmcnt(0)
	v_cmp_ne_u16_e32 vcc, 0, v5
	v_cndmask_b32_e32 v5, 0, v11, vcc
.LBB6_1489:
	s_mov_b64 s[0:1], 0
.LBB6_1490:
	s_and_b64 vcc, exec, s[0:1]
	s_cbranch_vccz .LBB6_1539
; %bb.1491:
	s_cmp_lt_i32 s24, 5
	s_cbranch_scc1 .LBB6_1496
; %bb.1492:
	s_cmp_lt_i32 s24, 8
	s_cbranch_scc1 .LBB6_1497
	;; [unrolled: 3-line block ×3, first 2 shown]
; %bb.1494:
	s_cmp_gt_i32 s24, 9
	s_cbranch_scc0 .LBB6_1499
; %bb.1495:
	global_load_dwordx2 v[4:5], v[2:3], off
	s_mov_b64 s[0:1], 0
	s_branch .LBB6_1500
.LBB6_1496:
	s_mov_b64 s[0:1], -1
                                        ; implicit-def: $vgpr4_vgpr5
	s_branch .LBB6_1518
.LBB6_1497:
	s_mov_b64 s[0:1], -1
                                        ; implicit-def: $vgpr4_vgpr5
	s_branch .LBB6_1506
.LBB6_1498:
	s_mov_b64 s[0:1], -1
                                        ; implicit-def: $vgpr4_vgpr5
	s_branch .LBB6_1503
.LBB6_1499:
	s_mov_b64 s[0:1], -1
                                        ; implicit-def: $vgpr4_vgpr5
.LBB6_1500:
	s_andn2_b64 vcc, exec, s[0:1]
	s_cbranch_vccnz .LBB6_1502
; %bb.1501:
	global_load_dword v4, v[2:3], off
	s_waitcnt vmcnt(0)
	v_cvt_f64_f32_e32 v[4:5], v4
.LBB6_1502:
	s_mov_b64 s[0:1], 0
.LBB6_1503:
	s_andn2_b64 vcc, exec, s[0:1]
	s_cbranch_vccnz .LBB6_1505
; %bb.1504:
	global_load_dword v4, v[2:3], off
	s_waitcnt vmcnt(0)
	v_cvt_f32_f16_e32 v4, v4
	v_cvt_f64_f32_e32 v[4:5], v4
.LBB6_1505:
	s_mov_b64 s[0:1], 0
.LBB6_1506:
	s_andn2_b64 vcc, exec, s[0:1]
	s_cbranch_vccnz .LBB6_1517
; %bb.1507:
	s_cmp_lt_i32 s24, 6
	s_cbranch_scc1 .LBB6_1510
; %bb.1508:
	s_cmp_gt_i32 s24, 6
	s_cbranch_scc0 .LBB6_1511
; %bb.1509:
	global_load_dwordx2 v[4:5], v[2:3], off
	s_mov_b64 s[0:1], 0
	s_branch .LBB6_1512
.LBB6_1510:
	s_mov_b64 s[0:1], -1
                                        ; implicit-def: $vgpr4_vgpr5
	s_branch .LBB6_1515
.LBB6_1511:
	s_mov_b64 s[0:1], -1
                                        ; implicit-def: $vgpr4_vgpr5
.LBB6_1512:
	s_andn2_b64 vcc, exec, s[0:1]
	s_cbranch_vccnz .LBB6_1514
; %bb.1513:
	global_load_dword v4, v[2:3], off
	s_waitcnt vmcnt(0)
	v_cvt_f64_f32_e32 v[4:5], v4
.LBB6_1514:
	s_mov_b64 s[0:1], 0
.LBB6_1515:
	s_andn2_b64 vcc, exec, s[0:1]
	s_cbranch_vccnz .LBB6_1517
; %bb.1516:
	global_load_ushort v4, v[2:3], off
	s_waitcnt vmcnt(0)
	v_cvt_f32_f16_e32 v4, v4
	v_cvt_f64_f32_e32 v[4:5], v4
.LBB6_1517:
	s_mov_b64 s[0:1], 0
.LBB6_1518:
	s_andn2_b64 vcc, exec, s[0:1]
	s_cbranch_vccnz .LBB6_1538
; %bb.1519:
	s_cmp_lt_i32 s24, 2
	s_cbranch_scc1 .LBB6_1523
; %bb.1520:
	s_cmp_lt_i32 s24, 3
	s_cbranch_scc1 .LBB6_1524
; %bb.1521:
	s_cmp_gt_i32 s24, 3
	s_cbranch_scc0 .LBB6_1525
; %bb.1522:
	global_load_dwordx2 v[4:5], v[2:3], off
	s_mov_b64 s[0:1], 0
	s_waitcnt vmcnt(0)
	v_cvt_f64_i32_e32 v[11:12], v5
	v_cvt_f64_u32_e32 v[4:5], v4
	v_ldexp_f64 v[11:12], v[11:12], 32
	v_add_f64 v[4:5], v[11:12], v[4:5]
	s_branch .LBB6_1526
.LBB6_1523:
	s_mov_b64 s[0:1], -1
                                        ; implicit-def: $vgpr4_vgpr5
	s_branch .LBB6_1532
.LBB6_1524:
	s_mov_b64 s[0:1], -1
                                        ; implicit-def: $vgpr4_vgpr5
	s_branch .LBB6_1529
.LBB6_1525:
	s_mov_b64 s[0:1], -1
                                        ; implicit-def: $vgpr4_vgpr5
.LBB6_1526:
	s_andn2_b64 vcc, exec, s[0:1]
	s_cbranch_vccnz .LBB6_1528
; %bb.1527:
	global_load_dword v4, v[2:3], off
	s_waitcnt vmcnt(0)
	v_cvt_f64_i32_e32 v[4:5], v4
.LBB6_1528:
	s_mov_b64 s[0:1], 0
.LBB6_1529:
	s_andn2_b64 vcc, exec, s[0:1]
	s_cbranch_vccnz .LBB6_1531
; %bb.1530:
	global_load_sshort v4, v[2:3], off
	s_waitcnt vmcnt(0)
	v_cvt_f64_i32_e32 v[4:5], v4
.LBB6_1531:
	s_mov_b64 s[0:1], 0
.LBB6_1532:
	s_andn2_b64 vcc, exec, s[0:1]
	s_cbranch_vccnz .LBB6_1538
; %bb.1533:
	s_cmp_gt_i32 s24, 0
	s_cbranch_scc0 .LBB6_1535
; %bb.1534:
	global_load_sbyte v4, v[2:3], off
	s_mov_b64 s[0:1], 0
	s_waitcnt vmcnt(0)
	v_cvt_f64_i32_e32 v[4:5], v4
	s_branch .LBB6_1536
.LBB6_1535:
	s_mov_b64 s[0:1], -1
                                        ; implicit-def: $vgpr4_vgpr5
.LBB6_1536:
	s_andn2_b64 vcc, exec, s[0:1]
	s_cbranch_vccnz .LBB6_1538
; %bb.1537:
	global_load_ubyte v2, v[2:3], off
	s_waitcnt vmcnt(0)
	v_cvt_f64_u32_e32 v[4:5], v2
.LBB6_1538:
	s_mov_b64 s[10:11], -1
.LBB6_1539:
	s_andn2_b64 vcc, exec, s[10:11]
	s_cbranch_vccnz .LBB6_1973
; %bb.1540:
	s_waitcnt vmcnt(0)
	v_cmp_nge_f64_e64 s[0:1], v[0:1], -s[14:15]
	v_cmp_nge_f64_e32 vcc, s[14:15], v[0:1]
	v_mul_lo_u32 v12, s12, v10
	v_mov_b32_e32 v2, s9
	s_and_b32 s22, s33, 0xff
	v_ashrrev_i32_e32 v3, 31, v12
	s_or_b64 vcc, s[0:1], vcc
	v_cndmask_b32_e32 v1, 0, v1, vcc
	v_cndmask_b32_e32 v0, 0, v0, vcc
	v_add_co_u32_e32 v10, vcc, s8, v12
	s_cmp_lt_i32 s22, 11
	v_addc_co_u32_e32 v11, vcc, v2, v3, vcc
	s_cbranch_scc1 .LBB6_1618
; %bb.1541:
	s_and_b32 s13, 0xffff, s22
	s_mov_b64 s[18:19], -1
	s_mov_b64 s[2:3], 0
	s_cmp_gt_i32 s13, 25
	s_mov_b64 s[10:11], 0
	s_mov_b64 s[0:1], 0
	s_cbranch_scc0 .LBB6_1574
; %bb.1542:
	s_cmp_gt_i32 s13, 28
	s_cbranch_scc0 .LBB6_1557
; %bb.1543:
	s_cmp_gt_i32 s13, 43
	;; [unrolled: 3-line block ×3, first 2 shown]
	s_cbranch_scc0 .LBB6_1547
; %bb.1545:
	s_mov_b64 s[0:1], -1
	s_mov_b64 s[18:19], 0
	s_cmp_eq_u32 s13, 46
	s_cbranch_scc0 .LBB6_1547
; %bb.1546:
	v_cvt_f32_f64_e32 v2, v[0:1]
	s_movk_i32 s0, 0x7fff
	v_mov_b32_e32 v3, 0x7fc0
	s_mov_b64 s[10:11], -1
	v_bfe_u32 v13, v2, 16, 1
	v_cmp_o_f32_e32 vcc, v2, v2
	v_add3_u32 v2, v2, v13, s0
	v_cndmask_b32_sdwa v2, v3, v2, vcc dst_sel:DWORD dst_unused:UNUSED_PAD src0_sel:DWORD src1_sel:WORD_1
	global_store_dword v[10:11], v2, off
	s_mov_b64 s[0:1], 0
.LBB6_1547:
	s_and_b64 vcc, exec, s[18:19]
	s_cbranch_vccz .LBB6_1552
; %bb.1548:
	s_cmp_eq_u32 s13, 44
	s_mov_b64 s[0:1], -1
	s_cbranch_scc0 .LBB6_1552
; %bb.1549:
	v_cvt_f32_f64_e32 v2, v[0:1]
	s_movk_i32 s0, 0xff
	v_mov_b32_e32 v13, 0xff
	v_bfe_u32 v3, v2, 23, 8
	v_cmp_ne_u32_e32 vcc, s0, v3
	s_and_saveexec_b64 s[10:11], vcc
; %bb.1550:
	s_mov_b32 s0, 0x3fffff
	v_lshrrev_b32_e32 v13, 23, v2
	v_and_b32_e32 v14, 0x400000, v2
	v_and_or_b32 v2, v2, s0, v3
	v_cmp_ne_u32_e32 vcc, 0, v14
	v_cmp_ne_u32_e64 s[0:1], 0, v2
	s_and_b64 s[0:1], vcc, s[0:1]
	v_cndmask_b32_e64 v2, 0, 1, s[0:1]
	v_add_u32_e32 v13, v13, v2
; %bb.1551:
	s_or_b64 exec, exec, s[10:11]
	s_mov_b64 s[0:1], 0
	s_mov_b64 s[10:11], -1
	global_store_byte v[10:11], v13, off
.LBB6_1552:
	s_mov_b64 s[18:19], 0
.LBB6_1553:
	s_and_b64 vcc, exec, s[18:19]
	s_cbranch_vccz .LBB6_1556
; %bb.1554:
	s_cmp_eq_u32 s13, 29
	s_mov_b64 s[0:1], -1
	s_cbranch_scc0 .LBB6_1556
; %bb.1555:
	v_trunc_f64_e32 v[2:3], v[0:1]
	s_movk_i32 s0, 0xffe0
	s_mov_b64 s[10:11], -1
	v_ldexp_f64 v[13:14], v[2:3], s0
	s_mov_b32 s0, 0
	s_mov_b32 s1, 0xc1f00000
	v_floor_f64_e32 v[13:14], v[13:14]
	v_fma_f64 v[2:3], v[13:14], s[0:1], v[2:3]
	v_cvt_u32_f64_e32 v14, v[13:14]
	s_mov_b64 s[0:1], 0
	v_cvt_u32_f64_e32 v13, v[2:3]
	global_store_dwordx2 v[10:11], v[13:14], off
.LBB6_1556:
	s_mov_b64 s[18:19], 0
.LBB6_1557:
	s_and_b64 vcc, exec, s[18:19]
	s_cbranch_vccz .LBB6_1573
; %bb.1558:
	s_cmp_lt_i32 s13, 27
	s_mov_b64 s[10:11], -1
	s_cbranch_scc1 .LBB6_1564
; %bb.1559:
	v_cvt_u32_f64_e32 v2, v[0:1]
	s_cmp_gt_i32 s13, 27
	s_cbranch_scc0 .LBB6_1561
; %bb.1560:
	s_mov_b64 s[10:11], 0
	global_store_dword v[10:11], v2, off
.LBB6_1561:
	s_andn2_b64 vcc, exec, s[10:11]
	s_cbranch_vccnz .LBB6_1563
; %bb.1562:
	global_store_short v[10:11], v2, off
.LBB6_1563:
	s_mov_b64 s[10:11], 0
.LBB6_1564:
	s_andn2_b64 vcc, exec, s[10:11]
	s_cbranch_vccnz .LBB6_1572
; %bb.1565:
	v_cvt_f32_f64_e32 v2, v[0:1]
	s_mov_b32 s10, 0x43800000
	v_mov_b32_e32 v13, 0x80
	v_and_b32_e32 v3, 0x7fffffff, v2
	v_cmp_gt_u32_e32 vcc, s10, v3
	s_and_saveexec_b64 s[10:11], vcc
	s_cbranch_execz .LBB6_1571
; %bb.1566:
	s_mov_b32 s18, 0x3bffffff
	v_cmp_lt_u32_e32 vcc, s18, v3
	s_mov_b64 s[18:19], 0
                                        ; implicit-def: $vgpr3
	s_and_saveexec_b64 s[20:21], vcc
	s_xor_b64 s[20:21], exec, s[20:21]
	s_cbranch_execz .LBB6_2020
; %bb.1567:
	v_bfe_u32 v3, v2, 20, 1
	s_mov_b32 s23, 0x487ffff
	v_add3_u32 v3, v2, v3, s23
	s_mov_b64 s[18:19], exec
	v_lshrrev_b32_e32 v3, 20, v3
	s_andn2_saveexec_b64 s[20:21], s[20:21]
	s_cbranch_execnz .LBB6_2021
.LBB6_1568:
	s_or_b64 exec, exec, s[20:21]
	v_mov_b32_e32 v13, 0
	s_and_saveexec_b64 s[20:21], s[18:19]
.LBB6_1569:
	v_lshrrev_b32_e32 v2, 24, v2
	s_movk_i32 s18, 0x80
	v_and_or_b32 v13, v2, s18, v3
.LBB6_1570:
	s_or_b64 exec, exec, s[20:21]
.LBB6_1571:
	s_or_b64 exec, exec, s[10:11]
	global_store_byte v[10:11], v13, off
.LBB6_1572:
	s_mov_b64 s[10:11], -1
.LBB6_1573:
	s_mov_b64 s[18:19], 0
.LBB6_1574:
	s_and_b64 vcc, exec, s[18:19]
	s_cbranch_vccz .LBB6_1614
; %bb.1575:
	s_cmp_gt_i32 s13, 22
	s_mov_b64 s[2:3], -1
	s_cbranch_scc0 .LBB6_1607
; %bb.1576:
	s_cmp_lt_i32 s13, 24
	s_cbranch_scc1 .LBB6_1596
; %bb.1577:
	s_cmp_gt_i32 s13, 24
	s_cbranch_scc0 .LBB6_1585
; %bb.1578:
	v_cvt_f32_f64_e32 v2, v[0:1]
	s_mov_b32 s2, 0x47800000
	v_mov_b32_e32 v13, 0x80
	v_and_b32_e32 v3, 0x7fffffff, v2
	v_cmp_gt_u32_e32 vcc, s2, v3
	s_and_saveexec_b64 s[2:3], vcc
	s_cbranch_execz .LBB6_1584
; %bb.1579:
	s_mov_b32 s10, 0x37ffffff
	v_cmp_lt_u32_e32 vcc, s10, v3
	s_mov_b64 s[10:11], 0
                                        ; implicit-def: $vgpr3
	s_and_saveexec_b64 s[18:19], vcc
	s_xor_b64 s[18:19], exec, s[18:19]
	s_cbranch_execz .LBB6_2023
; %bb.1580:
	v_bfe_u32 v3, v2, 21, 1
	s_mov_b32 s20, 0x88fffff
	v_add3_u32 v3, v2, v3, s20
	s_mov_b64 s[10:11], exec
	v_lshrrev_b32_e32 v3, 21, v3
	s_andn2_saveexec_b64 s[18:19], s[18:19]
	s_cbranch_execnz .LBB6_2024
.LBB6_1581:
	s_or_b64 exec, exec, s[18:19]
	v_mov_b32_e32 v13, 0
	s_and_saveexec_b64 s[18:19], s[10:11]
.LBB6_1582:
	v_lshrrev_b32_e32 v2, 24, v2
	s_movk_i32 s10, 0x80
	v_and_or_b32 v13, v2, s10, v3
.LBB6_1583:
	s_or_b64 exec, exec, s[18:19]
.LBB6_1584:
	s_or_b64 exec, exec, s[2:3]
	s_mov_b64 s[2:3], 0
	global_store_byte v[10:11], v13, off
.LBB6_1585:
	s_and_b64 vcc, exec, s[2:3]
	s_cbranch_vccz .LBB6_1595
; %bb.1586:
	v_cvt_f32_f64_e32 v2, v[0:1]
	s_mov_b32 s2, 0x43f00000
                                        ; implicit-def: $vgpr3
	v_and_b32_e32 v13, 0x7fffffff, v2
	v_cmp_gt_u32_e32 vcc, s2, v13
	s_and_saveexec_b64 s[2:3], vcc
	s_xor_b64 s[2:3], exec, s[2:3]
	s_cbranch_execz .LBB6_1592
; %bb.1587:
	s_mov_b32 s10, 0x3c7fffff
	v_cmp_lt_u32_e32 vcc, s10, v13
                                        ; implicit-def: $vgpr3
	s_and_saveexec_b64 s[10:11], vcc
	s_xor_b64 s[10:11], exec, s[10:11]
; %bb.1588:
	v_bfe_u32 v3, v2, 20, 1
	s_mov_b32 s18, 0x407ffff
	v_add3_u32 v3, v2, v3, s18
	v_lshrrev_b32_e32 v13, 20, v3
	v_and_b32_e32 v3, 0xff00000, v3
	s_mov_b32 s18, 0x7f00000
	v_mov_b32_e32 v14, 0x7e
	v_cmp_ne_u32_e32 vcc, s18, v3
	v_cndmask_b32_e32 v3, v14, v13, vcc
; %bb.1589:
	s_andn2_saveexec_b64 s[10:11], s[10:11]
; %bb.1590:
	s_mov_b32 s18, 0x46800000
	v_add_f32_e64 v3, |v2|, s18
; %bb.1591:
	s_or_b64 exec, exec, s[10:11]
                                        ; implicit-def: $vgpr13
.LBB6_1592:
	s_andn2_saveexec_b64 s[2:3], s[2:3]
; %bb.1593:
	s_mov_b32 s10, 0x7f800000
	v_mov_b32_e32 v3, 0x7e
	v_mov_b32_e32 v14, 0x7f
	v_cmp_lt_u32_e32 vcc, s10, v13
	v_cndmask_b32_e32 v3, v3, v14, vcc
; %bb.1594:
	s_or_b64 exec, exec, s[2:3]
	v_lshrrev_b32_e32 v2, 24, v2
	s_movk_i32 s2, 0x80
	v_and_or_b32 v2, v2, s2, v3
	global_store_byte v[10:11], v2, off
.LBB6_1595:
	s_mov_b64 s[2:3], 0
.LBB6_1596:
	s_andn2_b64 vcc, exec, s[2:3]
	s_cbranch_vccnz .LBB6_1606
; %bb.1597:
	v_cvt_f32_f64_e32 v2, v[0:1]
	s_mov_b32 s2, 0x47800000
                                        ; implicit-def: $vgpr3
	v_and_b32_e32 v13, 0x7fffffff, v2
	v_cmp_gt_u32_e32 vcc, s2, v13
	s_and_saveexec_b64 s[2:3], vcc
	s_xor_b64 s[2:3], exec, s[2:3]
	s_cbranch_execz .LBB6_1603
; %bb.1598:
	s_mov_b32 s10, 0x387fffff
	v_cmp_lt_u32_e32 vcc, s10, v13
                                        ; implicit-def: $vgpr3
	s_and_saveexec_b64 s[10:11], vcc
	s_xor_b64 s[10:11], exec, s[10:11]
; %bb.1599:
	v_bfe_u32 v3, v2, 21, 1
	s_mov_b32 s18, 0x80fffff
	v_add3_u32 v3, v2, v3, s18
	v_lshrrev_b32_e32 v3, 21, v3
; %bb.1600:
	s_andn2_saveexec_b64 s[10:11], s[10:11]
; %bb.1601:
	s_mov_b32 s18, 0x43000000
	v_add_f32_e64 v3, |v2|, s18
; %bb.1602:
	s_or_b64 exec, exec, s[10:11]
                                        ; implicit-def: $vgpr13
.LBB6_1603:
	s_andn2_saveexec_b64 s[2:3], s[2:3]
; %bb.1604:
	s_mov_b32 s10, 0x7f800000
	v_mov_b32_e32 v3, 0x7c
	v_mov_b32_e32 v14, 0x7f
	v_cmp_lt_u32_e32 vcc, s10, v13
	v_cndmask_b32_e32 v3, v3, v14, vcc
; %bb.1605:
	s_or_b64 exec, exec, s[2:3]
	v_lshrrev_b32_e32 v2, 24, v2
	s_movk_i32 s2, 0x80
	v_and_or_b32 v2, v2, s2, v3
	global_store_byte v[10:11], v2, off
.LBB6_1606:
	s_mov_b64 s[2:3], 0
	s_mov_b64 s[10:11], -1
.LBB6_1607:
	s_andn2_b64 vcc, exec, s[2:3]
	s_mov_b64 s[2:3], 0
	s_cbranch_vccnz .LBB6_1614
; %bb.1608:
	s_cmp_gt_i32 s13, 14
	s_mov_b64 s[18:19], -1
	s_cbranch_scc0 .LBB6_1612
; %bb.1609:
	s_cmp_eq_u32 s13, 15
	s_mov_b64 s[0:1], -1
	s_cbranch_scc0 .LBB6_1611
; %bb.1610:
	v_cvt_f32_f64_e32 v2, v[0:1]
	s_movk_i32 s0, 0x7fff
	v_mov_b32_e32 v3, 0x7fc0
	s_mov_b64 s[10:11], -1
	v_bfe_u32 v13, v2, 16, 1
	v_cmp_o_f32_e32 vcc, v2, v2
	v_add3_u32 v2, v2, v13, s0
	v_cndmask_b32_sdwa v2, v3, v2, vcc dst_sel:DWORD dst_unused:UNUSED_PAD src0_sel:DWORD src1_sel:WORD_1
	global_store_short v[10:11], v2, off
	s_mov_b64 s[0:1], 0
.LBB6_1611:
	s_mov_b64 s[18:19], 0
.LBB6_1612:
	s_and_b64 vcc, exec, s[18:19]
	s_cbranch_vccz .LBB6_1614
; %bb.1613:
	s_cmp_lg_u32 s13, 11
	s_mov_b64 s[2:3], -1
	s_cselect_b64 s[0:1], -1, 0
.LBB6_1614:
	s_and_b64 vcc, exec, s[0:1]
	s_cbranch_vccnz .LBB6_2022
; %bb.1615:
	s_andn2_b64 vcc, exec, s[2:3]
	s_cbranch_vccnz .LBB6_1617
.LBB6_1616:
	v_cmp_neq_f64_e32 vcc, 0, v[0:1]
	s_mov_b64 s[10:11], -1
	v_cndmask_b32_e64 v2, 0, 1, vcc
	global_store_byte v[10:11], v2, off
.LBB6_1617:
	s_mov_b64 s[0:1], 0
	s_branch .LBB6_1619
.LBB6_1618:
	s_mov_b64 s[0:1], -1
	s_mov_b64 s[10:11], 0
.LBB6_1619:
	s_and_b64 vcc, exec, s[0:1]
	s_cbranch_vccz .LBB6_1658
; %bb.1620:
	s_and_b32 s2, 0xffff, s22
	s_cmp_lt_i32 s2, 5
	s_mov_b64 s[0:1], -1
	s_cbranch_scc1 .LBB6_1641
; %bb.1621:
	s_cmp_lt_i32 s2, 8
	s_cbranch_scc1 .LBB6_1631
; %bb.1622:
	s_cmp_lt_i32 s2, 9
	s_cbranch_scc1 .LBB6_1628
; %bb.1623:
	s_cmp_gt_i32 s2, 9
	s_cbranch_scc0 .LBB6_1625
; %bb.1624:
	v_mov_b32_e32 v2, 0
	v_mov_b32_e32 v3, v2
	global_store_dwordx4 v[10:11], v[0:3], off
	s_mov_b64 s[0:1], 0
.LBB6_1625:
	s_andn2_b64 vcc, exec, s[0:1]
	s_cbranch_vccnz .LBB6_1627
; %bb.1626:
	v_cvt_f32_f64_e32 v2, v[0:1]
	v_mov_b32_e32 v3, 0
	global_store_dwordx2 v[10:11], v[2:3], off
.LBB6_1627:
	s_mov_b64 s[0:1], 0
.LBB6_1628:
	s_andn2_b64 vcc, exec, s[0:1]
	s_cbranch_vccnz .LBB6_1630
; %bb.1629:
	s_movk_i32 s0, 0x1ff
	v_and_or_b32 v2, v1, s0, v0
	v_cmp_ne_u32_e32 vcc, 0, v2
	v_cndmask_b32_e64 v2, 0, 1, vcc
	v_lshrrev_b32_e32 v3, 8, v1
	s_movk_i32 s0, 0xffe
	v_bfe_u32 v13, v1, 20, 11
	v_and_or_b32 v2, v3, s0, v2
	v_sub_u32_e32 v14, 0x3f1, v13
	v_or_b32_e32 v3, 0x1000, v2
	v_med3_i32 v14, v14, 0, 13
	v_lshrrev_b32_e32 v15, v14, v3
	v_lshlrev_b32_e32 v14, v14, v15
	v_cmp_ne_u32_e32 vcc, v14, v3
	v_cndmask_b32_e64 v3, 0, 1, vcc
	v_add_u32_e32 v13, 0xfffffc10, v13
	v_or_b32_e32 v3, v15, v3
	v_lshl_or_b32 v14, v13, 12, v2
	v_cmp_gt_i32_e32 vcc, 1, v13
	v_cndmask_b32_e32 v3, v14, v3, vcc
	v_and_b32_e32 v14, 7, v3
	v_cmp_lt_i32_e32 vcc, 5, v14
	v_cndmask_b32_e64 v15, 0, 1, vcc
	v_cmp_eq_u32_e32 vcc, 3, v14
	v_cndmask_b32_e64 v14, 0, 1, vcc
	v_or_b32_e32 v14, v14, v15
	v_lshrrev_b32_e32 v3, 2, v3
	v_add_u32_e32 v3, v3, v14
	v_mov_b32_e32 v14, 0x7c00
	v_cmp_gt_i32_e32 vcc, 31, v13
	v_cndmask_b32_e32 v3, v14, v3, vcc
	v_mov_b32_e32 v15, 0x7e00
	v_cmp_ne_u32_e32 vcc, 0, v2
	s_movk_i32 s0, 0x40f
	v_cndmask_b32_e32 v2, v14, v15, vcc
	v_cmp_eq_u32_e32 vcc, s0, v13
	v_cndmask_b32_e32 v2, v3, v2, vcc
	v_lshrrev_b32_e32 v3, 16, v1
	s_mov_b32 s0, 0x8000
	v_and_or_b32 v2, v3, s0, v2
	v_and_b32_e32 v2, 0xffff, v2
	global_store_dword v[10:11], v2, off
.LBB6_1630:
	s_mov_b64 s[0:1], 0
.LBB6_1631:
	s_andn2_b64 vcc, exec, s[0:1]
	s_cbranch_vccnz .LBB6_1640
; %bb.1632:
	s_cmp_lt_i32 s2, 6
	s_mov_b64 s[0:1], -1
	s_cbranch_scc1 .LBB6_1638
; %bb.1633:
	s_cmp_gt_i32 s2, 6
	s_cbranch_scc0 .LBB6_1635
; %bb.1634:
	global_store_dwordx2 v[10:11], v[0:1], off
	s_mov_b64 s[0:1], 0
.LBB6_1635:
	s_andn2_b64 vcc, exec, s[0:1]
	s_cbranch_vccnz .LBB6_1637
; %bb.1636:
	v_cvt_f32_f64_e32 v2, v[0:1]
	global_store_dword v[10:11], v2, off
.LBB6_1637:
	s_mov_b64 s[0:1], 0
.LBB6_1638:
	s_andn2_b64 vcc, exec, s[0:1]
	s_cbranch_vccnz .LBB6_1640
; %bb.1639:
	s_movk_i32 s0, 0x1ff
	v_and_or_b32 v2, v1, s0, v0
	v_cmp_ne_u32_e32 vcc, 0, v2
	v_cndmask_b32_e64 v2, 0, 1, vcc
	v_lshrrev_b32_e32 v3, 8, v1
	s_movk_i32 s0, 0xffe
	v_bfe_u32 v13, v1, 20, 11
	v_and_or_b32 v2, v3, s0, v2
	v_sub_u32_e32 v14, 0x3f1, v13
	v_or_b32_e32 v3, 0x1000, v2
	v_med3_i32 v14, v14, 0, 13
	v_lshrrev_b32_e32 v15, v14, v3
	v_lshlrev_b32_e32 v14, v14, v15
	v_cmp_ne_u32_e32 vcc, v14, v3
	v_cndmask_b32_e64 v3, 0, 1, vcc
	v_add_u32_e32 v13, 0xfffffc10, v13
	v_or_b32_e32 v3, v15, v3
	v_lshl_or_b32 v14, v13, 12, v2
	v_cmp_gt_i32_e32 vcc, 1, v13
	v_cndmask_b32_e32 v3, v14, v3, vcc
	v_and_b32_e32 v14, 7, v3
	v_cmp_lt_i32_e32 vcc, 5, v14
	v_cndmask_b32_e64 v15, 0, 1, vcc
	v_cmp_eq_u32_e32 vcc, 3, v14
	v_cndmask_b32_e64 v14, 0, 1, vcc
	v_or_b32_e32 v14, v14, v15
	v_lshrrev_b32_e32 v3, 2, v3
	v_add_u32_e32 v3, v3, v14
	v_mov_b32_e32 v14, 0x7c00
	v_cmp_gt_i32_e32 vcc, 31, v13
	v_cndmask_b32_e32 v3, v14, v3, vcc
	v_mov_b32_e32 v15, 0x7e00
	v_cmp_ne_u32_e32 vcc, 0, v2
	s_movk_i32 s0, 0x40f
	v_cndmask_b32_e32 v2, v14, v15, vcc
	v_cmp_eq_u32_e32 vcc, s0, v13
	v_cndmask_b32_e32 v2, v3, v2, vcc
	v_lshrrev_b32_e32 v3, 16, v1
	s_mov_b32 s0, 0x8000
	v_and_or_b32 v2, v3, s0, v2
	global_store_short v[10:11], v2, off
.LBB6_1640:
	s_mov_b64 s[0:1], 0
.LBB6_1641:
	s_andn2_b64 vcc, exec, s[0:1]
	s_cbranch_vccnz .LBB6_1657
; %bb.1642:
	s_cmp_lt_i32 s2, 2
	s_mov_b64 s[0:1], -1
	s_cbranch_scc1 .LBB6_1652
; %bb.1643:
	s_cmp_lt_i32 s2, 3
	s_cbranch_scc1 .LBB6_1649
; %bb.1644:
	s_cmp_gt_i32 s2, 3
	s_cbranch_scc0 .LBB6_1646
; %bb.1645:
	v_trunc_f64_e32 v[2:3], v[0:1]
	s_movk_i32 s0, 0xffe0
	v_ldexp_f64 v[13:14], v[2:3], s0
	s_mov_b32 s0, 0
	s_mov_b32 s1, 0xc1f00000
	v_floor_f64_e32 v[13:14], v[13:14]
	v_fma_f64 v[2:3], v[13:14], s[0:1], v[2:3]
	v_cvt_i32_f64_e32 v14, v[13:14]
	s_mov_b64 s[0:1], 0
	v_cvt_u32_f64_e32 v13, v[2:3]
	global_store_dwordx2 v[10:11], v[13:14], off
.LBB6_1646:
	s_andn2_b64 vcc, exec, s[0:1]
	s_cbranch_vccnz .LBB6_1648
; %bb.1647:
	v_cvt_i32_f64_e32 v2, v[0:1]
	global_store_dword v[10:11], v2, off
.LBB6_1648:
	s_mov_b64 s[0:1], 0
.LBB6_1649:
	s_andn2_b64 vcc, exec, s[0:1]
	s_cbranch_vccnz .LBB6_1651
; %bb.1650:
	v_cvt_i32_f64_e32 v2, v[0:1]
	global_store_short v[10:11], v2, off
.LBB6_1651:
	s_mov_b64 s[0:1], 0
.LBB6_1652:
	s_andn2_b64 vcc, exec, s[0:1]
	s_cbranch_vccnz .LBB6_1657
; %bb.1653:
	s_cmp_gt_i32 s2, 0
	s_mov_b64 s[0:1], -1
	s_cbranch_scc0 .LBB6_1655
; %bb.1654:
	v_cvt_i32_f64_e32 v2, v[0:1]
	s_mov_b64 s[0:1], 0
	global_store_byte v[10:11], v2, off
.LBB6_1655:
	s_andn2_b64 vcc, exec, s[0:1]
	s_cbranch_vccnz .LBB6_1657
; %bb.1656:
	v_trunc_f64_e32 v[0:1], v[0:1]
	s_movk_i32 s0, 0xffe0
	v_ldexp_f64 v[2:3], v[0:1], s0
	s_mov_b32 s0, 0
	s_mov_b32 s1, 0xc1f00000
	v_floor_f64_e32 v[2:3], v[2:3]
	v_fma_f64 v[0:1], v[2:3], s[0:1], v[0:1]
	v_cvt_u32_f64_e32 v0, v[0:1]
	global_store_byte v[10:11], v0, off
.LBB6_1657:
	s_mov_b64 s[10:11], -1
.LBB6_1658:
	s_andn2_b64 vcc, exec, s[10:11]
	s_cbranch_vccnz .LBB6_1973
; %bb.1659:
	v_cmp_nge_f64_e64 s[0:1], v[8:9], -s[14:15]
	v_cmp_nge_f64_e32 vcc, s[14:15], v[8:9]
	s_lshl_b32 s20, s12, 7
	v_add_u32_e32 v10, s20, v12
	v_mov_b32_e32 v2, s9
	v_ashrrev_i32_e32 v3, 31, v10
	s_or_b64 vcc, s[0:1], vcc
	v_cndmask_b32_e32 v1, 0, v9, vcc
	v_cndmask_b32_e32 v0, 0, v8, vcc
	v_add_co_u32_e32 v8, vcc, s8, v10
	s_cmp_lt_i32 s22, 11
	v_addc_co_u32_e32 v9, vcc, v2, v3, vcc
	s_cbranch_scc1 .LBB6_1737
; %bb.1660:
	s_and_b32 s21, 0xffff, s22
	s_mov_b64 s[12:13], -1
	s_mov_b64 s[2:3], 0
	s_cmp_gt_i32 s21, 25
	s_mov_b64 s[10:11], 0
	s_mov_b64 s[0:1], 0
	s_cbranch_scc0 .LBB6_1693
; %bb.1661:
	s_cmp_gt_i32 s21, 28
	s_cbranch_scc0 .LBB6_1676
; %bb.1662:
	s_cmp_gt_i32 s21, 43
	;; [unrolled: 3-line block ×3, first 2 shown]
	s_cbranch_scc0 .LBB6_1666
; %bb.1664:
	s_mov_b64 s[0:1], -1
	s_mov_b64 s[12:13], 0
	s_cmp_eq_u32 s21, 46
	s_cbranch_scc0 .LBB6_1666
; %bb.1665:
	v_cvt_f32_f64_e32 v2, v[0:1]
	s_movk_i32 s0, 0x7fff
	v_mov_b32_e32 v3, 0x7fc0
	s_mov_b64 s[10:11], -1
	v_bfe_u32 v11, v2, 16, 1
	v_cmp_o_f32_e32 vcc, v2, v2
	v_add3_u32 v2, v2, v11, s0
	v_cndmask_b32_sdwa v2, v3, v2, vcc dst_sel:DWORD dst_unused:UNUSED_PAD src0_sel:DWORD src1_sel:WORD_1
	global_store_dword v[8:9], v2, off
	s_mov_b64 s[0:1], 0
.LBB6_1666:
	s_and_b64 vcc, exec, s[12:13]
	s_cbranch_vccz .LBB6_1671
; %bb.1667:
	s_cmp_eq_u32 s21, 44
	s_mov_b64 s[0:1], -1
	s_cbranch_scc0 .LBB6_1671
; %bb.1668:
	v_cvt_f32_f64_e32 v2, v[0:1]
	s_movk_i32 s0, 0xff
	v_mov_b32_e32 v11, 0xff
	v_bfe_u32 v3, v2, 23, 8
	v_cmp_ne_u32_e32 vcc, s0, v3
	s_and_saveexec_b64 s[10:11], vcc
; %bb.1669:
	s_mov_b32 s0, 0x3fffff
	v_lshrrev_b32_e32 v11, 23, v2
	v_and_b32_e32 v12, 0x400000, v2
	v_and_or_b32 v2, v2, s0, v3
	v_cmp_ne_u32_e32 vcc, 0, v12
	v_cmp_ne_u32_e64 s[0:1], 0, v2
	s_and_b64 s[0:1], vcc, s[0:1]
	v_cndmask_b32_e64 v2, 0, 1, s[0:1]
	v_add_u32_e32 v11, v11, v2
; %bb.1670:
	s_or_b64 exec, exec, s[10:11]
	s_mov_b64 s[0:1], 0
	s_mov_b64 s[10:11], -1
	global_store_byte v[8:9], v11, off
.LBB6_1671:
	s_mov_b64 s[12:13], 0
.LBB6_1672:
	s_and_b64 vcc, exec, s[12:13]
	s_cbranch_vccz .LBB6_1675
; %bb.1673:
	s_cmp_eq_u32 s21, 29
	s_mov_b64 s[0:1], -1
	s_cbranch_scc0 .LBB6_1675
; %bb.1674:
	v_trunc_f64_e32 v[2:3], v[0:1]
	s_movk_i32 s0, 0xffe0
	s_mov_b64 s[10:11], -1
	v_ldexp_f64 v[11:12], v[2:3], s0
	s_mov_b32 s0, 0
	s_mov_b32 s1, 0xc1f00000
	v_floor_f64_e32 v[11:12], v[11:12]
	v_fma_f64 v[2:3], v[11:12], s[0:1], v[2:3]
	v_cvt_u32_f64_e32 v12, v[11:12]
	s_mov_b64 s[0:1], 0
	v_cvt_u32_f64_e32 v11, v[2:3]
	global_store_dwordx2 v[8:9], v[11:12], off
.LBB6_1675:
	s_mov_b64 s[12:13], 0
.LBB6_1676:
	s_and_b64 vcc, exec, s[12:13]
	s_cbranch_vccz .LBB6_1692
; %bb.1677:
	s_cmp_lt_i32 s21, 27
	s_mov_b64 s[10:11], -1
	s_cbranch_scc1 .LBB6_1683
; %bb.1678:
	v_cvt_u32_f64_e32 v2, v[0:1]
	s_cmp_gt_i32 s21, 27
	s_cbranch_scc0 .LBB6_1680
; %bb.1679:
	s_mov_b64 s[10:11], 0
	global_store_dword v[8:9], v2, off
.LBB6_1680:
	s_andn2_b64 vcc, exec, s[10:11]
	s_cbranch_vccnz .LBB6_1682
; %bb.1681:
	global_store_short v[8:9], v2, off
.LBB6_1682:
	s_mov_b64 s[10:11], 0
.LBB6_1683:
	s_andn2_b64 vcc, exec, s[10:11]
	s_cbranch_vccnz .LBB6_1691
; %bb.1684:
	v_cvt_f32_f64_e32 v2, v[0:1]
	s_mov_b32 s10, 0x43800000
	v_mov_b32_e32 v11, 0x80
	v_and_b32_e32 v3, 0x7fffffff, v2
	v_cmp_gt_u32_e32 vcc, s10, v3
	s_and_saveexec_b64 s[10:11], vcc
	s_cbranch_execz .LBB6_1690
; %bb.1685:
	s_mov_b32 s12, 0x3bffffff
	v_cmp_lt_u32_e32 vcc, s12, v3
	s_mov_b64 s[12:13], 0
                                        ; implicit-def: $vgpr3
	s_and_saveexec_b64 s[18:19], vcc
	s_xor_b64 s[18:19], exec, s[18:19]
	s_cbranch_execz .LBB6_2025
; %bb.1686:
	v_bfe_u32 v3, v2, 20, 1
	s_mov_b32 s23, 0x487ffff
	v_add3_u32 v3, v2, v3, s23
	s_mov_b64 s[12:13], exec
	v_lshrrev_b32_e32 v3, 20, v3
	s_andn2_saveexec_b64 s[18:19], s[18:19]
	s_cbranch_execnz .LBB6_2026
.LBB6_1687:
	s_or_b64 exec, exec, s[18:19]
	v_mov_b32_e32 v11, 0
	s_and_saveexec_b64 s[18:19], s[12:13]
.LBB6_1688:
	v_lshrrev_b32_e32 v2, 24, v2
	s_movk_i32 s12, 0x80
	v_and_or_b32 v11, v2, s12, v3
.LBB6_1689:
	s_or_b64 exec, exec, s[18:19]
.LBB6_1690:
	s_or_b64 exec, exec, s[10:11]
	global_store_byte v[8:9], v11, off
.LBB6_1691:
	s_mov_b64 s[10:11], -1
.LBB6_1692:
	s_mov_b64 s[12:13], 0
.LBB6_1693:
	s_and_b64 vcc, exec, s[12:13]
	s_cbranch_vccz .LBB6_1733
; %bb.1694:
	s_cmp_gt_i32 s21, 22
	s_mov_b64 s[2:3], -1
	s_cbranch_scc0 .LBB6_1726
; %bb.1695:
	s_cmp_lt_i32 s21, 24
	s_cbranch_scc1 .LBB6_1715
; %bb.1696:
	s_cmp_gt_i32 s21, 24
	s_cbranch_scc0 .LBB6_1704
; %bb.1697:
	v_cvt_f32_f64_e32 v2, v[0:1]
	s_mov_b32 s2, 0x47800000
	v_mov_b32_e32 v11, 0x80
	v_and_b32_e32 v3, 0x7fffffff, v2
	v_cmp_gt_u32_e32 vcc, s2, v3
	s_and_saveexec_b64 s[2:3], vcc
	s_cbranch_execz .LBB6_1703
; %bb.1698:
	s_mov_b32 s10, 0x37ffffff
	v_cmp_lt_u32_e32 vcc, s10, v3
	s_mov_b64 s[10:11], 0
                                        ; implicit-def: $vgpr3
	s_and_saveexec_b64 s[12:13], vcc
	s_xor_b64 s[12:13], exec, s[12:13]
	s_cbranch_execz .LBB6_2028
; %bb.1699:
	v_bfe_u32 v3, v2, 21, 1
	s_mov_b32 s18, 0x88fffff
	v_add3_u32 v3, v2, v3, s18
	s_mov_b64 s[10:11], exec
	v_lshrrev_b32_e32 v3, 21, v3
	s_andn2_saveexec_b64 s[12:13], s[12:13]
	s_cbranch_execnz .LBB6_2029
.LBB6_1700:
	s_or_b64 exec, exec, s[12:13]
	v_mov_b32_e32 v11, 0
	s_and_saveexec_b64 s[12:13], s[10:11]
.LBB6_1701:
	v_lshrrev_b32_e32 v2, 24, v2
	s_movk_i32 s10, 0x80
	v_and_or_b32 v11, v2, s10, v3
.LBB6_1702:
	s_or_b64 exec, exec, s[12:13]
.LBB6_1703:
	s_or_b64 exec, exec, s[2:3]
	s_mov_b64 s[2:3], 0
	global_store_byte v[8:9], v11, off
.LBB6_1704:
	s_and_b64 vcc, exec, s[2:3]
	s_cbranch_vccz .LBB6_1714
; %bb.1705:
	v_cvt_f32_f64_e32 v2, v[0:1]
	s_mov_b32 s2, 0x43f00000
                                        ; implicit-def: $vgpr3
	v_and_b32_e32 v11, 0x7fffffff, v2
	v_cmp_gt_u32_e32 vcc, s2, v11
	s_and_saveexec_b64 s[2:3], vcc
	s_xor_b64 s[2:3], exec, s[2:3]
	s_cbranch_execz .LBB6_1711
; %bb.1706:
	s_mov_b32 s10, 0x3c7fffff
	v_cmp_lt_u32_e32 vcc, s10, v11
                                        ; implicit-def: $vgpr3
	s_and_saveexec_b64 s[10:11], vcc
	s_xor_b64 s[10:11], exec, s[10:11]
; %bb.1707:
	v_bfe_u32 v3, v2, 20, 1
	s_mov_b32 s12, 0x407ffff
	v_add3_u32 v3, v2, v3, s12
	v_lshrrev_b32_e32 v11, 20, v3
	v_and_b32_e32 v3, 0xff00000, v3
	s_mov_b32 s12, 0x7f00000
	v_mov_b32_e32 v12, 0x7e
	v_cmp_ne_u32_e32 vcc, s12, v3
	v_cndmask_b32_e32 v3, v12, v11, vcc
; %bb.1708:
	s_andn2_saveexec_b64 s[10:11], s[10:11]
; %bb.1709:
	s_mov_b32 s12, 0x46800000
	v_add_f32_e64 v3, |v2|, s12
; %bb.1710:
	s_or_b64 exec, exec, s[10:11]
                                        ; implicit-def: $vgpr11
.LBB6_1711:
	s_andn2_saveexec_b64 s[2:3], s[2:3]
; %bb.1712:
	s_mov_b32 s10, 0x7f800000
	v_mov_b32_e32 v3, 0x7e
	v_mov_b32_e32 v12, 0x7f
	v_cmp_lt_u32_e32 vcc, s10, v11
	v_cndmask_b32_e32 v3, v3, v12, vcc
; %bb.1713:
	s_or_b64 exec, exec, s[2:3]
	v_lshrrev_b32_e32 v2, 24, v2
	s_movk_i32 s2, 0x80
	v_and_or_b32 v2, v2, s2, v3
	global_store_byte v[8:9], v2, off
.LBB6_1714:
	s_mov_b64 s[2:3], 0
.LBB6_1715:
	s_andn2_b64 vcc, exec, s[2:3]
	s_cbranch_vccnz .LBB6_1725
; %bb.1716:
	v_cvt_f32_f64_e32 v2, v[0:1]
	s_mov_b32 s2, 0x47800000
                                        ; implicit-def: $vgpr3
	v_and_b32_e32 v11, 0x7fffffff, v2
	v_cmp_gt_u32_e32 vcc, s2, v11
	s_and_saveexec_b64 s[2:3], vcc
	s_xor_b64 s[2:3], exec, s[2:3]
	s_cbranch_execz .LBB6_1722
; %bb.1717:
	s_mov_b32 s10, 0x387fffff
	v_cmp_lt_u32_e32 vcc, s10, v11
                                        ; implicit-def: $vgpr3
	s_and_saveexec_b64 s[10:11], vcc
	s_xor_b64 s[10:11], exec, s[10:11]
; %bb.1718:
	v_bfe_u32 v3, v2, 21, 1
	s_mov_b32 s12, 0x80fffff
	v_add3_u32 v3, v2, v3, s12
	v_lshrrev_b32_e32 v3, 21, v3
; %bb.1719:
	s_andn2_saveexec_b64 s[10:11], s[10:11]
; %bb.1720:
	s_mov_b32 s12, 0x43000000
	v_add_f32_e64 v3, |v2|, s12
; %bb.1721:
	s_or_b64 exec, exec, s[10:11]
                                        ; implicit-def: $vgpr11
.LBB6_1722:
	s_andn2_saveexec_b64 s[2:3], s[2:3]
; %bb.1723:
	s_mov_b32 s10, 0x7f800000
	v_mov_b32_e32 v3, 0x7c
	v_mov_b32_e32 v12, 0x7f
	v_cmp_lt_u32_e32 vcc, s10, v11
	v_cndmask_b32_e32 v3, v3, v12, vcc
; %bb.1724:
	s_or_b64 exec, exec, s[2:3]
	v_lshrrev_b32_e32 v2, 24, v2
	s_movk_i32 s2, 0x80
	v_and_or_b32 v2, v2, s2, v3
	global_store_byte v[8:9], v2, off
.LBB6_1725:
	s_mov_b64 s[2:3], 0
	s_mov_b64 s[10:11], -1
.LBB6_1726:
	s_andn2_b64 vcc, exec, s[2:3]
	s_mov_b64 s[2:3], 0
	s_cbranch_vccnz .LBB6_1733
; %bb.1727:
	s_cmp_gt_i32 s21, 14
	s_mov_b64 s[12:13], -1
	s_cbranch_scc0 .LBB6_1731
; %bb.1728:
	s_cmp_eq_u32 s21, 15
	s_mov_b64 s[0:1], -1
	s_cbranch_scc0 .LBB6_1730
; %bb.1729:
	v_cvt_f32_f64_e32 v2, v[0:1]
	s_movk_i32 s0, 0x7fff
	v_mov_b32_e32 v3, 0x7fc0
	s_mov_b64 s[10:11], -1
	v_bfe_u32 v11, v2, 16, 1
	v_cmp_o_f32_e32 vcc, v2, v2
	v_add3_u32 v2, v2, v11, s0
	v_cndmask_b32_sdwa v2, v3, v2, vcc dst_sel:DWORD dst_unused:UNUSED_PAD src0_sel:DWORD src1_sel:WORD_1
	global_store_short v[8:9], v2, off
	s_mov_b64 s[0:1], 0
.LBB6_1730:
	s_mov_b64 s[12:13], 0
.LBB6_1731:
	s_and_b64 vcc, exec, s[12:13]
	s_cbranch_vccz .LBB6_1733
; %bb.1732:
	s_cmp_lg_u32 s21, 11
	s_mov_b64 s[2:3], -1
	s_cselect_b64 s[0:1], -1, 0
.LBB6_1733:
	s_and_b64 vcc, exec, s[0:1]
	s_cbranch_vccnz .LBB6_2027
; %bb.1734:
	s_andn2_b64 vcc, exec, s[2:3]
	s_cbranch_vccnz .LBB6_1736
.LBB6_1735:
	v_cmp_neq_f64_e32 vcc, 0, v[0:1]
	s_mov_b64 s[10:11], -1
	v_cndmask_b32_e64 v2, 0, 1, vcc
	global_store_byte v[8:9], v2, off
.LBB6_1736:
	s_mov_b64 s[0:1], 0
	s_branch .LBB6_1738
.LBB6_1737:
	s_mov_b64 s[0:1], -1
	s_mov_b64 s[10:11], 0
.LBB6_1738:
	s_and_b64 vcc, exec, s[0:1]
	s_cbranch_vccz .LBB6_1777
; %bb.1739:
	s_and_b32 s2, 0xffff, s22
	s_cmp_lt_i32 s2, 5
	s_mov_b64 s[0:1], -1
	s_cbranch_scc1 .LBB6_1760
; %bb.1740:
	s_cmp_lt_i32 s2, 8
	s_cbranch_scc1 .LBB6_1750
; %bb.1741:
	s_cmp_lt_i32 s2, 9
	s_cbranch_scc1 .LBB6_1747
; %bb.1742:
	s_cmp_gt_i32 s2, 9
	s_cbranch_scc0 .LBB6_1744
; %bb.1743:
	v_mov_b32_e32 v2, 0
	v_mov_b32_e32 v3, v2
	global_store_dwordx4 v[8:9], v[0:3], off
	s_mov_b64 s[0:1], 0
.LBB6_1744:
	s_andn2_b64 vcc, exec, s[0:1]
	s_cbranch_vccnz .LBB6_1746
; %bb.1745:
	v_cvt_f32_f64_e32 v2, v[0:1]
	v_mov_b32_e32 v3, 0
	global_store_dwordx2 v[8:9], v[2:3], off
.LBB6_1746:
	s_mov_b64 s[0:1], 0
.LBB6_1747:
	s_andn2_b64 vcc, exec, s[0:1]
	s_cbranch_vccnz .LBB6_1749
; %bb.1748:
	s_movk_i32 s0, 0x1ff
	v_and_or_b32 v2, v1, s0, v0
	v_cmp_ne_u32_e32 vcc, 0, v2
	v_cndmask_b32_e64 v2, 0, 1, vcc
	v_lshrrev_b32_e32 v3, 8, v1
	s_movk_i32 s0, 0xffe
	v_bfe_u32 v11, v1, 20, 11
	v_and_or_b32 v2, v3, s0, v2
	v_sub_u32_e32 v12, 0x3f1, v11
	v_or_b32_e32 v3, 0x1000, v2
	v_med3_i32 v12, v12, 0, 13
	v_lshrrev_b32_e32 v13, v12, v3
	v_lshlrev_b32_e32 v12, v12, v13
	v_cmp_ne_u32_e32 vcc, v12, v3
	v_cndmask_b32_e64 v3, 0, 1, vcc
	v_add_u32_e32 v11, 0xfffffc10, v11
	v_or_b32_e32 v3, v13, v3
	v_lshl_or_b32 v12, v11, 12, v2
	v_cmp_gt_i32_e32 vcc, 1, v11
	v_cndmask_b32_e32 v3, v12, v3, vcc
	v_and_b32_e32 v12, 7, v3
	v_cmp_lt_i32_e32 vcc, 5, v12
	v_cndmask_b32_e64 v13, 0, 1, vcc
	v_cmp_eq_u32_e32 vcc, 3, v12
	v_cndmask_b32_e64 v12, 0, 1, vcc
	v_or_b32_e32 v12, v12, v13
	v_lshrrev_b32_e32 v3, 2, v3
	v_add_u32_e32 v3, v3, v12
	v_mov_b32_e32 v12, 0x7c00
	v_cmp_gt_i32_e32 vcc, 31, v11
	v_cndmask_b32_e32 v3, v12, v3, vcc
	v_mov_b32_e32 v13, 0x7e00
	v_cmp_ne_u32_e32 vcc, 0, v2
	s_movk_i32 s0, 0x40f
	v_cndmask_b32_e32 v2, v12, v13, vcc
	v_cmp_eq_u32_e32 vcc, s0, v11
	v_cndmask_b32_e32 v2, v3, v2, vcc
	v_lshrrev_b32_e32 v3, 16, v1
	s_mov_b32 s0, 0x8000
	v_and_or_b32 v2, v3, s0, v2
	v_and_b32_e32 v2, 0xffff, v2
	global_store_dword v[8:9], v2, off
.LBB6_1749:
	s_mov_b64 s[0:1], 0
.LBB6_1750:
	s_andn2_b64 vcc, exec, s[0:1]
	s_cbranch_vccnz .LBB6_1759
; %bb.1751:
	s_cmp_lt_i32 s2, 6
	s_mov_b64 s[0:1], -1
	s_cbranch_scc1 .LBB6_1757
; %bb.1752:
	s_cmp_gt_i32 s2, 6
	s_cbranch_scc0 .LBB6_1754
; %bb.1753:
	global_store_dwordx2 v[8:9], v[0:1], off
	s_mov_b64 s[0:1], 0
.LBB6_1754:
	s_andn2_b64 vcc, exec, s[0:1]
	s_cbranch_vccnz .LBB6_1756
; %bb.1755:
	v_cvt_f32_f64_e32 v2, v[0:1]
	global_store_dword v[8:9], v2, off
.LBB6_1756:
	s_mov_b64 s[0:1], 0
.LBB6_1757:
	s_andn2_b64 vcc, exec, s[0:1]
	s_cbranch_vccnz .LBB6_1759
; %bb.1758:
	s_movk_i32 s0, 0x1ff
	v_and_or_b32 v2, v1, s0, v0
	v_cmp_ne_u32_e32 vcc, 0, v2
	v_cndmask_b32_e64 v2, 0, 1, vcc
	v_lshrrev_b32_e32 v3, 8, v1
	s_movk_i32 s0, 0xffe
	v_bfe_u32 v11, v1, 20, 11
	v_and_or_b32 v2, v3, s0, v2
	v_sub_u32_e32 v12, 0x3f1, v11
	v_or_b32_e32 v3, 0x1000, v2
	v_med3_i32 v12, v12, 0, 13
	v_lshrrev_b32_e32 v13, v12, v3
	v_lshlrev_b32_e32 v12, v12, v13
	v_cmp_ne_u32_e32 vcc, v12, v3
	v_cndmask_b32_e64 v3, 0, 1, vcc
	v_add_u32_e32 v11, 0xfffffc10, v11
	v_or_b32_e32 v3, v13, v3
	v_lshl_or_b32 v12, v11, 12, v2
	v_cmp_gt_i32_e32 vcc, 1, v11
	v_cndmask_b32_e32 v3, v12, v3, vcc
	v_and_b32_e32 v12, 7, v3
	v_cmp_lt_i32_e32 vcc, 5, v12
	v_cndmask_b32_e64 v13, 0, 1, vcc
	v_cmp_eq_u32_e32 vcc, 3, v12
	v_cndmask_b32_e64 v12, 0, 1, vcc
	v_or_b32_e32 v12, v12, v13
	v_lshrrev_b32_e32 v3, 2, v3
	v_add_u32_e32 v3, v3, v12
	v_mov_b32_e32 v12, 0x7c00
	v_cmp_gt_i32_e32 vcc, 31, v11
	v_cndmask_b32_e32 v3, v12, v3, vcc
	v_mov_b32_e32 v13, 0x7e00
	v_cmp_ne_u32_e32 vcc, 0, v2
	s_movk_i32 s0, 0x40f
	v_cndmask_b32_e32 v2, v12, v13, vcc
	v_cmp_eq_u32_e32 vcc, s0, v11
	v_cndmask_b32_e32 v2, v3, v2, vcc
	v_lshrrev_b32_e32 v3, 16, v1
	s_mov_b32 s0, 0x8000
	v_and_or_b32 v2, v3, s0, v2
	global_store_short v[8:9], v2, off
.LBB6_1759:
	s_mov_b64 s[0:1], 0
.LBB6_1760:
	s_andn2_b64 vcc, exec, s[0:1]
	s_cbranch_vccnz .LBB6_1776
; %bb.1761:
	s_cmp_lt_i32 s2, 2
	s_mov_b64 s[0:1], -1
	s_cbranch_scc1 .LBB6_1771
; %bb.1762:
	s_cmp_lt_i32 s2, 3
	s_cbranch_scc1 .LBB6_1768
; %bb.1763:
	s_cmp_gt_i32 s2, 3
	s_cbranch_scc0 .LBB6_1765
; %bb.1764:
	v_trunc_f64_e32 v[2:3], v[0:1]
	s_movk_i32 s0, 0xffe0
	v_ldexp_f64 v[11:12], v[2:3], s0
	s_mov_b32 s0, 0
	s_mov_b32 s1, 0xc1f00000
	v_floor_f64_e32 v[11:12], v[11:12]
	v_fma_f64 v[2:3], v[11:12], s[0:1], v[2:3]
	v_cvt_i32_f64_e32 v12, v[11:12]
	s_mov_b64 s[0:1], 0
	v_cvt_u32_f64_e32 v11, v[2:3]
	global_store_dwordx2 v[8:9], v[11:12], off
.LBB6_1765:
	s_andn2_b64 vcc, exec, s[0:1]
	s_cbranch_vccnz .LBB6_1767
; %bb.1766:
	v_cvt_i32_f64_e32 v2, v[0:1]
	global_store_dword v[8:9], v2, off
.LBB6_1767:
	s_mov_b64 s[0:1], 0
.LBB6_1768:
	s_andn2_b64 vcc, exec, s[0:1]
	s_cbranch_vccnz .LBB6_1770
; %bb.1769:
	v_cvt_i32_f64_e32 v2, v[0:1]
	global_store_short v[8:9], v2, off
.LBB6_1770:
	s_mov_b64 s[0:1], 0
.LBB6_1771:
	s_andn2_b64 vcc, exec, s[0:1]
	s_cbranch_vccnz .LBB6_1776
; %bb.1772:
	s_cmp_gt_i32 s2, 0
	s_mov_b64 s[0:1], -1
	s_cbranch_scc0 .LBB6_1774
; %bb.1773:
	v_cvt_i32_f64_e32 v2, v[0:1]
	s_mov_b64 s[0:1], 0
	global_store_byte v[8:9], v2, off
.LBB6_1774:
	s_andn2_b64 vcc, exec, s[0:1]
	s_cbranch_vccnz .LBB6_1776
; %bb.1775:
	v_trunc_f64_e32 v[0:1], v[0:1]
	s_movk_i32 s0, 0xffe0
	v_ldexp_f64 v[2:3], v[0:1], s0
	s_mov_b32 s0, 0
	s_mov_b32 s1, 0xc1f00000
	v_floor_f64_e32 v[2:3], v[2:3]
	v_fma_f64 v[0:1], v[2:3], s[0:1], v[0:1]
	v_cvt_u32_f64_e32 v0, v[0:1]
	global_store_byte v[8:9], v0, off
.LBB6_1776:
	s_mov_b64 s[10:11], -1
.LBB6_1777:
	s_andn2_b64 vcc, exec, s[10:11]
	s_cbranch_vccnz .LBB6_1973
; %bb.1778:
	v_cmp_nge_f64_e64 s[0:1], v[6:7], -s[14:15]
	v_cmp_nge_f64_e32 vcc, s[14:15], v[6:7]
	v_add_u32_e32 v8, s20, v10
	v_mov_b32_e32 v2, s9
	v_ashrrev_i32_e32 v3, 31, v8
	s_or_b64 vcc, s[0:1], vcc
	v_cndmask_b32_e32 v1, 0, v7, vcc
	v_cndmask_b32_e32 v0, 0, v6, vcc
	v_add_co_u32_e32 v6, vcc, s8, v8
	s_cmp_lt_i32 s22, 11
	v_addc_co_u32_e32 v7, vcc, v2, v3, vcc
	s_cbranch_scc1 .LBB6_1856
; %bb.1779:
	s_and_b32 s21, 0xffff, s22
	s_mov_b64 s[12:13], -1
	s_mov_b64 s[2:3], 0
	s_cmp_gt_i32 s21, 25
	s_mov_b64 s[10:11], 0
	s_mov_b64 s[0:1], 0
	s_cbranch_scc0 .LBB6_1812
; %bb.1780:
	s_cmp_gt_i32 s21, 28
	s_cbranch_scc0 .LBB6_1795
; %bb.1781:
	s_cmp_gt_i32 s21, 43
	;; [unrolled: 3-line block ×3, first 2 shown]
	s_cbranch_scc0 .LBB6_1785
; %bb.1783:
	s_mov_b64 s[0:1], -1
	s_mov_b64 s[12:13], 0
	s_cmp_eq_u32 s21, 46
	s_cbranch_scc0 .LBB6_1785
; %bb.1784:
	v_cvt_f32_f64_e32 v2, v[0:1]
	s_movk_i32 s0, 0x7fff
	v_mov_b32_e32 v3, 0x7fc0
	s_mov_b64 s[10:11], -1
	v_bfe_u32 v9, v2, 16, 1
	v_cmp_o_f32_e32 vcc, v2, v2
	v_add3_u32 v2, v2, v9, s0
	v_cndmask_b32_sdwa v2, v3, v2, vcc dst_sel:DWORD dst_unused:UNUSED_PAD src0_sel:DWORD src1_sel:WORD_1
	global_store_dword v[6:7], v2, off
	s_mov_b64 s[0:1], 0
.LBB6_1785:
	s_and_b64 vcc, exec, s[12:13]
	s_cbranch_vccz .LBB6_1790
; %bb.1786:
	s_cmp_eq_u32 s21, 44
	s_mov_b64 s[0:1], -1
	s_cbranch_scc0 .LBB6_1790
; %bb.1787:
	v_cvt_f32_f64_e32 v2, v[0:1]
	s_movk_i32 s0, 0xff
	v_mov_b32_e32 v9, 0xff
	v_bfe_u32 v3, v2, 23, 8
	v_cmp_ne_u32_e32 vcc, s0, v3
	s_and_saveexec_b64 s[10:11], vcc
; %bb.1788:
	s_mov_b32 s0, 0x3fffff
	v_lshrrev_b32_e32 v9, 23, v2
	v_and_b32_e32 v10, 0x400000, v2
	v_and_or_b32 v2, v2, s0, v3
	v_cmp_ne_u32_e32 vcc, 0, v10
	v_cmp_ne_u32_e64 s[0:1], 0, v2
	s_and_b64 s[0:1], vcc, s[0:1]
	v_cndmask_b32_e64 v2, 0, 1, s[0:1]
	v_add_u32_e32 v9, v9, v2
; %bb.1789:
	s_or_b64 exec, exec, s[10:11]
	s_mov_b64 s[0:1], 0
	s_mov_b64 s[10:11], -1
	global_store_byte v[6:7], v9, off
.LBB6_1790:
	s_mov_b64 s[12:13], 0
.LBB6_1791:
	s_and_b64 vcc, exec, s[12:13]
	s_cbranch_vccz .LBB6_1794
; %bb.1792:
	s_cmp_eq_u32 s21, 29
	s_mov_b64 s[0:1], -1
	s_cbranch_scc0 .LBB6_1794
; %bb.1793:
	v_trunc_f64_e32 v[2:3], v[0:1]
	s_movk_i32 s0, 0xffe0
	s_mov_b64 s[10:11], -1
	v_ldexp_f64 v[9:10], v[2:3], s0
	s_mov_b32 s0, 0
	s_mov_b32 s1, 0xc1f00000
	v_floor_f64_e32 v[9:10], v[9:10]
	v_fma_f64 v[2:3], v[9:10], s[0:1], v[2:3]
	v_cvt_u32_f64_e32 v10, v[9:10]
	s_mov_b64 s[0:1], 0
	v_cvt_u32_f64_e32 v9, v[2:3]
	global_store_dwordx2 v[6:7], v[9:10], off
.LBB6_1794:
	s_mov_b64 s[12:13], 0
.LBB6_1795:
	s_and_b64 vcc, exec, s[12:13]
	s_cbranch_vccz .LBB6_1811
; %bb.1796:
	s_cmp_lt_i32 s21, 27
	s_mov_b64 s[10:11], -1
	s_cbranch_scc1 .LBB6_1802
; %bb.1797:
	v_cvt_u32_f64_e32 v2, v[0:1]
	s_cmp_gt_i32 s21, 27
	s_cbranch_scc0 .LBB6_1799
; %bb.1798:
	s_mov_b64 s[10:11], 0
	global_store_dword v[6:7], v2, off
.LBB6_1799:
	s_andn2_b64 vcc, exec, s[10:11]
	s_cbranch_vccnz .LBB6_1801
; %bb.1800:
	global_store_short v[6:7], v2, off
.LBB6_1801:
	s_mov_b64 s[10:11], 0
.LBB6_1802:
	s_andn2_b64 vcc, exec, s[10:11]
	s_cbranch_vccnz .LBB6_1810
; %bb.1803:
	v_cvt_f32_f64_e32 v2, v[0:1]
	s_mov_b32 s10, 0x43800000
	v_mov_b32_e32 v9, 0x80
	v_and_b32_e32 v3, 0x7fffffff, v2
	v_cmp_gt_u32_e32 vcc, s10, v3
	s_and_saveexec_b64 s[10:11], vcc
	s_cbranch_execz .LBB6_1809
; %bb.1804:
	s_mov_b32 s12, 0x3bffffff
	v_cmp_lt_u32_e32 vcc, s12, v3
	s_mov_b64 s[12:13], 0
                                        ; implicit-def: $vgpr3
	s_and_saveexec_b64 s[18:19], vcc
	s_xor_b64 s[18:19], exec, s[18:19]
	s_cbranch_execz .LBB6_2030
; %bb.1805:
	v_bfe_u32 v3, v2, 20, 1
	s_mov_b32 s23, 0x487ffff
	v_add3_u32 v3, v2, v3, s23
	s_mov_b64 s[12:13], exec
	v_lshrrev_b32_e32 v3, 20, v3
	s_andn2_saveexec_b64 s[18:19], s[18:19]
	s_cbranch_execnz .LBB6_2031
.LBB6_1806:
	s_or_b64 exec, exec, s[18:19]
	v_mov_b32_e32 v9, 0
	s_and_saveexec_b64 s[18:19], s[12:13]
.LBB6_1807:
	v_lshrrev_b32_e32 v2, 24, v2
	s_movk_i32 s12, 0x80
	v_and_or_b32 v9, v2, s12, v3
.LBB6_1808:
	s_or_b64 exec, exec, s[18:19]
.LBB6_1809:
	s_or_b64 exec, exec, s[10:11]
	global_store_byte v[6:7], v9, off
.LBB6_1810:
	s_mov_b64 s[10:11], -1
.LBB6_1811:
	s_mov_b64 s[12:13], 0
.LBB6_1812:
	s_and_b64 vcc, exec, s[12:13]
	s_cbranch_vccz .LBB6_1852
; %bb.1813:
	s_cmp_gt_i32 s21, 22
	s_mov_b64 s[2:3], -1
	s_cbranch_scc0 .LBB6_1845
; %bb.1814:
	s_cmp_lt_i32 s21, 24
	s_cbranch_scc1 .LBB6_1834
; %bb.1815:
	s_cmp_gt_i32 s21, 24
	s_cbranch_scc0 .LBB6_1823
; %bb.1816:
	v_cvt_f32_f64_e32 v2, v[0:1]
	s_mov_b32 s2, 0x47800000
	v_mov_b32_e32 v9, 0x80
	v_and_b32_e32 v3, 0x7fffffff, v2
	v_cmp_gt_u32_e32 vcc, s2, v3
	s_and_saveexec_b64 s[2:3], vcc
	s_cbranch_execz .LBB6_1822
; %bb.1817:
	s_mov_b32 s10, 0x37ffffff
	v_cmp_lt_u32_e32 vcc, s10, v3
	s_mov_b64 s[10:11], 0
                                        ; implicit-def: $vgpr3
	s_and_saveexec_b64 s[12:13], vcc
	s_xor_b64 s[12:13], exec, s[12:13]
	s_cbranch_execz .LBB6_2033
; %bb.1818:
	v_bfe_u32 v3, v2, 21, 1
	s_mov_b32 s18, 0x88fffff
	v_add3_u32 v3, v2, v3, s18
	s_mov_b64 s[10:11], exec
	v_lshrrev_b32_e32 v3, 21, v3
	s_andn2_saveexec_b64 s[12:13], s[12:13]
	s_cbranch_execnz .LBB6_2034
.LBB6_1819:
	s_or_b64 exec, exec, s[12:13]
	v_mov_b32_e32 v9, 0
	s_and_saveexec_b64 s[12:13], s[10:11]
.LBB6_1820:
	v_lshrrev_b32_e32 v2, 24, v2
	s_movk_i32 s10, 0x80
	v_and_or_b32 v9, v2, s10, v3
.LBB6_1821:
	s_or_b64 exec, exec, s[12:13]
.LBB6_1822:
	s_or_b64 exec, exec, s[2:3]
	s_mov_b64 s[2:3], 0
	global_store_byte v[6:7], v9, off
.LBB6_1823:
	s_and_b64 vcc, exec, s[2:3]
	s_cbranch_vccz .LBB6_1833
; %bb.1824:
	v_cvt_f32_f64_e32 v2, v[0:1]
	s_mov_b32 s2, 0x43f00000
                                        ; implicit-def: $vgpr3
	v_and_b32_e32 v9, 0x7fffffff, v2
	v_cmp_gt_u32_e32 vcc, s2, v9
	s_and_saveexec_b64 s[2:3], vcc
	s_xor_b64 s[2:3], exec, s[2:3]
	s_cbranch_execz .LBB6_1830
; %bb.1825:
	s_mov_b32 s10, 0x3c7fffff
	v_cmp_lt_u32_e32 vcc, s10, v9
                                        ; implicit-def: $vgpr3
	s_and_saveexec_b64 s[10:11], vcc
	s_xor_b64 s[10:11], exec, s[10:11]
; %bb.1826:
	v_bfe_u32 v3, v2, 20, 1
	s_mov_b32 s12, 0x407ffff
	v_add3_u32 v3, v2, v3, s12
	v_lshrrev_b32_e32 v9, 20, v3
	v_and_b32_e32 v3, 0xff00000, v3
	s_mov_b32 s12, 0x7f00000
	v_mov_b32_e32 v10, 0x7e
	v_cmp_ne_u32_e32 vcc, s12, v3
	v_cndmask_b32_e32 v3, v10, v9, vcc
; %bb.1827:
	s_andn2_saveexec_b64 s[10:11], s[10:11]
; %bb.1828:
	s_mov_b32 s12, 0x46800000
	v_add_f32_e64 v3, |v2|, s12
; %bb.1829:
	s_or_b64 exec, exec, s[10:11]
                                        ; implicit-def: $vgpr9
.LBB6_1830:
	s_andn2_saveexec_b64 s[2:3], s[2:3]
; %bb.1831:
	s_mov_b32 s10, 0x7f800000
	v_mov_b32_e32 v3, 0x7e
	v_mov_b32_e32 v10, 0x7f
	v_cmp_lt_u32_e32 vcc, s10, v9
	v_cndmask_b32_e32 v3, v3, v10, vcc
; %bb.1832:
	s_or_b64 exec, exec, s[2:3]
	v_lshrrev_b32_e32 v2, 24, v2
	s_movk_i32 s2, 0x80
	v_and_or_b32 v2, v2, s2, v3
	global_store_byte v[6:7], v2, off
.LBB6_1833:
	s_mov_b64 s[2:3], 0
.LBB6_1834:
	s_andn2_b64 vcc, exec, s[2:3]
	s_cbranch_vccnz .LBB6_1844
; %bb.1835:
	v_cvt_f32_f64_e32 v2, v[0:1]
	s_mov_b32 s2, 0x47800000
                                        ; implicit-def: $vgpr3
	v_and_b32_e32 v9, 0x7fffffff, v2
	v_cmp_gt_u32_e32 vcc, s2, v9
	s_and_saveexec_b64 s[2:3], vcc
	s_xor_b64 s[2:3], exec, s[2:3]
	s_cbranch_execz .LBB6_1841
; %bb.1836:
	s_mov_b32 s10, 0x387fffff
	v_cmp_lt_u32_e32 vcc, s10, v9
                                        ; implicit-def: $vgpr3
	s_and_saveexec_b64 s[10:11], vcc
	s_xor_b64 s[10:11], exec, s[10:11]
; %bb.1837:
	v_bfe_u32 v3, v2, 21, 1
	s_mov_b32 s12, 0x80fffff
	v_add3_u32 v3, v2, v3, s12
	v_lshrrev_b32_e32 v3, 21, v3
; %bb.1838:
	s_andn2_saveexec_b64 s[10:11], s[10:11]
; %bb.1839:
	s_mov_b32 s12, 0x43000000
	v_add_f32_e64 v3, |v2|, s12
; %bb.1840:
	s_or_b64 exec, exec, s[10:11]
                                        ; implicit-def: $vgpr9
.LBB6_1841:
	s_andn2_saveexec_b64 s[2:3], s[2:3]
; %bb.1842:
	s_mov_b32 s10, 0x7f800000
	v_mov_b32_e32 v3, 0x7c
	v_mov_b32_e32 v10, 0x7f
	v_cmp_lt_u32_e32 vcc, s10, v9
	v_cndmask_b32_e32 v3, v3, v10, vcc
; %bb.1843:
	s_or_b64 exec, exec, s[2:3]
	v_lshrrev_b32_e32 v2, 24, v2
	s_movk_i32 s2, 0x80
	v_and_or_b32 v2, v2, s2, v3
	global_store_byte v[6:7], v2, off
.LBB6_1844:
	s_mov_b64 s[2:3], 0
	s_mov_b64 s[10:11], -1
.LBB6_1845:
	s_andn2_b64 vcc, exec, s[2:3]
	s_mov_b64 s[2:3], 0
	s_cbranch_vccnz .LBB6_1852
; %bb.1846:
	s_cmp_gt_i32 s21, 14
	s_mov_b64 s[12:13], -1
	s_cbranch_scc0 .LBB6_1850
; %bb.1847:
	s_cmp_eq_u32 s21, 15
	s_mov_b64 s[0:1], -1
	s_cbranch_scc0 .LBB6_1849
; %bb.1848:
	v_cvt_f32_f64_e32 v2, v[0:1]
	s_movk_i32 s0, 0x7fff
	v_mov_b32_e32 v3, 0x7fc0
	s_mov_b64 s[10:11], -1
	v_bfe_u32 v9, v2, 16, 1
	v_cmp_o_f32_e32 vcc, v2, v2
	v_add3_u32 v2, v2, v9, s0
	v_cndmask_b32_sdwa v2, v3, v2, vcc dst_sel:DWORD dst_unused:UNUSED_PAD src0_sel:DWORD src1_sel:WORD_1
	global_store_short v[6:7], v2, off
	s_mov_b64 s[0:1], 0
.LBB6_1849:
	s_mov_b64 s[12:13], 0
.LBB6_1850:
	s_and_b64 vcc, exec, s[12:13]
	s_cbranch_vccz .LBB6_1852
; %bb.1851:
	s_cmp_lg_u32 s21, 11
	s_mov_b64 s[2:3], -1
	s_cselect_b64 s[0:1], -1, 0
.LBB6_1852:
	s_and_b64 vcc, exec, s[0:1]
	s_cbranch_vccnz .LBB6_2032
; %bb.1853:
	s_andn2_b64 vcc, exec, s[2:3]
	s_cbranch_vccnz .LBB6_1855
.LBB6_1854:
	v_cmp_neq_f64_e32 vcc, 0, v[0:1]
	s_mov_b64 s[10:11], -1
	v_cndmask_b32_e64 v2, 0, 1, vcc
	global_store_byte v[6:7], v2, off
.LBB6_1855:
	s_mov_b64 s[0:1], 0
	s_branch .LBB6_1857
.LBB6_1856:
	s_mov_b64 s[0:1], -1
	s_mov_b64 s[10:11], 0
.LBB6_1857:
	s_and_b64 vcc, exec, s[0:1]
	s_cbranch_vccz .LBB6_1896
; %bb.1858:
	s_and_b32 s2, 0xffff, s22
	s_cmp_lt_i32 s2, 5
	s_mov_b64 s[0:1], -1
	s_cbranch_scc1 .LBB6_1879
; %bb.1859:
	s_cmp_lt_i32 s2, 8
	s_cbranch_scc1 .LBB6_1869
; %bb.1860:
	s_cmp_lt_i32 s2, 9
	s_cbranch_scc1 .LBB6_1866
; %bb.1861:
	s_cmp_gt_i32 s2, 9
	s_cbranch_scc0 .LBB6_1863
; %bb.1862:
	v_mov_b32_e32 v2, 0
	v_mov_b32_e32 v3, v2
	global_store_dwordx4 v[6:7], v[0:3], off
	s_mov_b64 s[0:1], 0
.LBB6_1863:
	s_andn2_b64 vcc, exec, s[0:1]
	s_cbranch_vccnz .LBB6_1865
; %bb.1864:
	v_cvt_f32_f64_e32 v2, v[0:1]
	v_mov_b32_e32 v3, 0
	global_store_dwordx2 v[6:7], v[2:3], off
.LBB6_1865:
	s_mov_b64 s[0:1], 0
.LBB6_1866:
	s_andn2_b64 vcc, exec, s[0:1]
	s_cbranch_vccnz .LBB6_1868
; %bb.1867:
	s_movk_i32 s0, 0x1ff
	v_and_or_b32 v2, v1, s0, v0
	v_cmp_ne_u32_e32 vcc, 0, v2
	v_cndmask_b32_e64 v2, 0, 1, vcc
	v_lshrrev_b32_e32 v3, 8, v1
	s_movk_i32 s0, 0xffe
	v_bfe_u32 v9, v1, 20, 11
	v_and_or_b32 v2, v3, s0, v2
	v_sub_u32_e32 v10, 0x3f1, v9
	v_or_b32_e32 v3, 0x1000, v2
	v_med3_i32 v10, v10, 0, 13
	v_lshrrev_b32_e32 v11, v10, v3
	v_lshlrev_b32_e32 v10, v10, v11
	v_cmp_ne_u32_e32 vcc, v10, v3
	v_cndmask_b32_e64 v3, 0, 1, vcc
	v_add_u32_e32 v9, 0xfffffc10, v9
	v_or_b32_e32 v3, v11, v3
	v_lshl_or_b32 v10, v9, 12, v2
	v_cmp_gt_i32_e32 vcc, 1, v9
	v_cndmask_b32_e32 v3, v10, v3, vcc
	v_and_b32_e32 v10, 7, v3
	v_cmp_lt_i32_e32 vcc, 5, v10
	v_cndmask_b32_e64 v11, 0, 1, vcc
	v_cmp_eq_u32_e32 vcc, 3, v10
	v_cndmask_b32_e64 v10, 0, 1, vcc
	v_or_b32_e32 v10, v10, v11
	v_lshrrev_b32_e32 v3, 2, v3
	v_add_u32_e32 v3, v3, v10
	v_mov_b32_e32 v10, 0x7c00
	v_cmp_gt_i32_e32 vcc, 31, v9
	v_cndmask_b32_e32 v3, v10, v3, vcc
	v_mov_b32_e32 v11, 0x7e00
	v_cmp_ne_u32_e32 vcc, 0, v2
	s_movk_i32 s0, 0x40f
	v_cndmask_b32_e32 v2, v10, v11, vcc
	v_cmp_eq_u32_e32 vcc, s0, v9
	v_cndmask_b32_e32 v2, v3, v2, vcc
	v_lshrrev_b32_e32 v3, 16, v1
	s_mov_b32 s0, 0x8000
	v_and_or_b32 v2, v3, s0, v2
	v_and_b32_e32 v2, 0xffff, v2
	global_store_dword v[6:7], v2, off
.LBB6_1868:
	s_mov_b64 s[0:1], 0
.LBB6_1869:
	s_andn2_b64 vcc, exec, s[0:1]
	s_cbranch_vccnz .LBB6_1878
; %bb.1870:
	s_cmp_lt_i32 s2, 6
	s_mov_b64 s[0:1], -1
	s_cbranch_scc1 .LBB6_1876
; %bb.1871:
	s_cmp_gt_i32 s2, 6
	s_cbranch_scc0 .LBB6_1873
; %bb.1872:
	global_store_dwordx2 v[6:7], v[0:1], off
	s_mov_b64 s[0:1], 0
.LBB6_1873:
	s_andn2_b64 vcc, exec, s[0:1]
	s_cbranch_vccnz .LBB6_1875
; %bb.1874:
	v_cvt_f32_f64_e32 v2, v[0:1]
	global_store_dword v[6:7], v2, off
.LBB6_1875:
	s_mov_b64 s[0:1], 0
.LBB6_1876:
	s_andn2_b64 vcc, exec, s[0:1]
	s_cbranch_vccnz .LBB6_1878
; %bb.1877:
	s_movk_i32 s0, 0x1ff
	v_and_or_b32 v2, v1, s0, v0
	v_cmp_ne_u32_e32 vcc, 0, v2
	v_cndmask_b32_e64 v2, 0, 1, vcc
	v_lshrrev_b32_e32 v3, 8, v1
	s_movk_i32 s0, 0xffe
	v_bfe_u32 v9, v1, 20, 11
	v_and_or_b32 v2, v3, s0, v2
	v_sub_u32_e32 v10, 0x3f1, v9
	v_or_b32_e32 v3, 0x1000, v2
	v_med3_i32 v10, v10, 0, 13
	v_lshrrev_b32_e32 v11, v10, v3
	v_lshlrev_b32_e32 v10, v10, v11
	v_cmp_ne_u32_e32 vcc, v10, v3
	v_cndmask_b32_e64 v3, 0, 1, vcc
	v_add_u32_e32 v9, 0xfffffc10, v9
	v_or_b32_e32 v3, v11, v3
	v_lshl_or_b32 v10, v9, 12, v2
	v_cmp_gt_i32_e32 vcc, 1, v9
	v_cndmask_b32_e32 v3, v10, v3, vcc
	v_and_b32_e32 v10, 7, v3
	v_cmp_lt_i32_e32 vcc, 5, v10
	v_cndmask_b32_e64 v11, 0, 1, vcc
	v_cmp_eq_u32_e32 vcc, 3, v10
	v_cndmask_b32_e64 v10, 0, 1, vcc
	v_or_b32_e32 v10, v10, v11
	v_lshrrev_b32_e32 v3, 2, v3
	v_add_u32_e32 v3, v3, v10
	v_mov_b32_e32 v10, 0x7c00
	v_cmp_gt_i32_e32 vcc, 31, v9
	v_cndmask_b32_e32 v3, v10, v3, vcc
	v_mov_b32_e32 v11, 0x7e00
	v_cmp_ne_u32_e32 vcc, 0, v2
	s_movk_i32 s0, 0x40f
	v_cndmask_b32_e32 v2, v10, v11, vcc
	v_cmp_eq_u32_e32 vcc, s0, v9
	v_cndmask_b32_e32 v2, v3, v2, vcc
	v_lshrrev_b32_e32 v3, 16, v1
	s_mov_b32 s0, 0x8000
	v_and_or_b32 v2, v3, s0, v2
	global_store_short v[6:7], v2, off
.LBB6_1878:
	s_mov_b64 s[0:1], 0
.LBB6_1879:
	s_andn2_b64 vcc, exec, s[0:1]
	s_cbranch_vccnz .LBB6_1895
; %bb.1880:
	s_cmp_lt_i32 s2, 2
	s_mov_b64 s[0:1], -1
	s_cbranch_scc1 .LBB6_1890
; %bb.1881:
	s_cmp_lt_i32 s2, 3
	s_cbranch_scc1 .LBB6_1887
; %bb.1882:
	s_cmp_gt_i32 s2, 3
	s_cbranch_scc0 .LBB6_1884
; %bb.1883:
	v_trunc_f64_e32 v[2:3], v[0:1]
	s_movk_i32 s0, 0xffe0
	v_ldexp_f64 v[9:10], v[2:3], s0
	s_mov_b32 s0, 0
	s_mov_b32 s1, 0xc1f00000
	v_floor_f64_e32 v[9:10], v[9:10]
	v_fma_f64 v[2:3], v[9:10], s[0:1], v[2:3]
	v_cvt_i32_f64_e32 v10, v[9:10]
	s_mov_b64 s[0:1], 0
	v_cvt_u32_f64_e32 v9, v[2:3]
	global_store_dwordx2 v[6:7], v[9:10], off
.LBB6_1884:
	s_andn2_b64 vcc, exec, s[0:1]
	s_cbranch_vccnz .LBB6_1886
; %bb.1885:
	v_cvt_i32_f64_e32 v2, v[0:1]
	global_store_dword v[6:7], v2, off
.LBB6_1886:
	s_mov_b64 s[0:1], 0
.LBB6_1887:
	s_andn2_b64 vcc, exec, s[0:1]
	s_cbranch_vccnz .LBB6_1889
; %bb.1888:
	v_cvt_i32_f64_e32 v2, v[0:1]
	global_store_short v[6:7], v2, off
.LBB6_1889:
	s_mov_b64 s[0:1], 0
.LBB6_1890:
	s_andn2_b64 vcc, exec, s[0:1]
	s_cbranch_vccnz .LBB6_1895
; %bb.1891:
	s_cmp_gt_i32 s2, 0
	s_mov_b64 s[0:1], -1
	s_cbranch_scc0 .LBB6_1893
; %bb.1892:
	v_cvt_i32_f64_e32 v2, v[0:1]
	s_mov_b64 s[0:1], 0
	global_store_byte v[6:7], v2, off
.LBB6_1893:
	s_andn2_b64 vcc, exec, s[0:1]
	s_cbranch_vccnz .LBB6_1895
; %bb.1894:
	v_trunc_f64_e32 v[0:1], v[0:1]
	s_movk_i32 s0, 0xffe0
	v_ldexp_f64 v[2:3], v[0:1], s0
	s_mov_b32 s0, 0
	s_mov_b32 s1, 0xc1f00000
	v_floor_f64_e32 v[2:3], v[2:3]
	v_fma_f64 v[0:1], v[2:3], s[0:1], v[0:1]
	v_cvt_u32_f64_e32 v0, v[0:1]
	global_store_byte v[6:7], v0, off
.LBB6_1895:
	s_mov_b64 s[10:11], -1
.LBB6_1896:
	s_andn2_b64 vcc, exec, s[10:11]
	s_cbranch_vccnz .LBB6_1973
; %bb.1897:
	v_cmp_nge_f64_e64 s[0:1], v[4:5], -s[14:15]
	v_cmp_nge_f64_e32 vcc, s[14:15], v[4:5]
	v_add_u32_e32 v2, s20, v8
	v_mov_b32_e32 v3, s9
	v_ashrrev_i32_e32 v6, 31, v2
	s_or_b64 vcc, s[0:1], vcc
	v_cndmask_b32_e32 v1, 0, v5, vcc
	v_cndmask_b32_e32 v0, 0, v4, vcc
	v_add_co_u32_e32 v4, vcc, s8, v2
	s_cmp_lt_i32 s22, 11
	v_addc_co_u32_e32 v5, vcc, v3, v6, vcc
	s_cbranch_scc1 .LBB6_2018
; %bb.1898:
	s_and_b32 s14, 0xffff, s22
	s_mov_b64 s[8:9], -1
	s_mov_b64 s[2:3], 0
	s_cmp_gt_i32 s14, 25
	s_mov_b64 s[0:1], 0
	s_cbranch_scc0 .LBB6_1931
; %bb.1899:
	s_cmp_gt_i32 s14, 28
	s_cbranch_scc0 .LBB6_1915
; %bb.1900:
	s_cmp_gt_i32 s14, 43
	;; [unrolled: 3-line block ×3, first 2 shown]
	s_cbranch_scc0 .LBB6_1905
; %bb.1902:
	s_cmp_eq_u32 s14, 46
	s_mov_b64 s[0:1], -1
	s_cbranch_scc0 .LBB6_1904
; %bb.1903:
	v_cvt_f32_f64_e32 v2, v[0:1]
	s_movk_i32 s0, 0x7fff
	v_mov_b32_e32 v3, 0x7fc0
	v_bfe_u32 v6, v2, 16, 1
	v_cmp_o_f32_e32 vcc, v2, v2
	v_add3_u32 v2, v2, v6, s0
	v_cndmask_b32_sdwa v2, v3, v2, vcc dst_sel:DWORD dst_unused:UNUSED_PAD src0_sel:DWORD src1_sel:WORD_1
	global_store_dword v[4:5], v2, off
	s_mov_b64 s[0:1], 0
.LBB6_1904:
	s_mov_b64 s[8:9], 0
.LBB6_1905:
	s_and_b64 vcc, exec, s[8:9]
	s_cbranch_vccz .LBB6_1910
; %bb.1906:
	s_cmp_eq_u32 s14, 44
	s_mov_b64 s[0:1], -1
	s_cbranch_scc0 .LBB6_1910
; %bb.1907:
	v_cvt_f32_f64_e32 v2, v[0:1]
	s_movk_i32 s0, 0xff
	v_mov_b32_e32 v6, 0xff
	v_bfe_u32 v3, v2, 23, 8
	v_cmp_ne_u32_e32 vcc, s0, v3
	s_and_saveexec_b64 s[8:9], vcc
; %bb.1908:
	s_mov_b32 s0, 0x3fffff
	v_lshrrev_b32_e32 v6, 23, v2
	v_and_b32_e32 v7, 0x400000, v2
	v_and_or_b32 v2, v2, s0, v3
	v_cmp_ne_u32_e32 vcc, 0, v7
	v_cmp_ne_u32_e64 s[0:1], 0, v2
	s_and_b64 s[0:1], vcc, s[0:1]
	v_cndmask_b32_e64 v2, 0, 1, s[0:1]
	v_add_u32_e32 v6, v6, v2
; %bb.1909:
	s_or_b64 exec, exec, s[8:9]
	s_mov_b64 s[0:1], 0
	global_store_byte v[4:5], v6, off
.LBB6_1910:
	s_mov_b64 s[8:9], 0
.LBB6_1911:
	s_and_b64 vcc, exec, s[8:9]
	s_cbranch_vccz .LBB6_1914
; %bb.1912:
	s_cmp_eq_u32 s14, 29
	s_mov_b64 s[0:1], -1
	s_cbranch_scc0 .LBB6_1914
; %bb.1913:
	v_trunc_f64_e32 v[2:3], v[0:1]
	s_movk_i32 s0, 0xffe0
	v_ldexp_f64 v[6:7], v[2:3], s0
	s_mov_b32 s0, 0
	s_mov_b32 s1, 0xc1f00000
	v_floor_f64_e32 v[6:7], v[6:7]
	v_fma_f64 v[2:3], v[6:7], s[0:1], v[2:3]
	v_cvt_u32_f64_e32 v7, v[6:7]
	s_mov_b64 s[0:1], 0
	v_cvt_u32_f64_e32 v6, v[2:3]
	global_store_dwordx2 v[4:5], v[6:7], off
.LBB6_1914:
	s_mov_b64 s[8:9], 0
.LBB6_1915:
	s_and_b64 vcc, exec, s[8:9]
	s_cbranch_vccz .LBB6_1930
; %bb.1916:
	s_cmp_lt_i32 s14, 27
	s_mov_b64 s[8:9], -1
	s_cbranch_scc1 .LBB6_1922
; %bb.1917:
	v_cvt_u32_f64_e32 v2, v[0:1]
	s_cmp_gt_i32 s14, 27
	s_cbranch_scc0 .LBB6_1919
; %bb.1918:
	global_store_dword v[4:5], v2, off
	s_mov_b64 s[8:9], 0
.LBB6_1919:
	s_andn2_b64 vcc, exec, s[8:9]
	s_cbranch_vccnz .LBB6_1921
; %bb.1920:
	global_store_short v[4:5], v2, off
.LBB6_1921:
	s_mov_b64 s[8:9], 0
.LBB6_1922:
	s_andn2_b64 vcc, exec, s[8:9]
	s_cbranch_vccnz .LBB6_1930
; %bb.1923:
	v_cvt_f32_f64_e32 v2, v[0:1]
	s_mov_b32 s8, 0x43800000
	v_mov_b32_e32 v6, 0x80
	v_and_b32_e32 v3, 0x7fffffff, v2
	v_cmp_gt_u32_e32 vcc, s8, v3
	s_and_saveexec_b64 s[8:9], vcc
	s_cbranch_execz .LBB6_1929
; %bb.1924:
	s_mov_b32 s10, 0x3bffffff
	v_cmp_lt_u32_e32 vcc, s10, v3
	s_mov_b64 s[10:11], 0
                                        ; implicit-def: $vgpr3
	s_and_saveexec_b64 s[12:13], vcc
	s_xor_b64 s[12:13], exec, s[12:13]
	s_cbranch_execz .LBB6_2035
; %bb.1925:
	v_bfe_u32 v3, v2, 20, 1
	s_mov_b32 s15, 0x487ffff
	v_add3_u32 v3, v2, v3, s15
	s_mov_b64 s[10:11], exec
	v_lshrrev_b32_e32 v3, 20, v3
	s_andn2_saveexec_b64 s[12:13], s[12:13]
	s_cbranch_execnz .LBB6_2036
.LBB6_1926:
	s_or_b64 exec, exec, s[12:13]
	v_mov_b32_e32 v6, 0
	s_and_saveexec_b64 s[12:13], s[10:11]
.LBB6_1927:
	v_lshrrev_b32_e32 v2, 24, v2
	s_movk_i32 s10, 0x80
	v_and_or_b32 v6, v2, s10, v3
.LBB6_1928:
	s_or_b64 exec, exec, s[12:13]
.LBB6_1929:
	s_or_b64 exec, exec, s[8:9]
	global_store_byte v[4:5], v6, off
.LBB6_1930:
	s_mov_b64 s[8:9], 0
.LBB6_1931:
	s_and_b64 vcc, exec, s[8:9]
	s_cbranch_vccz .LBB6_1971
; %bb.1932:
	s_cmp_gt_i32 s14, 22
	s_mov_b64 s[2:3], -1
	s_cbranch_scc0 .LBB6_1964
; %bb.1933:
	s_cmp_lt_i32 s14, 24
	s_cbranch_scc1 .LBB6_1953
; %bb.1934:
	s_cmp_gt_i32 s14, 24
	s_cbranch_scc0 .LBB6_1942
; %bb.1935:
	v_cvt_f32_f64_e32 v2, v[0:1]
	s_mov_b32 s2, 0x47800000
	v_mov_b32_e32 v6, 0x80
	v_and_b32_e32 v3, 0x7fffffff, v2
	v_cmp_gt_u32_e32 vcc, s2, v3
	s_and_saveexec_b64 s[2:3], vcc
	s_cbranch_execz .LBB6_1941
; %bb.1936:
	s_mov_b32 s8, 0x37ffffff
	v_cmp_lt_u32_e32 vcc, s8, v3
	s_mov_b64 s[8:9], 0
                                        ; implicit-def: $vgpr3
	s_and_saveexec_b64 s[10:11], vcc
	s_xor_b64 s[10:11], exec, s[10:11]
	s_cbranch_execz .LBB6_2038
; %bb.1937:
	v_bfe_u32 v3, v2, 21, 1
	s_mov_b32 s12, 0x88fffff
	v_add3_u32 v3, v2, v3, s12
	s_mov_b64 s[8:9], exec
	v_lshrrev_b32_e32 v3, 21, v3
	s_andn2_saveexec_b64 s[10:11], s[10:11]
	s_cbranch_execnz .LBB6_2039
.LBB6_1938:
	s_or_b64 exec, exec, s[10:11]
	v_mov_b32_e32 v6, 0
	s_and_saveexec_b64 s[10:11], s[8:9]
.LBB6_1939:
	v_lshrrev_b32_e32 v2, 24, v2
	s_movk_i32 s8, 0x80
	v_and_or_b32 v6, v2, s8, v3
.LBB6_1940:
	s_or_b64 exec, exec, s[10:11]
.LBB6_1941:
	s_or_b64 exec, exec, s[2:3]
	s_mov_b64 s[2:3], 0
	global_store_byte v[4:5], v6, off
.LBB6_1942:
	s_and_b64 vcc, exec, s[2:3]
	s_cbranch_vccz .LBB6_1952
; %bb.1943:
	v_cvt_f32_f64_e32 v2, v[0:1]
	s_mov_b32 s2, 0x43f00000
                                        ; implicit-def: $vgpr3
	v_and_b32_e32 v6, 0x7fffffff, v2
	v_cmp_gt_u32_e32 vcc, s2, v6
	s_and_saveexec_b64 s[2:3], vcc
	s_xor_b64 s[2:3], exec, s[2:3]
	s_cbranch_execz .LBB6_1949
; %bb.1944:
	s_mov_b32 s8, 0x3c7fffff
	v_cmp_lt_u32_e32 vcc, s8, v6
                                        ; implicit-def: $vgpr3
	s_and_saveexec_b64 s[8:9], vcc
	s_xor_b64 s[8:9], exec, s[8:9]
; %bb.1945:
	v_bfe_u32 v3, v2, 20, 1
	s_mov_b32 s10, 0x407ffff
	v_add3_u32 v3, v2, v3, s10
	v_lshrrev_b32_e32 v6, 20, v3
	v_and_b32_e32 v3, 0xff00000, v3
	s_mov_b32 s10, 0x7f00000
	v_mov_b32_e32 v7, 0x7e
	v_cmp_ne_u32_e32 vcc, s10, v3
	v_cndmask_b32_e32 v3, v7, v6, vcc
; %bb.1946:
	s_andn2_saveexec_b64 s[8:9], s[8:9]
; %bb.1947:
	s_mov_b32 s10, 0x46800000
	v_add_f32_e64 v3, |v2|, s10
; %bb.1948:
	s_or_b64 exec, exec, s[8:9]
                                        ; implicit-def: $vgpr6
.LBB6_1949:
	s_andn2_saveexec_b64 s[2:3], s[2:3]
; %bb.1950:
	s_mov_b32 s8, 0x7f800000
	v_mov_b32_e32 v3, 0x7e
	v_mov_b32_e32 v7, 0x7f
	v_cmp_lt_u32_e32 vcc, s8, v6
	v_cndmask_b32_e32 v3, v3, v7, vcc
; %bb.1951:
	s_or_b64 exec, exec, s[2:3]
	v_lshrrev_b32_e32 v2, 24, v2
	s_movk_i32 s2, 0x80
	v_and_or_b32 v2, v2, s2, v3
	global_store_byte v[4:5], v2, off
.LBB6_1952:
	s_mov_b64 s[2:3], 0
.LBB6_1953:
	s_andn2_b64 vcc, exec, s[2:3]
	s_cbranch_vccnz .LBB6_1963
; %bb.1954:
	v_cvt_f32_f64_e32 v2, v[0:1]
	s_mov_b32 s2, 0x47800000
                                        ; implicit-def: $vgpr3
	v_and_b32_e32 v6, 0x7fffffff, v2
	v_cmp_gt_u32_e32 vcc, s2, v6
	s_and_saveexec_b64 s[2:3], vcc
	s_xor_b64 s[2:3], exec, s[2:3]
	s_cbranch_execz .LBB6_1960
; %bb.1955:
	s_mov_b32 s8, 0x387fffff
	v_cmp_lt_u32_e32 vcc, s8, v6
                                        ; implicit-def: $vgpr3
	s_and_saveexec_b64 s[8:9], vcc
	s_xor_b64 s[8:9], exec, s[8:9]
; %bb.1956:
	v_bfe_u32 v3, v2, 21, 1
	s_mov_b32 s10, 0x80fffff
	v_add3_u32 v3, v2, v3, s10
	v_lshrrev_b32_e32 v3, 21, v3
; %bb.1957:
	s_andn2_saveexec_b64 s[8:9], s[8:9]
; %bb.1958:
	s_mov_b32 s10, 0x43000000
	v_add_f32_e64 v3, |v2|, s10
; %bb.1959:
	s_or_b64 exec, exec, s[8:9]
                                        ; implicit-def: $vgpr6
.LBB6_1960:
	s_andn2_saveexec_b64 s[2:3], s[2:3]
; %bb.1961:
	s_mov_b32 s8, 0x7f800000
	v_mov_b32_e32 v3, 0x7c
	v_mov_b32_e32 v7, 0x7f
	v_cmp_lt_u32_e32 vcc, s8, v6
	v_cndmask_b32_e32 v3, v3, v7, vcc
; %bb.1962:
	s_or_b64 exec, exec, s[2:3]
	v_lshrrev_b32_e32 v2, 24, v2
	s_movk_i32 s2, 0x80
	v_and_or_b32 v2, v2, s2, v3
	global_store_byte v[4:5], v2, off
.LBB6_1963:
	s_mov_b64 s[2:3], 0
.LBB6_1964:
	s_andn2_b64 vcc, exec, s[2:3]
	s_mov_b64 s[2:3], 0
	s_cbranch_vccnz .LBB6_1971
; %bb.1965:
	s_cmp_gt_i32 s14, 14
	s_mov_b64 s[8:9], -1
	s_cbranch_scc0 .LBB6_1969
; %bb.1966:
	s_cmp_eq_u32 s14, 15
	s_mov_b64 s[0:1], -1
	s_cbranch_scc0 .LBB6_1968
; %bb.1967:
	v_cvt_f32_f64_e32 v2, v[0:1]
	s_movk_i32 s0, 0x7fff
	v_mov_b32_e32 v3, 0x7fc0
	v_bfe_u32 v6, v2, 16, 1
	v_cmp_o_f32_e32 vcc, v2, v2
	v_add3_u32 v2, v2, v6, s0
	v_cndmask_b32_sdwa v2, v3, v2, vcc dst_sel:DWORD dst_unused:UNUSED_PAD src0_sel:DWORD src1_sel:WORD_1
	global_store_short v[4:5], v2, off
	s_mov_b64 s[0:1], 0
.LBB6_1968:
	s_mov_b64 s[8:9], 0
.LBB6_1969:
	s_and_b64 vcc, exec, s[8:9]
	s_cbranch_vccz .LBB6_1971
; %bb.1970:
	s_cmp_lg_u32 s14, 11
	s_mov_b64 s[2:3], -1
	s_cselect_b64 s[0:1], -1, 0
.LBB6_1971:
	s_and_b64 vcc, exec, s[0:1]
	s_cbranch_vccnz .LBB6_2037
.LBB6_1972:
	s_mov_b64 s[0:1], 0
	s_branch .LBB6_1974
.LBB6_1973:
	s_mov_b64 s[0:1], 0
	s_mov_b64 s[2:3], 0
                                        ; implicit-def: $sgpr22
                                        ; implicit-def: $vgpr4_vgpr5
                                        ; implicit-def: $vgpr0_vgpr1
.LBB6_1974:
	s_andn2_b64 s[6:7], s[6:7], exec
	s_and_b64 s[8:9], s[16:17], exec
	s_and_b64 s[0:1], s[0:1], exec
	;; [unrolled: 1-line block ×3, first 2 shown]
	s_or_b64 s[6:7], s[6:7], s[8:9]
.LBB6_1975:
	s_or_b64 exec, exec, s[4:5]
	s_and_saveexec_b64 s[4:5], s[6:7]
	s_cbranch_execz .LBB6_1978
; %bb.1976:
	; divergent unreachable
	s_or_b64 exec, exec, s[4:5]
	s_and_saveexec_b64 s[4:5], s[2:3]
	s_xor_b64 s[2:3], exec, s[4:5]
	s_cbranch_execnz .LBB6_1979
.LBB6_1977:
	s_or_b64 exec, exec, s[2:3]
	s_and_saveexec_b64 s[2:3], s[0:1]
	s_cbranch_execnz .LBB6_1980
	s_branch .LBB6_2017
.LBB6_1978:
	s_or_b64 exec, exec, s[4:5]
	s_and_saveexec_b64 s[4:5], s[2:3]
	s_xor_b64 s[2:3], exec, s[4:5]
	s_cbranch_execz .LBB6_1977
.LBB6_1979:
	s_waitcnt vmcnt(0)
	v_cmp_neq_f64_e32 vcc, 0, v[0:1]
	v_cndmask_b32_e64 v2, 0, 1, vcc
	global_store_byte v[4:5], v2, off
	s_or_b64 exec, exec, s[2:3]
	s_and_saveexec_b64 s[2:3], s[0:1]
	s_cbranch_execz .LBB6_2017
.LBB6_1980:
	s_sext_i32_i16 s2, s22
	s_cmp_lt_i32 s2, 5
	s_mov_b64 s[0:1], -1
	s_cbranch_scc1 .LBB6_2001
; %bb.1981:
	s_cmp_lt_i32 s2, 8
	s_cbranch_scc1 .LBB6_1991
; %bb.1982:
	s_cmp_lt_i32 s2, 9
	s_cbranch_scc1 .LBB6_1988
; %bb.1983:
	s_cmp_gt_i32 s2, 9
	s_cbranch_scc0 .LBB6_1985
; %bb.1984:
	s_waitcnt vmcnt(0)
	v_mov_b32_e32 v2, 0
	v_mov_b32_e32 v3, v2
	global_store_dwordx4 v[4:5], v[0:3], off
	s_mov_b64 s[0:1], 0
.LBB6_1985:
	s_andn2_b64 vcc, exec, s[0:1]
	s_cbranch_vccnz .LBB6_1987
; %bb.1986:
	s_waitcnt vmcnt(0)
	v_cvt_f32_f64_e32 v2, v[0:1]
	v_mov_b32_e32 v3, 0
	global_store_dwordx2 v[4:5], v[2:3], off
.LBB6_1987:
	s_mov_b64 s[0:1], 0
.LBB6_1988:
	s_andn2_b64 vcc, exec, s[0:1]
	s_cbranch_vccnz .LBB6_1990
; %bb.1989:
	s_movk_i32 s0, 0x1ff
	s_waitcnt vmcnt(0)
	v_and_or_b32 v2, v1, s0, v0
	v_cmp_ne_u32_e32 vcc, 0, v2
	v_cndmask_b32_e64 v2, 0, 1, vcc
	v_lshrrev_b32_e32 v3, 8, v1
	s_movk_i32 s0, 0xffe
	v_bfe_u32 v6, v1, 20, 11
	v_and_or_b32 v2, v3, s0, v2
	v_sub_u32_e32 v7, 0x3f1, v6
	v_or_b32_e32 v3, 0x1000, v2
	v_med3_i32 v7, v7, 0, 13
	v_lshrrev_b32_e32 v8, v7, v3
	v_lshlrev_b32_e32 v7, v7, v8
	v_cmp_ne_u32_e32 vcc, v7, v3
	v_cndmask_b32_e64 v3, 0, 1, vcc
	v_add_u32_e32 v6, 0xfffffc10, v6
	v_or_b32_e32 v3, v8, v3
	v_lshl_or_b32 v7, v6, 12, v2
	v_cmp_gt_i32_e32 vcc, 1, v6
	v_cndmask_b32_e32 v3, v7, v3, vcc
	v_and_b32_e32 v7, 7, v3
	v_cmp_lt_i32_e32 vcc, 5, v7
	v_cndmask_b32_e64 v8, 0, 1, vcc
	v_cmp_eq_u32_e32 vcc, 3, v7
	v_cndmask_b32_e64 v7, 0, 1, vcc
	v_or_b32_e32 v7, v7, v8
	v_lshrrev_b32_e32 v3, 2, v3
	v_add_u32_e32 v3, v3, v7
	v_mov_b32_e32 v7, 0x7c00
	v_cmp_gt_i32_e32 vcc, 31, v6
	v_cndmask_b32_e32 v3, v7, v3, vcc
	v_mov_b32_e32 v8, 0x7e00
	v_cmp_ne_u32_e32 vcc, 0, v2
	s_movk_i32 s0, 0x40f
	v_cndmask_b32_e32 v2, v7, v8, vcc
	v_cmp_eq_u32_e32 vcc, s0, v6
	v_cndmask_b32_e32 v2, v3, v2, vcc
	v_lshrrev_b32_e32 v3, 16, v1
	s_mov_b32 s0, 0x8000
	v_and_or_b32 v2, v3, s0, v2
	v_and_b32_e32 v2, 0xffff, v2
	global_store_dword v[4:5], v2, off
.LBB6_1990:
	s_mov_b64 s[0:1], 0
.LBB6_1991:
	s_andn2_b64 vcc, exec, s[0:1]
	s_cbranch_vccnz .LBB6_2000
; %bb.1992:
	s_sext_i32_i16 s2, s22
	s_cmp_lt_i32 s2, 6
	s_mov_b64 s[0:1], -1
	s_cbranch_scc1 .LBB6_1998
; %bb.1993:
	s_cmp_gt_i32 s2, 6
	s_cbranch_scc0 .LBB6_1995
; %bb.1994:
	s_waitcnt vmcnt(0)
	global_store_dwordx2 v[4:5], v[0:1], off
	s_mov_b64 s[0:1], 0
.LBB6_1995:
	s_andn2_b64 vcc, exec, s[0:1]
	s_cbranch_vccnz .LBB6_1997
; %bb.1996:
	s_waitcnt vmcnt(0)
	v_cvt_f32_f64_e32 v2, v[0:1]
	global_store_dword v[4:5], v2, off
.LBB6_1997:
	s_mov_b64 s[0:1], 0
.LBB6_1998:
	s_andn2_b64 vcc, exec, s[0:1]
	s_cbranch_vccnz .LBB6_2000
; %bb.1999:
	s_movk_i32 s0, 0x1ff
	s_waitcnt vmcnt(0)
	v_and_or_b32 v2, v1, s0, v0
	v_cmp_ne_u32_e32 vcc, 0, v2
	v_cndmask_b32_e64 v2, 0, 1, vcc
	v_lshrrev_b32_e32 v3, 8, v1
	s_movk_i32 s0, 0xffe
	v_bfe_u32 v6, v1, 20, 11
	v_and_or_b32 v2, v3, s0, v2
	v_sub_u32_e32 v7, 0x3f1, v6
	v_or_b32_e32 v3, 0x1000, v2
	v_med3_i32 v7, v7, 0, 13
	v_lshrrev_b32_e32 v8, v7, v3
	v_lshlrev_b32_e32 v7, v7, v8
	v_cmp_ne_u32_e32 vcc, v7, v3
	v_cndmask_b32_e64 v3, 0, 1, vcc
	v_add_u32_e32 v6, 0xfffffc10, v6
	v_or_b32_e32 v3, v8, v3
	v_lshl_or_b32 v7, v6, 12, v2
	v_cmp_gt_i32_e32 vcc, 1, v6
	v_cndmask_b32_e32 v3, v7, v3, vcc
	v_and_b32_e32 v7, 7, v3
	v_cmp_lt_i32_e32 vcc, 5, v7
	v_cndmask_b32_e64 v8, 0, 1, vcc
	v_cmp_eq_u32_e32 vcc, 3, v7
	v_cndmask_b32_e64 v7, 0, 1, vcc
	v_or_b32_e32 v7, v7, v8
	v_lshrrev_b32_e32 v3, 2, v3
	v_add_u32_e32 v3, v3, v7
	v_mov_b32_e32 v7, 0x7c00
	v_cmp_gt_i32_e32 vcc, 31, v6
	v_cndmask_b32_e32 v3, v7, v3, vcc
	v_mov_b32_e32 v8, 0x7e00
	v_cmp_ne_u32_e32 vcc, 0, v2
	s_movk_i32 s0, 0x40f
	v_cndmask_b32_e32 v2, v7, v8, vcc
	v_cmp_eq_u32_e32 vcc, s0, v6
	v_cndmask_b32_e32 v2, v3, v2, vcc
	v_lshrrev_b32_e32 v3, 16, v1
	s_mov_b32 s0, 0x8000
	v_and_or_b32 v2, v3, s0, v2
	global_store_short v[4:5], v2, off
.LBB6_2000:
	s_mov_b64 s[0:1], 0
.LBB6_2001:
	s_andn2_b64 vcc, exec, s[0:1]
	s_cbranch_vccnz .LBB6_2017
; %bb.2002:
	s_sext_i32_i16 s2, s22
	s_cmp_lt_i32 s2, 2
	s_mov_b64 s[0:1], -1
	s_cbranch_scc1 .LBB6_2012
; %bb.2003:
	s_cmp_lt_i32 s2, 3
	s_cbranch_scc1 .LBB6_2009
; %bb.2004:
	s_cmp_gt_i32 s2, 3
	s_cbranch_scc0 .LBB6_2006
; %bb.2005:
	s_waitcnt vmcnt(0)
	v_trunc_f64_e32 v[2:3], v[0:1]
	s_movk_i32 s0, 0xffe0
	v_ldexp_f64 v[6:7], v[2:3], s0
	s_mov_b32 s0, 0
	s_mov_b32 s1, 0xc1f00000
	v_floor_f64_e32 v[6:7], v[6:7]
	v_fma_f64 v[2:3], v[6:7], s[0:1], v[2:3]
	v_cvt_i32_f64_e32 v7, v[6:7]
	s_mov_b64 s[0:1], 0
	v_cvt_u32_f64_e32 v6, v[2:3]
	global_store_dwordx2 v[4:5], v[6:7], off
.LBB6_2006:
	s_andn2_b64 vcc, exec, s[0:1]
	s_cbranch_vccnz .LBB6_2008
; %bb.2007:
	s_waitcnt vmcnt(0)
	v_cvt_i32_f64_e32 v2, v[0:1]
	global_store_dword v[4:5], v2, off
.LBB6_2008:
	s_mov_b64 s[0:1], 0
.LBB6_2009:
	s_andn2_b64 vcc, exec, s[0:1]
	s_cbranch_vccnz .LBB6_2011
; %bb.2010:
	s_waitcnt vmcnt(0)
	v_cvt_i32_f64_e32 v2, v[0:1]
	global_store_short v[4:5], v2, off
.LBB6_2011:
	s_mov_b64 s[0:1], 0
.LBB6_2012:
	s_andn2_b64 vcc, exec, s[0:1]
	s_cbranch_vccnz .LBB6_2017
; %bb.2013:
	s_sext_i32_i16 s0, s22
	s_cmp_gt_i32 s0, 0
	s_mov_b64 s[0:1], -1
	s_cbranch_scc0 .LBB6_2015
; %bb.2014:
	s_waitcnt vmcnt(0)
	v_cvt_i32_f64_e32 v2, v[0:1]
	s_mov_b64 s[0:1], 0
	global_store_byte v[4:5], v2, off
.LBB6_2015:
	s_andn2_b64 vcc, exec, s[0:1]
	s_cbranch_vccnz .LBB6_2017
; %bb.2016:
	s_waitcnt vmcnt(0)
	v_trunc_f64_e32 v[0:1], v[0:1]
	s_movk_i32 s0, 0xffe0
	v_ldexp_f64 v[2:3], v[0:1], s0
	s_mov_b32 s0, 0
	s_mov_b32 s1, 0xc1f00000
	v_floor_f64_e32 v[2:3], v[2:3]
	v_fma_f64 v[0:1], v[2:3], s[0:1], v[0:1]
	v_cvt_u32_f64_e32 v0, v[0:1]
	global_store_byte v[4:5], v0, off
	s_endpgm
.LBB6_2017:
	s_endpgm
.LBB6_2018:
	s_mov_b64 s[2:3], 0
	s_mov_b64 s[0:1], -1
	s_branch .LBB6_1974
.LBB6_2019:
	s_trap 2
	s_or_b64 s[16:17], s[16:17], exec
	s_cbranch_execz .LBB6_1488
	s_branch .LBB6_1489
.LBB6_2020:
	s_andn2_saveexec_b64 s[20:21], s[20:21]
	s_cbranch_execz .LBB6_1568
.LBB6_2021:
	s_mov_b32 s23, 0x46000000
	v_add_f32_e64 v3, |v2|, s23
	v_and_b32_e32 v3, 0xff, v3
	v_cmp_ne_u32_e32 vcc, 0, v3
	s_andn2_b64 s[18:19], s[18:19], exec
	s_and_b64 s[24:25], vcc, exec
	s_or_b64 s[18:19], s[18:19], s[24:25]
	s_or_b64 exec, exec, s[20:21]
	v_mov_b32_e32 v13, 0
	s_and_saveexec_b64 s[20:21], s[18:19]
	s_cbranch_execnz .LBB6_1569
	s_branch .LBB6_1570
.LBB6_2022:
	s_trap 2
	s_or_b64 s[16:17], s[16:17], exec
	s_cbranch_execz .LBB6_1616
	s_branch .LBB6_1617
.LBB6_2023:
	s_andn2_saveexec_b64 s[18:19], s[18:19]
	s_cbranch_execz .LBB6_1581
.LBB6_2024:
	s_mov_b32 s20, 0x42800000
	v_add_f32_e64 v3, |v2|, s20
	v_and_b32_e32 v3, 0xff, v3
	v_cmp_ne_u32_e32 vcc, 0, v3
	s_andn2_b64 s[10:11], s[10:11], exec
	s_and_b64 s[20:21], vcc, exec
	s_or_b64 s[10:11], s[10:11], s[20:21]
	s_or_b64 exec, exec, s[18:19]
	v_mov_b32_e32 v13, 0
	s_and_saveexec_b64 s[18:19], s[10:11]
	s_cbranch_execnz .LBB6_1582
	s_branch .LBB6_1583
.LBB6_2025:
	s_andn2_saveexec_b64 s[18:19], s[18:19]
	s_cbranch_execz .LBB6_1687
.LBB6_2026:
	s_mov_b32 s23, 0x46000000
	v_add_f32_e64 v3, |v2|, s23
	v_and_b32_e32 v3, 0xff, v3
	v_cmp_ne_u32_e32 vcc, 0, v3
	s_andn2_b64 s[12:13], s[12:13], exec
	s_and_b64 s[24:25], vcc, exec
	s_or_b64 s[12:13], s[12:13], s[24:25]
	s_or_b64 exec, exec, s[18:19]
	v_mov_b32_e32 v11, 0
	s_and_saveexec_b64 s[18:19], s[12:13]
	s_cbranch_execnz .LBB6_1688
	s_branch .LBB6_1689
.LBB6_2027:
	s_trap 2
	s_or_b64 s[16:17], s[16:17], exec
	s_cbranch_execz .LBB6_1735
	s_branch .LBB6_1736
.LBB6_2028:
	s_andn2_saveexec_b64 s[12:13], s[12:13]
	s_cbranch_execz .LBB6_1700
.LBB6_2029:
	s_mov_b32 s18, 0x42800000
	v_add_f32_e64 v3, |v2|, s18
	v_and_b32_e32 v3, 0xff, v3
	v_cmp_ne_u32_e32 vcc, 0, v3
	s_andn2_b64 s[10:11], s[10:11], exec
	s_and_b64 s[18:19], vcc, exec
	s_or_b64 s[10:11], s[10:11], s[18:19]
	s_or_b64 exec, exec, s[12:13]
	v_mov_b32_e32 v11, 0
	s_and_saveexec_b64 s[12:13], s[10:11]
	s_cbranch_execnz .LBB6_1701
	s_branch .LBB6_1702
.LBB6_2030:
	s_andn2_saveexec_b64 s[18:19], s[18:19]
	s_cbranch_execz .LBB6_1806
.LBB6_2031:
	s_mov_b32 s23, 0x46000000
	v_add_f32_e64 v3, |v2|, s23
	v_and_b32_e32 v3, 0xff, v3
	v_cmp_ne_u32_e32 vcc, 0, v3
	s_andn2_b64 s[12:13], s[12:13], exec
	s_and_b64 s[24:25], vcc, exec
	s_or_b64 s[12:13], s[12:13], s[24:25]
	s_or_b64 exec, exec, s[18:19]
	v_mov_b32_e32 v9, 0
	s_and_saveexec_b64 s[18:19], s[12:13]
	s_cbranch_execnz .LBB6_1807
	s_branch .LBB6_1808
.LBB6_2032:
	s_trap 2
	s_or_b64 s[16:17], s[16:17], exec
	s_cbranch_execz .LBB6_1854
	s_branch .LBB6_1855
.LBB6_2033:
	s_andn2_saveexec_b64 s[12:13], s[12:13]
	s_cbranch_execz .LBB6_1819
.LBB6_2034:
	s_mov_b32 s18, 0x42800000
	v_add_f32_e64 v3, |v2|, s18
	v_and_b32_e32 v3, 0xff, v3
	v_cmp_ne_u32_e32 vcc, 0, v3
	s_andn2_b64 s[10:11], s[10:11], exec
	s_and_b64 s[18:19], vcc, exec
	s_or_b64 s[10:11], s[10:11], s[18:19]
	s_or_b64 exec, exec, s[12:13]
	v_mov_b32_e32 v9, 0
	s_and_saveexec_b64 s[12:13], s[10:11]
	s_cbranch_execnz .LBB6_1820
	s_branch .LBB6_1821
.LBB6_2035:
	s_andn2_saveexec_b64 s[12:13], s[12:13]
	s_cbranch_execz .LBB6_1926
.LBB6_2036:
	s_mov_b32 s15, 0x46000000
	v_add_f32_e64 v3, |v2|, s15
	v_and_b32_e32 v3, 0xff, v3
	v_cmp_ne_u32_e32 vcc, 0, v3
	s_andn2_b64 s[10:11], s[10:11], exec
	s_and_b64 s[18:19], vcc, exec
	s_or_b64 s[10:11], s[10:11], s[18:19]
	s_or_b64 exec, exec, s[12:13]
	v_mov_b32_e32 v6, 0
	s_and_saveexec_b64 s[12:13], s[10:11]
	s_cbranch_execnz .LBB6_1927
	s_branch .LBB6_1928
.LBB6_2037:
	s_mov_b64 s[2:3], 0
	s_or_b64 s[16:17], s[16:17], exec
	s_trap 2
	s_branch .LBB6_1972
.LBB6_2038:
	s_andn2_saveexec_b64 s[10:11], s[10:11]
	s_cbranch_execz .LBB6_1938
.LBB6_2039:
	s_mov_b32 s12, 0x42800000
	v_add_f32_e64 v3, |v2|, s12
	v_and_b32_e32 v3, 0xff, v3
	v_cmp_ne_u32_e32 vcc, 0, v3
	s_andn2_b64 s[8:9], s[8:9], exec
	s_and_b64 s[12:13], vcc, exec
	s_or_b64 s[8:9], s[8:9], s[12:13]
	s_or_b64 exec, exec, s[10:11]
	v_mov_b32_e32 v6, 0
	s_and_saveexec_b64 s[10:11], s[8:9]
	s_cbranch_execnz .LBB6_1939
	s_branch .LBB6_1940
	.section	.rodata,"a",@progbits
	.p2align	6, 0x0
	.amdhsa_kernel _ZN2at6native32elementwise_kernel_manual_unrollILi128ELi4EZNS0_15gpu_kernel_implIZZZNS0_12_GLOBAL__N_117hardshrink_kernelERNS_18TensorIteratorBaseERKN3c106ScalarEENKUlvE_clEvENKUlvE_clEvEUldE_EEvS5_RKT_EUlibE_EEviT1_
		.amdhsa_group_segment_fixed_size 0
		.amdhsa_private_segment_fixed_size 0
		.amdhsa_kernarg_size 48
		.amdhsa_user_sgpr_count 6
		.amdhsa_user_sgpr_private_segment_buffer 1
		.amdhsa_user_sgpr_dispatch_ptr 0
		.amdhsa_user_sgpr_queue_ptr 0
		.amdhsa_user_sgpr_kernarg_segment_ptr 1
		.amdhsa_user_sgpr_dispatch_id 0
		.amdhsa_user_sgpr_flat_scratch_init 0
		.amdhsa_user_sgpr_private_segment_size 0
		.amdhsa_uses_dynamic_stack 0
		.amdhsa_system_sgpr_private_segment_wavefront_offset 0
		.amdhsa_system_sgpr_workgroup_id_x 1
		.amdhsa_system_sgpr_workgroup_id_y 0
		.amdhsa_system_sgpr_workgroup_id_z 0
		.amdhsa_system_sgpr_workgroup_info 0
		.amdhsa_system_vgpr_workitem_id 0
		.amdhsa_next_free_vgpr 16
		.amdhsa_next_free_sgpr 46
		.amdhsa_reserve_vcc 1
		.amdhsa_reserve_flat_scratch 0
		.amdhsa_float_round_mode_32 0
		.amdhsa_float_round_mode_16_64 0
		.amdhsa_float_denorm_mode_32 3
		.amdhsa_float_denorm_mode_16_64 3
		.amdhsa_dx10_clamp 1
		.amdhsa_ieee_mode 1
		.amdhsa_fp16_overflow 0
		.amdhsa_exception_fp_ieee_invalid_op 0
		.amdhsa_exception_fp_denorm_src 0
		.amdhsa_exception_fp_ieee_div_zero 0
		.amdhsa_exception_fp_ieee_overflow 0
		.amdhsa_exception_fp_ieee_underflow 0
		.amdhsa_exception_fp_ieee_inexact 0
		.amdhsa_exception_int_div_zero 0
	.end_amdhsa_kernel
	.section	.text._ZN2at6native32elementwise_kernel_manual_unrollILi128ELi4EZNS0_15gpu_kernel_implIZZZNS0_12_GLOBAL__N_117hardshrink_kernelERNS_18TensorIteratorBaseERKN3c106ScalarEENKUlvE_clEvENKUlvE_clEvEUldE_EEvS5_RKT_EUlibE_EEviT1_,"axG",@progbits,_ZN2at6native32elementwise_kernel_manual_unrollILi128ELi4EZNS0_15gpu_kernel_implIZZZNS0_12_GLOBAL__N_117hardshrink_kernelERNS_18TensorIteratorBaseERKN3c106ScalarEENKUlvE_clEvENKUlvE_clEvEUldE_EEvS5_RKT_EUlibE_EEviT1_,comdat
.Lfunc_end6:
	.size	_ZN2at6native32elementwise_kernel_manual_unrollILi128ELi4EZNS0_15gpu_kernel_implIZZZNS0_12_GLOBAL__N_117hardshrink_kernelERNS_18TensorIteratorBaseERKN3c106ScalarEENKUlvE_clEvENKUlvE_clEvEUldE_EEvS5_RKT_EUlibE_EEviT1_, .Lfunc_end6-_ZN2at6native32elementwise_kernel_manual_unrollILi128ELi4EZNS0_15gpu_kernel_implIZZZNS0_12_GLOBAL__N_117hardshrink_kernelERNS_18TensorIteratorBaseERKN3c106ScalarEENKUlvE_clEvENKUlvE_clEvEUldE_EEvS5_RKT_EUlibE_EEviT1_
                                        ; -- End function
	.set _ZN2at6native32elementwise_kernel_manual_unrollILi128ELi4EZNS0_15gpu_kernel_implIZZZNS0_12_GLOBAL__N_117hardshrink_kernelERNS_18TensorIteratorBaseERKN3c106ScalarEENKUlvE_clEvENKUlvE_clEvEUldE_EEvS5_RKT_EUlibE_EEviT1_.num_vgpr, 16
	.set _ZN2at6native32elementwise_kernel_manual_unrollILi128ELi4EZNS0_15gpu_kernel_implIZZZNS0_12_GLOBAL__N_117hardshrink_kernelERNS_18TensorIteratorBaseERKN3c106ScalarEENKUlvE_clEvENKUlvE_clEvEUldE_EEvS5_RKT_EUlibE_EEviT1_.num_agpr, 0
	.set _ZN2at6native32elementwise_kernel_manual_unrollILi128ELi4EZNS0_15gpu_kernel_implIZZZNS0_12_GLOBAL__N_117hardshrink_kernelERNS_18TensorIteratorBaseERKN3c106ScalarEENKUlvE_clEvENKUlvE_clEvEUldE_EEvS5_RKT_EUlibE_EEviT1_.numbered_sgpr, 46
	.set _ZN2at6native32elementwise_kernel_manual_unrollILi128ELi4EZNS0_15gpu_kernel_implIZZZNS0_12_GLOBAL__N_117hardshrink_kernelERNS_18TensorIteratorBaseERKN3c106ScalarEENKUlvE_clEvENKUlvE_clEvEUldE_EEvS5_RKT_EUlibE_EEviT1_.num_named_barrier, 0
	.set _ZN2at6native32elementwise_kernel_manual_unrollILi128ELi4EZNS0_15gpu_kernel_implIZZZNS0_12_GLOBAL__N_117hardshrink_kernelERNS_18TensorIteratorBaseERKN3c106ScalarEENKUlvE_clEvENKUlvE_clEvEUldE_EEvS5_RKT_EUlibE_EEviT1_.private_seg_size, 0
	.set _ZN2at6native32elementwise_kernel_manual_unrollILi128ELi4EZNS0_15gpu_kernel_implIZZZNS0_12_GLOBAL__N_117hardshrink_kernelERNS_18TensorIteratorBaseERKN3c106ScalarEENKUlvE_clEvENKUlvE_clEvEUldE_EEvS5_RKT_EUlibE_EEviT1_.uses_vcc, 1
	.set _ZN2at6native32elementwise_kernel_manual_unrollILi128ELi4EZNS0_15gpu_kernel_implIZZZNS0_12_GLOBAL__N_117hardshrink_kernelERNS_18TensorIteratorBaseERKN3c106ScalarEENKUlvE_clEvENKUlvE_clEvEUldE_EEvS5_RKT_EUlibE_EEviT1_.uses_flat_scratch, 0
	.set _ZN2at6native32elementwise_kernel_manual_unrollILi128ELi4EZNS0_15gpu_kernel_implIZZZNS0_12_GLOBAL__N_117hardshrink_kernelERNS_18TensorIteratorBaseERKN3c106ScalarEENKUlvE_clEvENKUlvE_clEvEUldE_EEvS5_RKT_EUlibE_EEviT1_.has_dyn_sized_stack, 0
	.set _ZN2at6native32elementwise_kernel_manual_unrollILi128ELi4EZNS0_15gpu_kernel_implIZZZNS0_12_GLOBAL__N_117hardshrink_kernelERNS_18TensorIteratorBaseERKN3c106ScalarEENKUlvE_clEvENKUlvE_clEvEUldE_EEvS5_RKT_EUlibE_EEviT1_.has_recursion, 0
	.set _ZN2at6native32elementwise_kernel_manual_unrollILi128ELi4EZNS0_15gpu_kernel_implIZZZNS0_12_GLOBAL__N_117hardshrink_kernelERNS_18TensorIteratorBaseERKN3c106ScalarEENKUlvE_clEvENKUlvE_clEvEUldE_EEvS5_RKT_EUlibE_EEviT1_.has_indirect_call, 0
	.section	.AMDGPU.csdata,"",@progbits
; Kernel info:
; codeLenInByte = 35564
; TotalNumSgprs: 50
; NumVgprs: 16
; ScratchSize: 0
; MemoryBound: 1
; FloatMode: 240
; IeeeMode: 1
; LDSByteSize: 0 bytes/workgroup (compile time only)
; SGPRBlocks: 6
; VGPRBlocks: 3
; NumSGPRsForWavesPerEU: 50
; NumVGPRsForWavesPerEU: 16
; Occupancy: 10
; WaveLimiterHint : 0
; COMPUTE_PGM_RSRC2:SCRATCH_EN: 0
; COMPUTE_PGM_RSRC2:USER_SGPR: 6
; COMPUTE_PGM_RSRC2:TRAP_HANDLER: 0
; COMPUTE_PGM_RSRC2:TGID_X_EN: 1
; COMPUTE_PGM_RSRC2:TGID_Y_EN: 0
; COMPUTE_PGM_RSRC2:TGID_Z_EN: 0
; COMPUTE_PGM_RSRC2:TIDIG_COMP_CNT: 0
	.section	.text._ZN2at6native32elementwise_kernel_manual_unrollILi128ELi4EZNS0_15gpu_kernel_implIZZZNS0_12_GLOBAL__N_117hardshrink_kernelERNS_18TensorIteratorBaseERKN3c106ScalarEENKUlvE_clEvENKUlvE_clEvEUldE_EEvS5_RKT_EUlibE0_EEviT1_,"axG",@progbits,_ZN2at6native32elementwise_kernel_manual_unrollILi128ELi4EZNS0_15gpu_kernel_implIZZZNS0_12_GLOBAL__N_117hardshrink_kernelERNS_18TensorIteratorBaseERKN3c106ScalarEENKUlvE_clEvENKUlvE_clEvEUldE_EEvS5_RKT_EUlibE0_EEviT1_,comdat
	.globl	_ZN2at6native32elementwise_kernel_manual_unrollILi128ELi4EZNS0_15gpu_kernel_implIZZZNS0_12_GLOBAL__N_117hardshrink_kernelERNS_18TensorIteratorBaseERKN3c106ScalarEENKUlvE_clEvENKUlvE_clEvEUldE_EEvS5_RKT_EUlibE0_EEviT1_ ; -- Begin function _ZN2at6native32elementwise_kernel_manual_unrollILi128ELi4EZNS0_15gpu_kernel_implIZZZNS0_12_GLOBAL__N_117hardshrink_kernelERNS_18TensorIteratorBaseERKN3c106ScalarEENKUlvE_clEvENKUlvE_clEvEUldE_EEvS5_RKT_EUlibE0_EEviT1_
	.p2align	8
	.type	_ZN2at6native32elementwise_kernel_manual_unrollILi128ELi4EZNS0_15gpu_kernel_implIZZZNS0_12_GLOBAL__N_117hardshrink_kernelERNS_18TensorIteratorBaseERKN3c106ScalarEENKUlvE_clEvENKUlvE_clEvEUldE_EEvS5_RKT_EUlibE0_EEviT1_,@function
_ZN2at6native32elementwise_kernel_manual_unrollILi128ELi4EZNS0_15gpu_kernel_implIZZZNS0_12_GLOBAL__N_117hardshrink_kernelERNS_18TensorIteratorBaseERKN3c106ScalarEENKUlvE_clEvENKUlvE_clEvEUldE_EEvS5_RKT_EUlibE0_EEviT1_: ; @_ZN2at6native32elementwise_kernel_manual_unrollILi128ELi4EZNS0_15gpu_kernel_implIZZZNS0_12_GLOBAL__N_117hardshrink_kernelERNS_18TensorIteratorBaseERKN3c106ScalarEENKUlvE_clEvENKUlvE_clEvEUldE_EEvS5_RKT_EUlibE0_EEviT1_
; %bb.0:
	s_load_dword s72, s[4:5], 0x0
	s_load_dword s33, s[4:5], 0x8
	s_add_u32 s34, s4, 8
	s_addc_u32 s35, s5, 0
	v_lshl_or_b32 v10, s6, 9, v0
	v_or_b32_e32 v13, 0x180, v10
	s_waitcnt lgkmcnt(0)
	s_add_i32 s74, s33, -1
	s_cmp_gt_u32 s74, 1
	v_cmp_le_i32_e32 vcc, s72, v13
	s_cselect_b64 s[40:41], -1, 0
	s_mov_b64 s[6:7], 0
	s_mov_b64 s[28:29], 0
	s_and_saveexec_b64 s[0:1], vcc
	s_xor_b64 s[42:43], exec, s[0:1]
	s_cbranch_execz .LBB7_1086
; %bb.1:
	s_load_dwordx4 s[28:31], s[34:35], 0x4
	s_load_dwordx2 s[46:47], s[34:35], 0x14
	s_load_dwordx2 s[44:45], s[34:35], 0x158
	s_load_dword s75, s[34:35], 0x160
	s_cmp_lg_u32 s33, 0
	s_load_dwordx4 s[36:39], s[34:35], 0xc4
	s_load_dwordx4 s[24:27], s[34:35], 0x148
	s_cselect_b64 s[52:53], -1, 0
	s_add_u32 s50, s34, 0xc4
	s_addc_u32 s51, s35, 0
	s_min_u32 s77, s74, 15
	s_cmp_gt_u32 s33, 1
	s_cselect_b64 s[48:49], -1, 0
	s_waitcnt lgkmcnt(0)
	s_bfe_u32 s76, s75, 0x80008
	v_cmp_gt_i32_e32 vcc, s72, v10
	s_mov_b64 s[2:3], -1
	s_mov_b64 s[62:63], 0
	s_mov_b64 s[56:57], 0
	;; [unrolled: 1-line block ×3, first 2 shown]
	s_and_saveexec_b64 s[58:59], vcc
	s_cbranch_execz .LBB7_266
; %bb.2:
	s_andn2_b64 vcc, exec, s[40:41]
	s_cbranch_vccnz .LBB7_7
; %bb.3:
	s_andn2_b64 vcc, exec, s[52:53]
	s_cbranch_vccnz .LBB7_8
; %bb.4:
	s_add_i32 s61, s77, 1
	s_cmp_eq_u32 s74, 2
	s_cbranch_scc1 .LBB7_9
; %bb.5:
	s_and_b32 s60, s61, 28
	v_mov_b32_e32 v0, 0
	s_mov_b32 s64, 0
	s_mov_b64 s[54:55], s[34:35]
	s_mov_b64 s[56:57], s[50:51]
	v_mov_b32_e32 v2, 0
	v_mov_b32_e32 v1, v10
.LBB7_6:                                ; =>This Inner Loop Header: Depth=1
	s_load_dwordx8 s[16:23], s[54:55], 0x4
	s_load_dwordx4 s[0:3], s[54:55], 0x24
	s_load_dwordx8 s[8:15], s[56:57], 0x0
	s_add_u32 s54, s54, 48
	s_addc_u32 s55, s55, 0
	s_waitcnt lgkmcnt(0)
	v_mul_hi_u32 v3, s17, v1
	s_add_i32 s64, s64, 4
	s_add_u32 s56, s56, 32
	s_addc_u32 s57, s57, 0
	v_add_u32_e32 v3, v1, v3
	v_lshrrev_b32_e32 v3, s18, v3
	v_mul_lo_u32 v4, v3, s16
	v_mul_hi_u32 v5, s20, v3
	s_cmp_lg_u32 s60, s64
	v_sub_u32_e32 v1, v1, v4
	v_add_u32_e32 v4, v3, v5
	v_mul_lo_u32 v5, v1, s8
	v_mul_lo_u32 v6, v1, s9
	v_lshrrev_b32_e32 v1, s21, v4
	v_mul_lo_u32 v4, v1, s19
	v_mul_hi_u32 v7, s23, v1
	v_sub_u32_e32 v3, v3, v4
	v_add_u32_e32 v4, v1, v7
	v_lshrrev_b32_e32 v4, s0, v4
	v_mul_hi_u32 v8, s2, v4
	v_mul_lo_u32 v9, v4, s22
	v_mul_lo_u32 v7, v3, s10
	;; [unrolled: 1-line block ×3, first 2 shown]
	v_sub_u32_e32 v9, v1, v9
	v_add_u32_e32 v1, v4, v8
	v_lshrrev_b32_e32 v1, s3, v1
	v_mul_lo_u32 v8, v1, s1
	v_mul_lo_u32 v11, v9, s12
	;; [unrolled: 1-line block ×3, first 2 shown]
	v_add3_u32 v2, v5, v2, v7
	v_sub_u32_e32 v4, v4, v8
	v_mul_lo_u32 v8, v4, s14
	v_mul_lo_u32 v4, v4, s15
	v_add3_u32 v0, v6, v0, v3
	v_add3_u32 v2, v11, v2, v8
	;; [unrolled: 1-line block ×3, first 2 shown]
	s_cbranch_scc1 .LBB7_6
	s_branch .LBB7_10
.LBB7_7:
                                        ; implicit-def: $vgpr2
                                        ; implicit-def: $vgpr0
	s_branch .LBB7_14
.LBB7_8:
	v_mov_b32_e32 v2, 0
	v_mov_b32_e32 v0, 0
	s_branch .LBB7_13
.LBB7_9:
	s_mov_b32 s60, 0
	v_mov_b32_e32 v2, 0
	v_mov_b32_e32 v0, 0
	;; [unrolled: 1-line block ×3, first 2 shown]
.LBB7_10:
	s_and_b32 s8, s61, 3
	s_cmp_eq_u32 s8, 0
	s_cbranch_scc1 .LBB7_13
; %bb.11:
	s_lshl_b32 s0, s60, 3
	s_add_u32 s0, s34, s0
	s_addc_u32 s1, s35, 0
	s_add_u32 s0, s0, 0xc4
	s_addc_u32 s1, s1, 0
	s_mul_i32 s2, s60, 12
	s_add_u32 s2, s34, s2
	s_addc_u32 s3, s35, 0
.LBB7_12:                               ; =>This Inner Loop Header: Depth=1
	s_load_dwordx2 s[10:11], s[2:3], 0x4
	s_load_dword s9, s[2:3], 0xc
	s_load_dwordx2 s[12:13], s[0:1], 0x0
	s_add_u32 s2, s2, 12
	s_addc_u32 s3, s3, 0
	s_waitcnt lgkmcnt(0)
	v_mul_hi_u32 v3, s11, v1
	s_add_u32 s0, s0, 8
	s_addc_u32 s1, s1, 0
	s_add_i32 s8, s8, -1
	v_add_u32_e32 v3, v1, v3
	v_lshrrev_b32_e32 v4, s9, v3
	v_mul_lo_u32 v3, v4, s10
	s_cmp_lg_u32 s8, 0
	v_sub_u32_e32 v1, v1, v3
	v_mad_u64_u32 v[2:3], s[10:11], v1, s12, v[2:3]
	v_mad_u64_u32 v[0:1], s[10:11], v1, s13, v[0:1]
	v_mov_b32_e32 v1, v4
	s_cbranch_scc1 .LBB7_12
.LBB7_13:
	s_cbranch_execnz .LBB7_16
.LBB7_14:
	v_mul_hi_u32 v0, s29, v10
	s_andn2_b64 vcc, exec, s[48:49]
	v_add_u32_e32 v0, v10, v0
	v_lshrrev_b32_e32 v1, s30, v0
	v_mul_lo_u32 v0, v1, s28
	v_sub_u32_e32 v0, v10, v0
	v_mul_lo_u32 v2, v0, s36
	v_mul_lo_u32 v0, v0, s37
	s_cbranch_vccnz .LBB7_16
; %bb.15:
	v_mul_hi_u32 v3, s46, v1
	v_add_u32_e32 v3, v1, v3
	v_lshrrev_b32_e32 v3, s47, v3
	v_mul_lo_u32 v3, v3, s31
	v_sub_u32_e32 v1, v1, v3
	v_mad_u64_u32 v[2:3], s[0:1], v1, s38, v[2:3]
	v_mad_u64_u32 v[0:1], s[0:1], v1, s39, v[0:1]
.LBB7_16:
	v_mov_b32_e32 v1, s27
	s_and_b32 s12, 0xffff, s76
	v_add_co_u32_e32 v0, vcc, s26, v0
	s_cmp_lt_i32 s12, 11
	v_addc_co_u32_e32 v1, vcc, 0, v1, vcc
	s_cbranch_scc1 .LBB7_23
; %bb.17:
	s_cmp_gt_i32 s12, 25
	s_cbranch_scc0 .LBB7_32
; %bb.18:
	s_cmp_gt_i32 s12, 28
	s_cbranch_scc0 .LBB7_35
	;; [unrolled: 3-line block ×4, first 2 shown]
; %bb.21:
	s_cmp_eq_u32 s12, 46
	s_mov_b64 s[8:9], 0
	s_cbranch_scc0 .LBB7_41
; %bb.22:
	global_load_dword v3, v[0:1], off
	s_mov_b64 s[0:1], -1
	s_mov_b64 s[2:3], 0
	s_waitcnt vmcnt(0)
	v_lshlrev_b32_e32 v3, 16, v3
	v_cvt_f64_f32_e32 v[3:4], v3
	s_branch .LBB7_43
.LBB7_23:
	s_mov_b64 s[2:3], 0
                                        ; implicit-def: $vgpr3_vgpr4
	s_mov_b64 s[0:1], 0
	s_cbranch_execnz .LBB7_216
.LBB7_24:
	s_andn2_b64 vcc, exec, s[0:1]
	s_cbranch_vccnz .LBB7_263
.LBB7_25:
	s_waitcnt vmcnt(0)
	v_cmp_nge_f64_e64 s[0:1], v[3:4], -s[44:45]
	v_cmp_nge_f64_e32 vcc, s[44:45], v[3:4]
	v_mov_b32_e32 v5, s25
	s_and_b32 s14, s75, 0xff
	s_or_b64 vcc, s[0:1], vcc
	v_cndmask_b32_e32 v1, 0, v4, vcc
	v_cndmask_b32_e32 v0, 0, v3, vcc
	v_add_co_u32_e32 v4, vcc, s24, v2
	s_cmp_lt_i32 s14, 11
	v_addc_co_u32_e32 v5, vcc, 0, v5, vcc
	s_cbranch_scc1 .LBB7_33
; %bb.26:
	s_and_b32 s15, 0xffff, s14
	s_cmp_gt_i32 s15, 25
	s_cbranch_scc0 .LBB7_36
; %bb.27:
	s_cmp_gt_i32 s15, 28
	s_cbranch_scc0 .LBB7_38
; %bb.28:
	;; [unrolled: 3-line block ×4, first 2 shown]
	s_mov_b64 s[10:11], 0
	s_mov_b64 s[0:1], -1
	s_cmp_eq_u32 s15, 46
	s_mov_b64 s[8:9], 0
	s_cbranch_scc0 .LBB7_47
; %bb.31:
	v_cvt_f32_f64_e32 v2, v[0:1]
	s_movk_i32 s0, 0x7fff
	v_mov_b32_e32 v3, 0x7fc0
	s_mov_b64 s[8:9], -1
	v_bfe_u32 v6, v2, 16, 1
	v_cmp_o_f32_e32 vcc, v2, v2
	v_add3_u32 v2, v2, v6, s0
	v_cndmask_b32_sdwa v2, v3, v2, vcc dst_sel:DWORD dst_unused:UNUSED_PAD src0_sel:DWORD src1_sel:WORD_1
	global_store_dword v[4:5], v2, off
	s_mov_b64 s[0:1], 0
	s_branch .LBB7_47
.LBB7_32:
	s_mov_b64 s[2:3], 0
	s_mov_b64 s[0:1], 0
                                        ; implicit-def: $vgpr3_vgpr4
	s_cbranch_execnz .LBB7_183
	s_branch .LBB7_215
.LBB7_33:
	s_mov_b64 s[0:1], 0
	s_mov_b64 s[8:9], 0
	s_cbranch_execnz .LBB7_116
.LBB7_34:
	s_andn2_b64 vcc, exec, s[8:9]
	s_cbranch_vccnz .LBB7_264
	s_branch .LBB7_154
.LBB7_35:
	s_mov_b64 s[8:9], -1
	s_mov_b64 s[2:3], 0
	s_mov_b64 s[0:1], 0
                                        ; implicit-def: $vgpr3_vgpr4
	s_branch .LBB7_162
.LBB7_36:
	s_mov_b64 s[10:11], -1
	s_mov_b64 s[0:1], 0
	s_mov_b64 s[8:9], 0
	s_branch .LBB7_74
.LBB7_37:
	s_mov_b64 s[8:9], -1
	s_mov_b64 s[2:3], 0
	s_mov_b64 s[0:1], 0
                                        ; implicit-def: $vgpr3_vgpr4
	s_branch .LBB7_157
.LBB7_38:
	s_mov_b64 s[10:11], -1
	s_mov_b64 s[0:1], 0
	s_mov_b64 s[8:9], 0
	s_branch .LBB7_57
.LBB7_39:
	s_mov_b64 s[8:9], -1
	s_mov_b64 s[2:3], 0
	s_branch .LBB7_42
.LBB7_40:
	s_mov_b64 s[10:11], -1
	s_mov_b64 s[0:1], 0
	s_mov_b64 s[8:9], 0
	s_branch .LBB7_53
.LBB7_41:
	s_mov_b64 s[2:3], -1
.LBB7_42:
	s_mov_b64 s[0:1], 0
                                        ; implicit-def: $vgpr3_vgpr4
.LBB7_43:
	s_and_b64 vcc, exec, s[8:9]
	s_cbranch_vccz .LBB7_156
; %bb.44:
	s_cmp_eq_u32 s12, 44
	s_cbranch_scc0 .LBB7_155
; %bb.45:
	global_load_ubyte v5, v[0:1], off
	s_movk_i32 s2, 0xff
	v_bfrev_b32_e32 v6, 4
	v_mov_b32_e32 v7, 0x7ff80000
	v_bfrev_b32_e32 v8, 28
	s_mov_b64 s[0:1], -1
	s_waitcnt vmcnt(0)
	v_lshlrev_b32_e32 v3, 23, v5
	v_cvt_f64_f32_e32 v[3:4], v3
	v_cmp_ne_u32_e32 vcc, s2, v5
	s_mov_b64 s[2:3], 0
	v_cndmask_b32_e32 v3, v6, v3, vcc
	v_cndmask_b32_e32 v4, v7, v4, vcc
	v_cmp_ne_u32_e32 vcc, 0, v5
	v_cndmask_b32_e32 v4, v8, v4, vcc
	v_cndmask_b32_e32 v3, 0, v3, vcc
	s_branch .LBB7_156
.LBB7_46:
	s_mov_b64 s[10:11], -1
	s_mov_b64 s[0:1], 0
	s_mov_b64 s[8:9], 0
.LBB7_47:
	s_and_b64 vcc, exec, s[10:11]
	s_cbranch_vccz .LBB7_52
; %bb.48:
	s_cmp_eq_u32 s15, 44
	s_mov_b64 s[0:1], -1
	s_cbranch_scc0 .LBB7_52
; %bb.49:
	v_cvt_f32_f64_e32 v2, v[0:1]
	s_movk_i32 s0, 0xff
	v_mov_b32_e32 v6, 0xff
	v_bfe_u32 v3, v2, 23, 8
	v_cmp_ne_u32_e32 vcc, s0, v3
	s_and_saveexec_b64 s[8:9], vcc
; %bb.50:
	s_mov_b32 s0, 0x3fffff
	v_lshrrev_b32_e32 v6, 23, v2
	v_and_b32_e32 v7, 0x400000, v2
	v_and_or_b32 v2, v2, s0, v3
	v_cmp_ne_u32_e32 vcc, 0, v7
	v_cmp_ne_u32_e64 s[0:1], 0, v2
	s_and_b64 s[0:1], vcc, s[0:1]
	v_cndmask_b32_e64 v2, 0, 1, s[0:1]
	v_add_u32_e32 v6, v6, v2
; %bb.51:
	s_or_b64 exec, exec, s[8:9]
	s_mov_b64 s[8:9], -1
	s_mov_b64 s[0:1], 0
	global_store_byte v[4:5], v6, off
.LBB7_52:
	s_mov_b64 s[10:11], 0
.LBB7_53:
	s_and_b64 vcc, exec, s[10:11]
	s_cbranch_vccz .LBB7_56
; %bb.54:
	s_cmp_eq_u32 s15, 29
	s_mov_b64 s[0:1], -1
	s_cbranch_scc0 .LBB7_56
; %bb.55:
	v_trunc_f64_e32 v[2:3], v[0:1]
	s_movk_i32 s0, 0xffe0
	s_mov_b64 s[8:9], -1
	s_mov_b64 s[10:11], 0
	v_ldexp_f64 v[6:7], v[2:3], s0
	s_mov_b32 s0, 0
	s_mov_b32 s1, 0xc1f00000
	v_floor_f64_e32 v[6:7], v[6:7]
	v_fma_f64 v[2:3], v[6:7], s[0:1], v[2:3]
	v_cvt_u32_f64_e32 v7, v[6:7]
	s_mov_b64 s[0:1], 0
	v_cvt_u32_f64_e32 v6, v[2:3]
	global_store_dwordx2 v[4:5], v[6:7], off
	s_branch .LBB7_57
.LBB7_56:
	s_mov_b64 s[10:11], 0
.LBB7_57:
	s_and_b64 vcc, exec, s[10:11]
	s_cbranch_vccz .LBB7_73
; %bb.58:
	s_cmp_lt_i32 s15, 27
	s_mov_b64 s[8:9], -1
	s_cbranch_scc1 .LBB7_64
; %bb.59:
	v_cvt_u32_f64_e32 v2, v[0:1]
	s_cmp_gt_i32 s15, 27
	s_cbranch_scc0 .LBB7_61
; %bb.60:
	s_mov_b64 s[8:9], 0
	global_store_dword v[4:5], v2, off
.LBB7_61:
	s_andn2_b64 vcc, exec, s[8:9]
	s_cbranch_vccnz .LBB7_63
; %bb.62:
	global_store_short v[4:5], v2, off
.LBB7_63:
	s_mov_b64 s[8:9], 0
.LBB7_64:
	s_andn2_b64 vcc, exec, s[8:9]
	s_cbranch_vccnz .LBB7_72
; %bb.65:
	v_cvt_f32_f64_e32 v2, v[0:1]
	s_mov_b32 s8, 0x43800000
	v_mov_b32_e32 v6, 0x80
	v_and_b32_e32 v3, 0x7fffffff, v2
	v_cmp_gt_u32_e32 vcc, s8, v3
	s_and_saveexec_b64 s[8:9], vcc
	s_cbranch_execz .LBB7_71
; %bb.66:
	s_mov_b32 s10, 0x3bffffff
	v_cmp_lt_u32_e32 vcc, s10, v3
	s_mov_b64 s[10:11], 0
                                        ; implicit-def: $vgpr3
	s_and_saveexec_b64 s[12:13], vcc
	s_xor_b64 s[12:13], exec, s[12:13]
	s_cbranch_execz .LBB7_307
; %bb.67:
	v_bfe_u32 v3, v2, 20, 1
	s_mov_b32 s16, 0x487ffff
	v_add3_u32 v3, v2, v3, s16
	s_mov_b64 s[10:11], exec
	v_lshrrev_b32_e32 v3, 20, v3
	s_andn2_saveexec_b64 s[12:13], s[12:13]
	s_cbranch_execnz .LBB7_308
.LBB7_68:
	s_or_b64 exec, exec, s[12:13]
	v_mov_b32_e32 v6, 0
	s_and_saveexec_b64 s[12:13], s[10:11]
.LBB7_69:
	v_lshrrev_b32_e32 v2, 24, v2
	s_movk_i32 s10, 0x80
	v_and_or_b32 v6, v2, s10, v3
.LBB7_70:
	s_or_b64 exec, exec, s[12:13]
.LBB7_71:
	s_or_b64 exec, exec, s[8:9]
	global_store_byte v[4:5], v6, off
.LBB7_72:
	s_mov_b64 s[8:9], -1
.LBB7_73:
	s_mov_b64 s[10:11], 0
.LBB7_74:
	s_and_b64 vcc, exec, s[10:11]
	s_cbranch_vccz .LBB7_115
; %bb.75:
	s_cmp_gt_i32 s15, 22
	s_mov_b64 s[10:11], -1
	s_cbranch_scc0 .LBB7_107
; %bb.76:
	s_cmp_lt_i32 s15, 24
	s_mov_b64 s[8:9], -1
	s_cbranch_scc1 .LBB7_96
; %bb.77:
	s_cmp_gt_i32 s15, 24
	s_cbranch_scc0 .LBB7_85
; %bb.78:
	v_cvt_f32_f64_e32 v2, v[0:1]
	s_mov_b32 s8, 0x47800000
	v_mov_b32_e32 v6, 0x80
	v_and_b32_e32 v3, 0x7fffffff, v2
	v_cmp_gt_u32_e32 vcc, s8, v3
	s_and_saveexec_b64 s[8:9], vcc
	s_cbranch_execz .LBB7_84
; %bb.79:
	s_mov_b32 s10, 0x37ffffff
	v_cmp_lt_u32_e32 vcc, s10, v3
	s_mov_b64 s[10:11], 0
                                        ; implicit-def: $vgpr3
	s_and_saveexec_b64 s[12:13], vcc
	s_xor_b64 s[12:13], exec, s[12:13]
	s_cbranch_execz .LBB7_311
; %bb.80:
	v_bfe_u32 v3, v2, 21, 1
	s_mov_b32 s16, 0x88fffff
	v_add3_u32 v3, v2, v3, s16
	s_mov_b64 s[10:11], exec
	v_lshrrev_b32_e32 v3, 21, v3
	s_andn2_saveexec_b64 s[12:13], s[12:13]
	s_cbranch_execnz .LBB7_312
.LBB7_81:
	s_or_b64 exec, exec, s[12:13]
	v_mov_b32_e32 v6, 0
	s_and_saveexec_b64 s[12:13], s[10:11]
.LBB7_82:
	v_lshrrev_b32_e32 v2, 24, v2
	s_movk_i32 s10, 0x80
	v_and_or_b32 v6, v2, s10, v3
.LBB7_83:
	s_or_b64 exec, exec, s[12:13]
.LBB7_84:
	s_or_b64 exec, exec, s[8:9]
	s_mov_b64 s[8:9], 0
	global_store_byte v[4:5], v6, off
.LBB7_85:
	s_and_b64 vcc, exec, s[8:9]
	s_cbranch_vccz .LBB7_95
; %bb.86:
	v_cvt_f32_f64_e32 v2, v[0:1]
	s_mov_b32 s8, 0x43f00000
                                        ; implicit-def: $vgpr3
	v_and_b32_e32 v6, 0x7fffffff, v2
	v_cmp_gt_u32_e32 vcc, s8, v6
	s_and_saveexec_b64 s[8:9], vcc
	s_xor_b64 s[8:9], exec, s[8:9]
	s_cbranch_execz .LBB7_92
; %bb.87:
	s_mov_b32 s10, 0x3c7fffff
	v_cmp_lt_u32_e32 vcc, s10, v6
                                        ; implicit-def: $vgpr3
	s_and_saveexec_b64 s[10:11], vcc
	s_xor_b64 s[10:11], exec, s[10:11]
; %bb.88:
	v_bfe_u32 v3, v2, 20, 1
	s_mov_b32 s12, 0x407ffff
	v_add3_u32 v3, v2, v3, s12
	v_lshrrev_b32_e32 v6, 20, v3
	v_and_b32_e32 v3, 0xff00000, v3
	s_mov_b32 s12, 0x7f00000
	v_mov_b32_e32 v7, 0x7e
	v_cmp_ne_u32_e32 vcc, s12, v3
	v_cndmask_b32_e32 v3, v7, v6, vcc
; %bb.89:
	s_andn2_saveexec_b64 s[10:11], s[10:11]
; %bb.90:
	s_mov_b32 s12, 0x46800000
	v_add_f32_e64 v3, |v2|, s12
; %bb.91:
	s_or_b64 exec, exec, s[10:11]
                                        ; implicit-def: $vgpr6
.LBB7_92:
	s_andn2_saveexec_b64 s[8:9], s[8:9]
; %bb.93:
	s_mov_b32 s10, 0x7f800000
	v_mov_b32_e32 v3, 0x7e
	v_mov_b32_e32 v7, 0x7f
	v_cmp_lt_u32_e32 vcc, s10, v6
	v_cndmask_b32_e32 v3, v3, v7, vcc
; %bb.94:
	s_or_b64 exec, exec, s[8:9]
	v_lshrrev_b32_e32 v2, 24, v2
	s_movk_i32 s8, 0x80
	v_and_or_b32 v2, v2, s8, v3
	global_store_byte v[4:5], v2, off
.LBB7_95:
	s_mov_b64 s[8:9], 0
.LBB7_96:
	s_andn2_b64 vcc, exec, s[8:9]
	s_cbranch_vccnz .LBB7_106
; %bb.97:
	v_cvt_f32_f64_e32 v2, v[0:1]
	s_mov_b32 s8, 0x47800000
                                        ; implicit-def: $vgpr3
	v_and_b32_e32 v6, 0x7fffffff, v2
	v_cmp_gt_u32_e32 vcc, s8, v6
	s_and_saveexec_b64 s[8:9], vcc
	s_xor_b64 s[8:9], exec, s[8:9]
	s_cbranch_execz .LBB7_103
; %bb.98:
	s_mov_b32 s10, 0x387fffff
	v_cmp_lt_u32_e32 vcc, s10, v6
                                        ; implicit-def: $vgpr3
	s_and_saveexec_b64 s[10:11], vcc
	s_xor_b64 s[10:11], exec, s[10:11]
; %bb.99:
	v_bfe_u32 v3, v2, 21, 1
	s_mov_b32 s12, 0x80fffff
	v_add3_u32 v3, v2, v3, s12
	v_lshrrev_b32_e32 v3, 21, v3
; %bb.100:
	s_andn2_saveexec_b64 s[10:11], s[10:11]
; %bb.101:
	s_mov_b32 s12, 0x43000000
	v_add_f32_e64 v3, |v2|, s12
; %bb.102:
	s_or_b64 exec, exec, s[10:11]
                                        ; implicit-def: $vgpr6
.LBB7_103:
	s_andn2_saveexec_b64 s[8:9], s[8:9]
; %bb.104:
	s_mov_b32 s10, 0x7f800000
	v_mov_b32_e32 v3, 0x7c
	v_mov_b32_e32 v7, 0x7f
	v_cmp_lt_u32_e32 vcc, s10, v6
	v_cndmask_b32_e32 v3, v3, v7, vcc
; %bb.105:
	s_or_b64 exec, exec, s[8:9]
	v_lshrrev_b32_e32 v2, 24, v2
	s_movk_i32 s8, 0x80
	v_and_or_b32 v2, v2, s8, v3
	global_store_byte v[4:5], v2, off
.LBB7_106:
	s_mov_b64 s[10:11], 0
	s_mov_b64 s[8:9], -1
.LBB7_107:
	s_andn2_b64 vcc, exec, s[10:11]
	s_cbranch_vccnz .LBB7_115
; %bb.108:
	s_cmp_gt_i32 s15, 14
	s_mov_b64 s[10:11], -1
	s_cbranch_scc0 .LBB7_112
; %bb.109:
	s_cmp_eq_u32 s15, 15
	s_mov_b64 s[0:1], -1
	s_cbranch_scc0 .LBB7_111
; %bb.110:
	v_cvt_f32_f64_e32 v2, v[0:1]
	s_movk_i32 s0, 0x7fff
	v_mov_b32_e32 v3, 0x7fc0
	s_mov_b64 s[8:9], -1
	v_bfe_u32 v6, v2, 16, 1
	v_cmp_o_f32_e32 vcc, v2, v2
	v_add3_u32 v2, v2, v6, s0
	v_cndmask_b32_sdwa v2, v3, v2, vcc dst_sel:DWORD dst_unused:UNUSED_PAD src0_sel:DWORD src1_sel:WORD_1
	global_store_short v[4:5], v2, off
	s_mov_b64 s[0:1], 0
.LBB7_111:
	s_mov_b64 s[10:11], 0
.LBB7_112:
	s_and_b64 vcc, exec, s[10:11]
	s_cbranch_vccz .LBB7_115
; %bb.113:
	s_cmp_eq_u32 s15, 11
	s_mov_b64 s[0:1], -1
	s_cbranch_scc0 .LBB7_115
; %bb.114:
	v_cmp_neq_f64_e32 vcc, 0, v[0:1]
	s_mov_b64 s[0:1], 0
	s_mov_b64 s[8:9], -1
	v_cndmask_b32_e64 v2, 0, 1, vcc
	global_store_byte v[4:5], v2, off
.LBB7_115:
	s_branch .LBB7_34
.LBB7_116:
	s_and_b32 s10, 0xffff, s14
	s_cmp_lt_i32 s10, 5
	s_mov_b64 s[8:9], -1
	s_cbranch_scc1 .LBB7_137
; %bb.117:
	s_cmp_lt_i32 s10, 8
	s_cbranch_scc1 .LBB7_127
; %bb.118:
	s_cmp_lt_i32 s10, 9
	s_cbranch_scc1 .LBB7_124
; %bb.119:
	s_cmp_gt_i32 s10, 9
	s_cbranch_scc0 .LBB7_121
; %bb.120:
	v_mov_b32_e32 v2, 0
	v_mov_b32_e32 v3, v2
	global_store_dwordx4 v[4:5], v[0:3], off
	s_mov_b64 s[8:9], 0
.LBB7_121:
	s_andn2_b64 vcc, exec, s[8:9]
	s_cbranch_vccnz .LBB7_123
; %bb.122:
	v_cvt_f32_f64_e32 v2, v[0:1]
	v_mov_b32_e32 v3, 0
	global_store_dwordx2 v[4:5], v[2:3], off
.LBB7_123:
	s_mov_b64 s[8:9], 0
.LBB7_124:
	s_andn2_b64 vcc, exec, s[8:9]
	s_cbranch_vccnz .LBB7_126
; %bb.125:
	s_movk_i32 s8, 0x1ff
	v_and_or_b32 v2, v1, s8, v0
	v_cmp_ne_u32_e32 vcc, 0, v2
	v_cndmask_b32_e64 v2, 0, 1, vcc
	v_lshrrev_b32_e32 v3, 8, v1
	s_movk_i32 s8, 0xffe
	v_bfe_u32 v6, v1, 20, 11
	v_and_or_b32 v2, v3, s8, v2
	v_sub_u32_e32 v7, 0x3f1, v6
	v_or_b32_e32 v3, 0x1000, v2
	v_med3_i32 v7, v7, 0, 13
	v_lshrrev_b32_e32 v8, v7, v3
	v_lshlrev_b32_e32 v7, v7, v8
	v_cmp_ne_u32_e32 vcc, v7, v3
	v_cndmask_b32_e64 v3, 0, 1, vcc
	v_add_u32_e32 v6, 0xfffffc10, v6
	v_or_b32_e32 v3, v8, v3
	v_lshl_or_b32 v7, v6, 12, v2
	v_cmp_gt_i32_e32 vcc, 1, v6
	v_cndmask_b32_e32 v3, v7, v3, vcc
	v_and_b32_e32 v7, 7, v3
	v_cmp_lt_i32_e32 vcc, 5, v7
	v_cndmask_b32_e64 v8, 0, 1, vcc
	v_cmp_eq_u32_e32 vcc, 3, v7
	v_cndmask_b32_e64 v7, 0, 1, vcc
	v_or_b32_e32 v7, v7, v8
	v_lshrrev_b32_e32 v3, 2, v3
	v_add_u32_e32 v3, v3, v7
	v_mov_b32_e32 v7, 0x7c00
	v_cmp_gt_i32_e32 vcc, 31, v6
	v_cndmask_b32_e32 v3, v7, v3, vcc
	v_mov_b32_e32 v8, 0x7e00
	v_cmp_ne_u32_e32 vcc, 0, v2
	s_movk_i32 s8, 0x40f
	v_cndmask_b32_e32 v2, v7, v8, vcc
	v_cmp_eq_u32_e32 vcc, s8, v6
	v_cndmask_b32_e32 v2, v3, v2, vcc
	v_lshrrev_b32_e32 v3, 16, v1
	s_mov_b32 s8, 0x8000
	v_and_or_b32 v2, v3, s8, v2
	v_and_b32_e32 v2, 0xffff, v2
	global_store_dword v[4:5], v2, off
.LBB7_126:
	s_mov_b64 s[8:9], 0
.LBB7_127:
	s_andn2_b64 vcc, exec, s[8:9]
	s_cbranch_vccnz .LBB7_136
; %bb.128:
	s_cmp_lt_i32 s10, 6
	s_mov_b64 s[8:9], -1
	s_cbranch_scc1 .LBB7_134
; %bb.129:
	s_cmp_gt_i32 s10, 6
	s_cbranch_scc0 .LBB7_131
; %bb.130:
	global_store_dwordx2 v[4:5], v[0:1], off
	s_mov_b64 s[8:9], 0
.LBB7_131:
	s_andn2_b64 vcc, exec, s[8:9]
	s_cbranch_vccnz .LBB7_133
; %bb.132:
	v_cvt_f32_f64_e32 v2, v[0:1]
	global_store_dword v[4:5], v2, off
.LBB7_133:
	s_mov_b64 s[8:9], 0
.LBB7_134:
	s_andn2_b64 vcc, exec, s[8:9]
	s_cbranch_vccnz .LBB7_136
; %bb.135:
	s_movk_i32 s8, 0x1ff
	v_and_or_b32 v2, v1, s8, v0
	v_cmp_ne_u32_e32 vcc, 0, v2
	v_cndmask_b32_e64 v2, 0, 1, vcc
	v_lshrrev_b32_e32 v3, 8, v1
	s_movk_i32 s8, 0xffe
	v_bfe_u32 v6, v1, 20, 11
	v_and_or_b32 v2, v3, s8, v2
	v_sub_u32_e32 v7, 0x3f1, v6
	v_or_b32_e32 v3, 0x1000, v2
	v_med3_i32 v7, v7, 0, 13
	v_lshrrev_b32_e32 v8, v7, v3
	v_lshlrev_b32_e32 v7, v7, v8
	v_cmp_ne_u32_e32 vcc, v7, v3
	v_cndmask_b32_e64 v3, 0, 1, vcc
	v_add_u32_e32 v6, 0xfffffc10, v6
	v_or_b32_e32 v3, v8, v3
	v_lshl_or_b32 v7, v6, 12, v2
	v_cmp_gt_i32_e32 vcc, 1, v6
	v_cndmask_b32_e32 v3, v7, v3, vcc
	v_and_b32_e32 v7, 7, v3
	v_cmp_lt_i32_e32 vcc, 5, v7
	v_cndmask_b32_e64 v8, 0, 1, vcc
	v_cmp_eq_u32_e32 vcc, 3, v7
	v_cndmask_b32_e64 v7, 0, 1, vcc
	v_or_b32_e32 v7, v7, v8
	v_lshrrev_b32_e32 v3, 2, v3
	v_add_u32_e32 v3, v3, v7
	v_mov_b32_e32 v7, 0x7c00
	v_cmp_gt_i32_e32 vcc, 31, v6
	v_cndmask_b32_e32 v3, v7, v3, vcc
	v_mov_b32_e32 v8, 0x7e00
	v_cmp_ne_u32_e32 vcc, 0, v2
	s_movk_i32 s8, 0x40f
	v_cndmask_b32_e32 v2, v7, v8, vcc
	v_cmp_eq_u32_e32 vcc, s8, v6
	v_cndmask_b32_e32 v2, v3, v2, vcc
	v_lshrrev_b32_e32 v3, 16, v1
	s_mov_b32 s8, 0x8000
	v_and_or_b32 v2, v3, s8, v2
	global_store_short v[4:5], v2, off
.LBB7_136:
	s_mov_b64 s[8:9], 0
.LBB7_137:
	s_andn2_b64 vcc, exec, s[8:9]
	s_cbranch_vccnz .LBB7_153
; %bb.138:
	s_cmp_lt_i32 s10, 2
	s_mov_b64 s[8:9], -1
	s_cbranch_scc1 .LBB7_148
; %bb.139:
	s_cmp_lt_i32 s10, 3
	s_cbranch_scc1 .LBB7_145
; %bb.140:
	s_cmp_gt_i32 s10, 3
	s_cbranch_scc0 .LBB7_142
; %bb.141:
	v_trunc_f64_e32 v[2:3], v[0:1]
	s_movk_i32 s8, 0xffe0
	v_ldexp_f64 v[6:7], v[2:3], s8
	s_mov_b32 s8, 0
	s_mov_b32 s9, 0xc1f00000
	v_floor_f64_e32 v[6:7], v[6:7]
	v_fma_f64 v[2:3], v[6:7], s[8:9], v[2:3]
	v_cvt_i32_f64_e32 v7, v[6:7]
	s_mov_b64 s[8:9], 0
	v_cvt_u32_f64_e32 v6, v[2:3]
	global_store_dwordx2 v[4:5], v[6:7], off
.LBB7_142:
	s_andn2_b64 vcc, exec, s[8:9]
	s_cbranch_vccnz .LBB7_144
; %bb.143:
	v_cvt_i32_f64_e32 v2, v[0:1]
	global_store_dword v[4:5], v2, off
.LBB7_144:
	s_mov_b64 s[8:9], 0
.LBB7_145:
	s_andn2_b64 vcc, exec, s[8:9]
	s_cbranch_vccnz .LBB7_147
; %bb.146:
	v_cvt_i32_f64_e32 v2, v[0:1]
	global_store_short v[4:5], v2, off
.LBB7_147:
	s_mov_b64 s[8:9], 0
.LBB7_148:
	s_andn2_b64 vcc, exec, s[8:9]
	s_cbranch_vccnz .LBB7_153
; %bb.149:
	s_cmp_gt_i32 s10, 0
	s_mov_b64 s[8:9], -1
	s_cbranch_scc0 .LBB7_151
; %bb.150:
	v_cvt_i32_f64_e32 v2, v[0:1]
	s_mov_b64 s[8:9], 0
	global_store_byte v[4:5], v2, off
.LBB7_151:
	s_andn2_b64 vcc, exec, s[8:9]
	s_cbranch_vccnz .LBB7_153
; %bb.152:
	v_trunc_f64_e32 v[0:1], v[0:1]
	s_movk_i32 s8, 0xffe0
	v_ldexp_f64 v[2:3], v[0:1], s8
	s_mov_b32 s8, 0
	s_mov_b32 s9, 0xc1f00000
	v_floor_f64_e32 v[2:3], v[2:3]
	v_fma_f64 v[0:1], v[2:3], s[8:9], v[0:1]
	v_cvt_u32_f64_e32 v0, v[0:1]
	global_store_byte v[4:5], v0, off
.LBB7_153:
.LBB7_154:
	v_add_u32_e32 v10, 0x80, v10
	s_mov_b64 s[8:9], -1
	s_branch .LBB7_265
.LBB7_155:
	s_mov_b64 s[2:3], -1
                                        ; implicit-def: $vgpr3_vgpr4
.LBB7_156:
	s_mov_b64 s[8:9], 0
.LBB7_157:
	s_and_b64 vcc, exec, s[8:9]
	s_cbranch_vccz .LBB7_161
; %bb.158:
	s_cmp_eq_u32 s12, 29
	s_cbranch_scc0 .LBB7_160
; %bb.159:
	global_load_dwordx2 v[3:4], v[0:1], off
	s_mov_b64 s[0:1], -1
	s_mov_b64 s[2:3], 0
	s_mov_b64 s[8:9], 0
	s_waitcnt vmcnt(0)
	v_cvt_f64_u32_e32 v[4:5], v4
	v_cvt_f64_u32_e32 v[6:7], v3
	v_ldexp_f64 v[4:5], v[4:5], 32
	v_add_f64 v[3:4], v[4:5], v[6:7]
	s_branch .LBB7_162
.LBB7_160:
	s_mov_b64 s[2:3], -1
                                        ; implicit-def: $vgpr3_vgpr4
.LBB7_161:
	s_mov_b64 s[8:9], 0
.LBB7_162:
	s_and_b64 vcc, exec, s[8:9]
	s_cbranch_vccz .LBB7_182
; %bb.163:
	s_cmp_lt_i32 s12, 27
	s_cbranch_scc1 .LBB7_166
; %bb.164:
	s_cmp_gt_i32 s12, 27
	s_cbranch_scc0 .LBB7_167
; %bb.165:
	global_load_dword v3, v[0:1], off
	s_mov_b64 s[0:1], 0
	s_waitcnt vmcnt(0)
	v_cvt_f64_u32_e32 v[3:4], v3
	s_branch .LBB7_168
.LBB7_166:
	s_mov_b64 s[0:1], -1
                                        ; implicit-def: $vgpr3_vgpr4
	s_branch .LBB7_171
.LBB7_167:
	s_mov_b64 s[0:1], -1
                                        ; implicit-def: $vgpr3_vgpr4
.LBB7_168:
	s_andn2_b64 vcc, exec, s[0:1]
	s_cbranch_vccnz .LBB7_170
; %bb.169:
	global_load_ushort v3, v[0:1], off
	s_waitcnt vmcnt(0)
	v_cvt_f64_u32_e32 v[3:4], v3
.LBB7_170:
	s_mov_b64 s[0:1], 0
.LBB7_171:
	s_andn2_b64 vcc, exec, s[0:1]
	s_cbranch_vccnz .LBB7_181
; %bb.172:
	global_load_ubyte v5, v[0:1], off
	s_movk_i32 s0, 0x7f
	s_waitcnt vmcnt(0)
	v_cmp_lt_i16_e32 vcc, s0, v5
	s_mov_b64 s[0:1], 0
	s_and_saveexec_b64 s[8:9], vcc
	s_xor_b64 s[8:9], exec, s[8:9]
	s_cbranch_execz .LBB7_176
; %bb.173:
	s_movk_i32 s0, 0x80
	v_cmp_eq_u16_e32 vcc, s0, v5
	s_mov_b64 s[0:1], -1
	s_and_saveexec_b64 s[10:11], vcc
; %bb.174:
	s_xor_b64 s[0:1], exec, -1
; %bb.175:
	s_or_b64 exec, exec, s[10:11]
	s_and_b64 s[0:1], s[0:1], exec
.LBB7_176:
	s_or_saveexec_b64 s[8:9], s[8:9]
	v_bfrev_b32_e32 v3, 4
	v_mov_b32_e32 v4, 0x7ff80000
	s_xor_b64 exec, exec, s[8:9]
; %bb.177:
	v_cmp_ne_u16_e32 vcc, 0, v5
	v_mov_b32_e32 v3, 0
	s_andn2_b64 s[0:1], s[0:1], exec
	s_and_b64 s[10:11], vcc, exec
	v_mov_b32_e32 v4, 0
	s_or_b64 s[0:1], s[0:1], s[10:11]
; %bb.178:
	s_or_b64 exec, exec, s[8:9]
	s_and_saveexec_b64 s[8:9], s[0:1]
	s_cbranch_execz .LBB7_180
; %bb.179:
	v_and_b32_e32 v4, 0xffff, v5
	v_lshlrev_b32_e32 v3, 24, v5
	v_and_b32_e32 v5, 7, v4
	v_ffbh_u32_e32 v7, v5
	v_min_u32_e32 v7, 32, v7
	v_subrev_u32_e32 v8, 28, v7
	v_bfe_u32 v6, v4, 3, 4
	v_lshlrev_b32_e32 v4, v8, v4
	v_sub_u32_e32 v7, 29, v7
	v_and_b32_e32 v4, 7, v4
	v_cmp_eq_u32_e32 vcc, 0, v6
	v_cndmask_b32_e32 v6, v6, v7, vcc
	v_cndmask_b32_e32 v4, v5, v4, vcc
	v_mov_b32_e32 v5, 0x3b800000
	v_lshlrev_b32_e32 v4, 20, v4
	v_and_b32_e32 v3, 0x80000000, v3
	v_lshl_add_u32 v5, v6, 23, v5
	v_or3_b32 v3, v3, v5, v4
	v_cvt_f64_f32_e32 v[3:4], v3
.LBB7_180:
	s_or_b64 exec, exec, s[8:9]
.LBB7_181:
	s_mov_b64 s[0:1], -1
.LBB7_182:
	s_branch .LBB7_215
.LBB7_183:
	s_cmp_gt_i32 s12, 22
	s_cbranch_scc0 .LBB7_195
; %bb.184:
	s_cmp_lt_i32 s12, 24
	s_cbranch_scc1 .LBB7_196
; %bb.185:
	s_cmp_gt_i32 s12, 24
	s_cbranch_scc0 .LBB7_197
; %bb.186:
	global_load_ubyte v5, v[0:1], off
	s_movk_i32 s0, 0x7f
	s_waitcnt vmcnt(0)
	v_cmp_lt_i16_e32 vcc, s0, v5
	s_mov_b64 s[0:1], 0
	s_and_saveexec_b64 s[8:9], vcc
	s_xor_b64 s[8:9], exec, s[8:9]
	s_cbranch_execz .LBB7_190
; %bb.187:
	s_movk_i32 s0, 0x80
	v_cmp_eq_u16_e32 vcc, s0, v5
	s_mov_b64 s[0:1], -1
	s_and_saveexec_b64 s[10:11], vcc
; %bb.188:
	s_xor_b64 s[0:1], exec, -1
; %bb.189:
	s_or_b64 exec, exec, s[10:11]
	s_and_b64 s[0:1], s[0:1], exec
.LBB7_190:
	s_or_saveexec_b64 s[8:9], s[8:9]
	v_bfrev_b32_e32 v3, 4
	v_mov_b32_e32 v4, 0x7ff80000
	s_xor_b64 exec, exec, s[8:9]
; %bb.191:
	v_cmp_ne_u16_e32 vcc, 0, v5
	v_mov_b32_e32 v3, 0
	s_andn2_b64 s[0:1], s[0:1], exec
	s_and_b64 s[10:11], vcc, exec
	v_mov_b32_e32 v4, 0
	s_or_b64 s[0:1], s[0:1], s[10:11]
; %bb.192:
	s_or_b64 exec, exec, s[8:9]
	s_and_saveexec_b64 s[8:9], s[0:1]
	s_cbranch_execz .LBB7_194
; %bb.193:
	v_and_b32_e32 v4, 0xffff, v5
	v_lshlrev_b32_e32 v3, 24, v5
	v_and_b32_e32 v5, 3, v4
	v_ffbh_u32_e32 v7, v5
	v_min_u32_e32 v7, 32, v7
	v_subrev_u32_e32 v8, 29, v7
	v_bfe_u32 v6, v4, 2, 5
	v_lshlrev_b32_e32 v4, v8, v4
	v_sub_u32_e32 v7, 30, v7
	v_and_b32_e32 v4, 3, v4
	v_cmp_eq_u32_e32 vcc, 0, v6
	v_cndmask_b32_e32 v6, v6, v7, vcc
	v_cndmask_b32_e32 v4, v5, v4, vcc
	v_mov_b32_e32 v5, 0x37800000
	v_lshlrev_b32_e32 v4, 21, v4
	v_and_b32_e32 v3, 0x80000000, v3
	v_lshl_add_u32 v5, v6, 23, v5
	v_or3_b32 v3, v3, v5, v4
	v_cvt_f64_f32_e32 v[3:4], v3
.LBB7_194:
	s_or_b64 exec, exec, s[8:9]
	s_mov_b64 s[0:1], 0
	s_branch .LBB7_198
.LBB7_195:
	s_mov_b64 s[8:9], -1
                                        ; implicit-def: $vgpr3_vgpr4
	s_branch .LBB7_204
.LBB7_196:
	s_mov_b64 s[0:1], -1
                                        ; implicit-def: $vgpr3_vgpr4
	s_branch .LBB7_201
.LBB7_197:
	s_mov_b64 s[0:1], -1
                                        ; implicit-def: $vgpr3_vgpr4
.LBB7_198:
	s_and_b64 vcc, exec, s[0:1]
	s_cbranch_vccz .LBB7_200
; %bb.199:
	global_load_ubyte v3, v[0:1], off
	s_mov_b32 s0, 0x7f800000
	s_waitcnt vmcnt(0)
	v_lshlrev_b32_e32 v3, 24, v3
	v_and_b32_e32 v4, 0x7f000000, v3
	v_ffbh_u32_e32 v5, v4
	v_min_u32_e32 v5, 32, v5
	v_sub_u32_e64 v5, v5, 4 clamp
	v_lshlrev_b32_e32 v7, v5, v4
	v_lshlrev_b32_e32 v5, 23, v5
	v_lshrrev_b32_e32 v7, 4, v7
	v_add_u32_e32 v6, 0x1000000, v4
	v_sub_u32_e32 v5, v7, v5
	v_ashrrev_i32_e32 v6, 8, v6
	v_add_u32_e32 v5, 0x3c000000, v5
	v_and_or_b32 v5, v6, s0, v5
	v_cmp_ne_u32_e32 vcc, 0, v4
	v_cndmask_b32_e32 v4, 0, v5, vcc
	s_brev_b32 s0, 1
	v_and_or_b32 v3, v3, s0, v4
	v_cvt_f64_f32_e32 v[3:4], v3
.LBB7_200:
	s_mov_b64 s[0:1], 0
.LBB7_201:
	s_andn2_b64 vcc, exec, s[0:1]
	s_cbranch_vccnz .LBB7_203
; %bb.202:
	global_load_ubyte v3, v[0:1], off
	s_movk_i32 s0, 0x7f00
	s_brev_b32 s1, 16
	s_waitcnt vmcnt(0)
	v_lshlrev_b16_e32 v4, 8, v3
	v_lshlrev_b32_e32 v3, 25, v3
	v_lshrrev_b32_e32 v5, 4, v3
	v_and_or_b32 v6, v4, s0, 0.5
	v_or_b32_e32 v5, 0x70000000, v5
	v_add_f32_e32 v6, -0.5, v6
	v_mul_f32_e32 v5, 0x7800000, v5
	v_cmp_gt_u32_e32 vcc, s1, v3
	v_bfe_i32 v4, v4, 0, 16
	v_cndmask_b32_e32 v3, v5, v6, vcc
	s_brev_b32 s0, 1
	v_and_or_b32 v3, v4, s0, v3
	v_cvt_f64_f32_e32 v[3:4], v3
.LBB7_203:
	s_mov_b64 s[8:9], 0
	s_mov_b64 s[0:1], -1
.LBB7_204:
	s_andn2_b64 vcc, exec, s[8:9]
	s_cbranch_vccnz .LBB7_215
; %bb.205:
	s_cmp_gt_i32 s12, 14
	s_cbranch_scc0 .LBB7_208
; %bb.206:
	s_cmp_eq_u32 s12, 15
	s_cbranch_scc0 .LBB7_209
; %bb.207:
	global_load_ushort v3, v[0:1], off
	s_mov_b64 s[0:1], -1
	s_mov_b64 s[2:3], 0
	s_waitcnt vmcnt(0)
	v_lshlrev_b32_e32 v3, 16, v3
	v_cvt_f64_f32_e32 v[3:4], v3
	s_branch .LBB7_210
.LBB7_208:
	s_mov_b64 s[8:9], -1
                                        ; implicit-def: $vgpr3_vgpr4
	s_branch .LBB7_211
.LBB7_209:
	s_mov_b64 s[2:3], -1
                                        ; implicit-def: $vgpr3_vgpr4
.LBB7_210:
	s_mov_b64 s[8:9], 0
.LBB7_211:
	s_and_b64 vcc, exec, s[8:9]
	s_cbranch_vccz .LBB7_215
; %bb.212:
	s_cmp_eq_u32 s12, 11
	s_cbranch_scc0 .LBB7_214
; %bb.213:
	global_load_ubyte v4, v[0:1], off
	v_mov_b32_e32 v5, 0x3ff00000
	v_mov_b32_e32 v3, 0
	s_mov_b64 s[0:1], -1
	s_mov_b64 s[2:3], 0
	s_waitcnt vmcnt(0)
	v_cmp_ne_u16_e32 vcc, 0, v4
	v_cndmask_b32_e32 v4, 0, v5, vcc
	s_branch .LBB7_215
.LBB7_214:
	s_mov_b64 s[2:3], -1
                                        ; implicit-def: $vgpr3_vgpr4
.LBB7_215:
	s_branch .LBB7_24
.LBB7_216:
	s_cmp_lt_i32 s12, 5
	s_cbranch_scc1 .LBB7_221
; %bb.217:
	s_cmp_lt_i32 s12, 8
	s_cbranch_scc1 .LBB7_222
; %bb.218:
	s_cmp_lt_i32 s12, 9
	s_cbranch_scc1 .LBB7_223
; %bb.219:
	s_cmp_gt_i32 s12, 9
	s_cbranch_scc0 .LBB7_224
; %bb.220:
	global_load_dwordx2 v[3:4], v[0:1], off
	s_mov_b64 s[0:1], 0
	s_branch .LBB7_225
.LBB7_221:
                                        ; implicit-def: $vgpr3_vgpr4
	s_branch .LBB7_243
.LBB7_222:
	s_mov_b64 s[0:1], -1
                                        ; implicit-def: $vgpr3_vgpr4
	s_branch .LBB7_231
.LBB7_223:
	s_mov_b64 s[0:1], -1
                                        ; implicit-def: $vgpr3_vgpr4
	s_branch .LBB7_228
.LBB7_224:
	s_mov_b64 s[0:1], -1
                                        ; implicit-def: $vgpr3_vgpr4
.LBB7_225:
	s_andn2_b64 vcc, exec, s[0:1]
	s_cbranch_vccnz .LBB7_227
; %bb.226:
	global_load_dword v3, v[0:1], off
	s_waitcnt vmcnt(0)
	v_cvt_f64_f32_e32 v[3:4], v3
.LBB7_227:
	s_mov_b64 s[0:1], 0
.LBB7_228:
	s_andn2_b64 vcc, exec, s[0:1]
	s_cbranch_vccnz .LBB7_230
; %bb.229:
	global_load_dword v3, v[0:1], off
	s_waitcnt vmcnt(0)
	v_cvt_f32_f16_e32 v3, v3
	v_cvt_f64_f32_e32 v[3:4], v3
.LBB7_230:
	s_mov_b64 s[0:1], 0
.LBB7_231:
	s_andn2_b64 vcc, exec, s[0:1]
	s_cbranch_vccnz .LBB7_242
; %bb.232:
	s_cmp_lt_i32 s12, 6
	s_cbranch_scc1 .LBB7_235
; %bb.233:
	s_cmp_gt_i32 s12, 6
	s_cbranch_scc0 .LBB7_236
; %bb.234:
	global_load_dwordx2 v[3:4], v[0:1], off
	s_mov_b64 s[0:1], 0
	s_branch .LBB7_237
.LBB7_235:
	s_mov_b64 s[0:1], -1
                                        ; implicit-def: $vgpr3_vgpr4
	s_branch .LBB7_240
.LBB7_236:
	s_mov_b64 s[0:1], -1
                                        ; implicit-def: $vgpr3_vgpr4
.LBB7_237:
	s_andn2_b64 vcc, exec, s[0:1]
	s_cbranch_vccnz .LBB7_239
; %bb.238:
	global_load_dword v3, v[0:1], off
	s_waitcnt vmcnt(0)
	v_cvt_f64_f32_e32 v[3:4], v3
.LBB7_239:
	s_mov_b64 s[0:1], 0
.LBB7_240:
	s_andn2_b64 vcc, exec, s[0:1]
	s_cbranch_vccnz .LBB7_242
; %bb.241:
	global_load_ushort v3, v[0:1], off
	s_waitcnt vmcnt(0)
	v_cvt_f32_f16_e32 v3, v3
	v_cvt_f64_f32_e32 v[3:4], v3
.LBB7_242:
	s_cbranch_execnz .LBB7_262
.LBB7_243:
	s_cmp_lt_i32 s12, 2
	s_cbranch_scc1 .LBB7_247
; %bb.244:
	s_cmp_lt_i32 s12, 3
	s_cbranch_scc1 .LBB7_248
; %bb.245:
	s_cmp_gt_i32 s12, 3
	s_cbranch_scc0 .LBB7_249
; %bb.246:
	global_load_dwordx2 v[3:4], v[0:1], off
	s_mov_b64 s[0:1], 0
	s_waitcnt vmcnt(0)
	v_cvt_f64_i32_e32 v[4:5], v4
	v_cvt_f64_u32_e32 v[6:7], v3
	v_ldexp_f64 v[4:5], v[4:5], 32
	v_add_f64 v[3:4], v[4:5], v[6:7]
	s_branch .LBB7_250
.LBB7_247:
	s_mov_b64 s[0:1], -1
                                        ; implicit-def: $vgpr3_vgpr4
	s_branch .LBB7_256
.LBB7_248:
	s_mov_b64 s[0:1], -1
                                        ; implicit-def: $vgpr3_vgpr4
	s_branch .LBB7_253
.LBB7_249:
	s_mov_b64 s[0:1], -1
                                        ; implicit-def: $vgpr3_vgpr4
.LBB7_250:
	s_andn2_b64 vcc, exec, s[0:1]
	s_cbranch_vccnz .LBB7_252
; %bb.251:
	global_load_dword v3, v[0:1], off
	s_waitcnt vmcnt(0)
	v_cvt_f64_i32_e32 v[3:4], v3
.LBB7_252:
	s_mov_b64 s[0:1], 0
.LBB7_253:
	s_andn2_b64 vcc, exec, s[0:1]
	s_cbranch_vccnz .LBB7_255
; %bb.254:
	global_load_sshort v3, v[0:1], off
	s_waitcnt vmcnt(0)
	v_cvt_f64_i32_e32 v[3:4], v3
.LBB7_255:
	s_mov_b64 s[0:1], 0
.LBB7_256:
	s_andn2_b64 vcc, exec, s[0:1]
	s_cbranch_vccnz .LBB7_262
; %bb.257:
	s_cmp_gt_i32 s12, 0
	s_cbranch_scc0 .LBB7_259
; %bb.258:
	global_load_sbyte v3, v[0:1], off
	s_mov_b64 s[0:1], 0
	s_waitcnt vmcnt(0)
	v_cvt_f64_i32_e32 v[3:4], v3
	s_branch .LBB7_260
.LBB7_259:
	s_mov_b64 s[0:1], -1
                                        ; implicit-def: $vgpr3_vgpr4
.LBB7_260:
	s_andn2_b64 vcc, exec, s[0:1]
	s_cbranch_vccnz .LBB7_262
; %bb.261:
	global_load_ubyte v0, v[0:1], off
	s_waitcnt vmcnt(0)
	v_cvt_f64_u32_e32 v[3:4], v0
.LBB7_262:
	s_branch .LBB7_25
.LBB7_263:
	s_mov_b64 s[0:1], 0
.LBB7_264:
	s_mov_b64 s[8:9], 0
                                        ; implicit-def: $vgpr10
.LBB7_265:
	s_and_b64 s[54:55], s[0:1], exec
	s_and_b64 s[56:57], s[2:3], exec
	s_orn2_b64 s[2:3], s[8:9], exec
.LBB7_266:
	s_or_b64 exec, exec, s[58:59]
	s_mov_b64 s[10:11], 0
	s_mov_b64 s[0:1], 0
                                        ; implicit-def: $vgpr0_vgpr1
                                        ; implicit-def: $vgpr2
                                        ; implicit-def: $vgpr6_vgpr7
	s_and_saveexec_b64 s[58:59], s[2:3]
	s_cbranch_execz .LBB7_273
; %bb.267:
	v_cmp_gt_i32_e32 vcc, s72, v10
	s_mov_b64 s[0:1], -1
	s_mov_b64 s[60:61], s[56:57]
	s_mov_b64 s[62:63], s[54:55]
	s_and_saveexec_b64 s[64:65], vcc
	s_cbranch_execz .LBB7_542
; %bb.268:
	s_andn2_b64 vcc, exec, s[40:41]
	s_cbranch_vccnz .LBB7_276
; %bb.269:
	s_andn2_b64 vcc, exec, s[52:53]
	s_cbranch_vccnz .LBB7_277
; %bb.270:
	s_add_i32 s67, s77, 1
	s_cmp_eq_u32 s74, 2
	s_cbranch_scc1 .LBB7_278
; %bb.271:
	s_and_b32 s66, s67, 28
	v_mov_b32_e32 v0, 0
	s_mov_b32 s68, 0
	s_mov_b64 s[60:61], s[34:35]
	s_mov_b64 s[62:63], s[50:51]
	v_mov_b32_e32 v2, 0
	v_mov_b32_e32 v1, v10
.LBB7_272:                              ; =>This Inner Loop Header: Depth=1
	s_load_dwordx8 s[16:23], s[60:61], 0x4
	s_load_dwordx4 s[0:3], s[60:61], 0x24
	s_load_dwordx8 s[8:15], s[62:63], 0x0
	s_add_u32 s60, s60, 48
	s_addc_u32 s61, s61, 0
	s_waitcnt vmcnt(0) lgkmcnt(0)
	v_mul_hi_u32 v3, s17, v1
	s_add_i32 s68, s68, 4
	s_add_u32 s62, s62, 32
	s_addc_u32 s63, s63, 0
	v_add_u32_e32 v3, v1, v3
	v_lshrrev_b32_e32 v3, s18, v3
	v_mul_lo_u32 v4, v3, s16
	v_mul_hi_u32 v5, s20, v3
	s_cmp_eq_u32 s66, s68
	v_sub_u32_e32 v1, v1, v4
	v_add_u32_e32 v4, v3, v5
	v_mul_lo_u32 v5, v1, s8
	v_mul_lo_u32 v6, v1, s9
	v_lshrrev_b32_e32 v1, s21, v4
	v_mul_lo_u32 v4, v1, s19
	v_mul_hi_u32 v7, s23, v1
	v_sub_u32_e32 v3, v3, v4
	v_add_u32_e32 v4, v1, v7
	v_lshrrev_b32_e32 v4, s0, v4
	v_mul_hi_u32 v8, s2, v4
	v_mul_lo_u32 v9, v4, s22
	v_mul_lo_u32 v7, v3, s10
	;; [unrolled: 1-line block ×3, first 2 shown]
	v_sub_u32_e32 v9, v1, v9
	v_add_u32_e32 v1, v4, v8
	v_lshrrev_b32_e32 v1, s3, v1
	v_mul_lo_u32 v8, v1, s1
	v_mul_lo_u32 v11, v9, s12
	;; [unrolled: 1-line block ×3, first 2 shown]
	v_add3_u32 v2, v5, v2, v7
	v_sub_u32_e32 v4, v4, v8
	v_mul_lo_u32 v8, v4, s14
	v_mul_lo_u32 v4, v4, s15
	v_add3_u32 v0, v6, v0, v3
	v_add3_u32 v2, v11, v2, v8
	;; [unrolled: 1-line block ×3, first 2 shown]
	s_cbranch_scc0 .LBB7_272
	s_branch .LBB7_279
.LBB7_273:
	s_or_b64 exec, exec, s[58:59]
	s_mov_b64 s[2:3], 0
	s_and_saveexec_b64 s[8:9], s[56:57]
	s_cbranch_execnz .LBB7_918
.LBB7_274:
	s_or_b64 exec, exec, s[8:9]
	s_and_saveexec_b64 s[8:9], s[62:63]
	s_xor_b64 s[8:9], exec, s[8:9]
	s_cbranch_execz .LBB7_919
.LBB7_275:
	global_load_ubyte v3, v[0:1], off
	s_waitcnt vmcnt(1)
	v_mov_b32_e32 v4, 0x3ff00000
	v_mov_b32_e32 v6, 0
	s_or_b64 s[0:1], s[0:1], exec
	s_waitcnt vmcnt(0)
	v_cmp_ne_u16_e32 vcc, 0, v3
	v_cndmask_b32_e32 v7, 0, v4, vcc
	s_or_b64 exec, exec, s[8:9]
	s_and_saveexec_b64 s[8:9], s[10:11]
	s_cbranch_execz .LBB7_965
	s_branch .LBB7_920
.LBB7_276:
                                        ; implicit-def: $vgpr2
                                        ; implicit-def: $vgpr0
	s_andn2_b64 vcc, exec, s[0:1]
	s_cbranch_vccz .LBB7_283
	s_branch .LBB7_285
.LBB7_277:
	v_mov_b32_e32 v2, 0
	v_mov_b32_e32 v0, 0
	s_branch .LBB7_282
.LBB7_278:
	s_mov_b32 s66, 0
	v_mov_b32_e32 v2, 0
	v_mov_b32_e32 v0, 0
	;; [unrolled: 1-line block ×3, first 2 shown]
.LBB7_279:
	s_and_b32 s8, s67, 3
	s_cmp_eq_u32 s8, 0
	s_cbranch_scc1 .LBB7_282
; %bb.280:
	s_lshl_b32 s0, s66, 3
	s_add_u32 s0, s34, s0
	s_addc_u32 s1, s35, 0
	s_add_u32 s0, s0, 0xc4
	s_addc_u32 s1, s1, 0
	s_mul_i32 s2, s66, 12
	s_add_u32 s2, s34, s2
	s_addc_u32 s3, s35, 0
.LBB7_281:                              ; =>This Inner Loop Header: Depth=1
	s_load_dwordx2 s[10:11], s[2:3], 0x4
	s_load_dword s9, s[2:3], 0xc
	s_load_dwordx2 s[12:13], s[0:1], 0x0
	s_add_u32 s2, s2, 12
	s_addc_u32 s3, s3, 0
	s_waitcnt vmcnt(0) lgkmcnt(0)
	v_mul_hi_u32 v3, s11, v1
	s_add_u32 s0, s0, 8
	s_addc_u32 s1, s1, 0
	s_add_i32 s8, s8, -1
	v_add_u32_e32 v3, v1, v3
	v_lshrrev_b32_e32 v4, s9, v3
	v_mul_lo_u32 v3, v4, s10
	s_cmp_lg_u32 s8, 0
	v_sub_u32_e32 v1, v1, v3
	v_mad_u64_u32 v[2:3], s[10:11], v1, s12, v[2:3]
	v_mad_u64_u32 v[0:1], s[10:11], v1, s13, v[0:1]
	v_mov_b32_e32 v1, v4
	s_cbranch_scc1 .LBB7_281
.LBB7_282:
	s_cbranch_execnz .LBB7_285
.LBB7_283:
	v_mul_hi_u32 v0, s29, v10
	s_andn2_b64 vcc, exec, s[48:49]
	v_add_u32_e32 v0, v10, v0
	v_lshrrev_b32_e32 v1, s30, v0
	v_mul_lo_u32 v0, v1, s28
	v_sub_u32_e32 v0, v10, v0
	v_mul_lo_u32 v2, v0, s36
	v_mul_lo_u32 v0, v0, s37
	s_cbranch_vccnz .LBB7_285
; %bb.284:
	s_waitcnt vmcnt(0)
	v_mul_hi_u32 v3, s46, v1
	v_add_u32_e32 v3, v1, v3
	v_lshrrev_b32_e32 v3, s47, v3
	v_mul_lo_u32 v3, v3, s31
	v_sub_u32_e32 v1, v1, v3
	v_mad_u64_u32 v[2:3], s[0:1], v1, s38, v[2:3]
	v_mad_u64_u32 v[0:1], s[0:1], v1, s39, v[0:1]
.LBB7_285:
	v_mov_b32_e32 v1, s27
	s_and_b32 s12, 0xffff, s76
	v_add_co_u32_e32 v0, vcc, s26, v0
	s_cmp_lt_i32 s12, 11
	v_addc_co_u32_e32 v1, vcc, 0, v1, vcc
	s_cbranch_scc1 .LBB7_292
; %bb.286:
	s_cmp_gt_i32 s12, 25
	s_cbranch_scc0 .LBB7_301
; %bb.287:
	s_cmp_gt_i32 s12, 28
	s_cbranch_scc0 .LBB7_303
	;; [unrolled: 3-line block ×4, first 2 shown]
; %bb.290:
	s_cmp_eq_u32 s12, 46
	s_mov_b64 s[8:9], 0
	s_cbranch_scc0 .LBB7_313
; %bb.291:
	global_load_dword v3, v[0:1], off
	s_mov_b64 s[0:1], -1
	s_mov_b64 s[2:3], 0
	s_waitcnt vmcnt(0)
	v_lshlrev_b32_e32 v3, 16, v3
	v_cvt_f64_f32_e32 v[3:4], v3
	s_branch .LBB7_314
.LBB7_292:
	s_mov_b64 s[0:1], 0
                                        ; implicit-def: $vgpr3_vgpr4
	s_mov_b64 s[2:3], s[56:57]
	s_cbranch_execnz .LBB7_491
.LBB7_293:
	s_andn2_b64 vcc, exec, s[0:1]
	s_cbranch_vccnz .LBB7_539
.LBB7_294:
	s_waitcnt vmcnt(0)
	v_cmp_nge_f64_e64 s[0:1], v[3:4], -s[44:45]
	v_cmp_nge_f64_e32 vcc, s[44:45], v[3:4]
	v_mov_b32_e32 v5, s25
	s_and_b32 s14, s75, 0xff
	s_or_b64 vcc, s[0:1], vcc
	v_cndmask_b32_e32 v1, 0, v4, vcc
	v_cndmask_b32_e32 v0, 0, v3, vcc
	v_add_co_u32_e32 v4, vcc, s24, v2
	s_cmp_lt_i32 s14, 11
	v_addc_co_u32_e32 v5, vcc, 0, v5, vcc
	s_cbranch_scc1 .LBB7_302
; %bb.295:
	s_and_b32 s15, 0xffff, s14
	s_cmp_gt_i32 s15, 25
	s_cbranch_scc0 .LBB7_304
; %bb.296:
	s_cmp_gt_i32 s15, 28
	s_cbranch_scc0 .LBB7_306
; %bb.297:
	;; [unrolled: 3-line block ×4, first 2 shown]
	s_mov_b64 s[10:11], 0
	s_mov_b64 s[0:1], -1
	s_cmp_eq_u32 s15, 46
	s_mov_b64 s[8:9], 0
	s_cbranch_scc0 .LBB7_318
; %bb.300:
	v_cvt_f32_f64_e32 v2, v[0:1]
	s_movk_i32 s0, 0x7fff
	v_mov_b32_e32 v3, 0x7fc0
	s_mov_b64 s[8:9], -1
	v_bfe_u32 v6, v2, 16, 1
	v_cmp_o_f32_e32 vcc, v2, v2
	v_add3_u32 v2, v2, v6, s0
	v_cndmask_b32_sdwa v2, v3, v2, vcc dst_sel:DWORD dst_unused:UNUSED_PAD src0_sel:DWORD src1_sel:WORD_1
	global_store_dword v[4:5], v2, off
	s_mov_b64 s[0:1], 0
	s_branch .LBB7_318
.LBB7_301:
	s_mov_b64 s[8:9], -1
	s_mov_b64 s[0:1], 0
	s_mov_b64 s[2:3], s[56:57]
                                        ; implicit-def: $vgpr3_vgpr4
	s_branch .LBB7_457
.LBB7_302:
	s_mov_b64 s[10:11], -1
	s_mov_b64 s[8:9], 0
	s_mov_b64 s[0:1], s[54:55]
	s_branch .LBB7_387
.LBB7_303:
	s_mov_b64 s[8:9], -1
	s_mov_b64 s[0:1], 0
	s_mov_b64 s[2:3], s[56:57]
                                        ; implicit-def: $vgpr3_vgpr4
	s_branch .LBB7_436
.LBB7_304:
	s_mov_b64 s[10:11], -1
	s_mov_b64 s[8:9], 0
	s_mov_b64 s[0:1], s[54:55]
	s_branch .LBB7_345
.LBB7_305:
	s_mov_b64 s[8:9], -1
	s_mov_b64 s[0:1], 0
	s_mov_b64 s[2:3], s[56:57]
                                        ; implicit-def: $vgpr3_vgpr4
	s_branch .LBB7_431
.LBB7_306:
	s_mov_b64 s[10:11], -1
	s_mov_b64 s[8:9], 0
	s_mov_b64 s[0:1], s[54:55]
	s_branch .LBB7_328
.LBB7_307:
	s_andn2_saveexec_b64 s[12:13], s[12:13]
	s_cbranch_execz .LBB7_68
.LBB7_308:
	s_mov_b32 s16, 0x46000000
	v_add_f32_e64 v3, |v2|, s16
	v_and_b32_e32 v3, 0xff, v3
	v_cmp_ne_u32_e32 vcc, 0, v3
	s_andn2_b64 s[10:11], s[10:11], exec
	s_and_b64 s[16:17], vcc, exec
	s_or_b64 s[10:11], s[10:11], s[16:17]
	s_or_b64 exec, exec, s[12:13]
	v_mov_b32_e32 v6, 0
	s_and_saveexec_b64 s[12:13], s[10:11]
	s_cbranch_execnz .LBB7_69
	s_branch .LBB7_70
.LBB7_309:
	s_mov_b64 s[8:9], -1
	s_mov_b64 s[0:1], 0
	s_mov_b64 s[2:3], s[56:57]
                                        ; implicit-def: $vgpr3_vgpr4
	s_branch .LBB7_314
.LBB7_310:
	s_mov_b64 s[10:11], -1
	s_mov_b64 s[8:9], 0
	s_mov_b64 s[0:1], s[54:55]
	s_branch .LBB7_324
.LBB7_311:
	s_andn2_saveexec_b64 s[12:13], s[12:13]
	s_cbranch_execz .LBB7_81
.LBB7_312:
	s_mov_b32 s16, 0x42800000
	v_add_f32_e64 v3, |v2|, s16
	v_and_b32_e32 v3, 0xff, v3
	v_cmp_ne_u32_e32 vcc, 0, v3
	s_andn2_b64 s[10:11], s[10:11], exec
	s_and_b64 s[16:17], vcc, exec
	s_or_b64 s[10:11], s[10:11], s[16:17]
	s_or_b64 exec, exec, s[12:13]
	v_mov_b32_e32 v6, 0
	s_and_saveexec_b64 s[12:13], s[10:11]
	s_cbranch_execnz .LBB7_82
	s_branch .LBB7_83
.LBB7_313:
	s_mov_b64 s[2:3], -1
                                        ; implicit-def: $vgpr3_vgpr4
	s_mov_b64 s[0:1], 0
.LBB7_314:
	s_and_b64 vcc, exec, s[8:9]
	s_cbranch_vccz .LBB7_430
; %bb.315:
	s_cmp_eq_u32 s12, 44
	s_cbranch_scc0 .LBB7_429
; %bb.316:
	global_load_ubyte v5, v[0:1], off
	s_movk_i32 s2, 0xff
	v_bfrev_b32_e32 v6, 4
	v_mov_b32_e32 v7, 0x7ff80000
	v_bfrev_b32_e32 v8, 28
	s_mov_b64 s[0:1], -1
	s_waitcnt vmcnt(0)
	v_lshlrev_b32_e32 v3, 23, v5
	v_cvt_f64_f32_e32 v[3:4], v3
	v_cmp_ne_u32_e32 vcc, s2, v5
	s_mov_b64 s[2:3], 0
	v_cndmask_b32_e32 v3, v6, v3, vcc
	v_cndmask_b32_e32 v4, v7, v4, vcc
	v_cmp_ne_u32_e32 vcc, 0, v5
	v_cndmask_b32_e32 v4, v8, v4, vcc
	v_cndmask_b32_e32 v3, 0, v3, vcc
	s_branch .LBB7_430
.LBB7_317:
	s_mov_b64 s[10:11], -1
	s_mov_b64 s[8:9], 0
	s_mov_b64 s[0:1], s[54:55]
.LBB7_318:
	s_and_b64 vcc, exec, s[10:11]
	s_cbranch_vccz .LBB7_323
; %bb.319:
	s_cmp_eq_u32 s15, 44
	s_mov_b64 s[0:1], -1
	s_cbranch_scc0 .LBB7_323
; %bb.320:
	v_cvt_f32_f64_e32 v2, v[0:1]
	s_movk_i32 s0, 0xff
	v_mov_b32_e32 v6, 0xff
	v_bfe_u32 v3, v2, 23, 8
	v_cmp_ne_u32_e32 vcc, s0, v3
	s_and_saveexec_b64 s[8:9], vcc
; %bb.321:
	s_mov_b32 s0, 0x3fffff
	v_lshrrev_b32_e32 v6, 23, v2
	v_and_b32_e32 v7, 0x400000, v2
	v_and_or_b32 v2, v2, s0, v3
	v_cmp_ne_u32_e32 vcc, 0, v7
	v_cmp_ne_u32_e64 s[0:1], 0, v2
	s_and_b64 s[0:1], vcc, s[0:1]
	v_cndmask_b32_e64 v2, 0, 1, s[0:1]
	v_add_u32_e32 v6, v6, v2
; %bb.322:
	s_or_b64 exec, exec, s[8:9]
	s_mov_b64 s[8:9], -1
	s_mov_b64 s[0:1], 0
	global_store_byte v[4:5], v6, off
.LBB7_323:
	s_mov_b64 s[10:11], 0
.LBB7_324:
	s_and_b64 vcc, exec, s[10:11]
	s_cbranch_vccz .LBB7_327
; %bb.325:
	s_cmp_eq_u32 s15, 29
	s_mov_b64 s[0:1], -1
	s_cbranch_scc0 .LBB7_327
; %bb.326:
	v_trunc_f64_e32 v[2:3], v[0:1]
	s_movk_i32 s0, 0xffe0
	s_mov_b64 s[8:9], -1
	s_mov_b64 s[10:11], 0
	v_ldexp_f64 v[6:7], v[2:3], s0
	s_mov_b32 s0, 0
	s_mov_b32 s1, 0xc1f00000
	v_floor_f64_e32 v[6:7], v[6:7]
	v_fma_f64 v[2:3], v[6:7], s[0:1], v[2:3]
	v_cvt_u32_f64_e32 v7, v[6:7]
	s_mov_b64 s[0:1], 0
	v_cvt_u32_f64_e32 v6, v[2:3]
	global_store_dwordx2 v[4:5], v[6:7], off
	s_branch .LBB7_328
.LBB7_327:
	s_mov_b64 s[10:11], 0
.LBB7_328:
	s_and_b64 vcc, exec, s[10:11]
	s_cbranch_vccz .LBB7_344
; %bb.329:
	s_cmp_lt_i32 s15, 27
	s_mov_b64 s[8:9], -1
	s_cbranch_scc1 .LBB7_335
; %bb.330:
	v_cvt_u32_f64_e32 v2, v[0:1]
	s_cmp_gt_i32 s15, 27
	s_cbranch_scc0 .LBB7_332
; %bb.331:
	s_mov_b64 s[8:9], 0
	global_store_dword v[4:5], v2, off
.LBB7_332:
	s_andn2_b64 vcc, exec, s[8:9]
	s_cbranch_vccnz .LBB7_334
; %bb.333:
	global_store_short v[4:5], v2, off
.LBB7_334:
	s_mov_b64 s[8:9], 0
.LBB7_335:
	s_andn2_b64 vcc, exec, s[8:9]
	s_cbranch_vccnz .LBB7_343
; %bb.336:
	v_cvt_f32_f64_e32 v2, v[0:1]
	s_mov_b32 s8, 0x43800000
	v_mov_b32_e32 v6, 0x80
	v_and_b32_e32 v3, 0x7fffffff, v2
	v_cmp_gt_u32_e32 vcc, s8, v3
	s_and_saveexec_b64 s[8:9], vcc
	s_cbranch_execz .LBB7_342
; %bb.337:
	s_mov_b32 s10, 0x3bffffff
	v_cmp_lt_u32_e32 vcc, s10, v3
	s_mov_b64 s[10:11], 0
                                        ; implicit-def: $vgpr3
	s_and_saveexec_b64 s[12:13], vcc
	s_xor_b64 s[12:13], exec, s[12:13]
	s_cbranch_execz .LBB7_570
; %bb.338:
	v_bfe_u32 v3, v2, 20, 1
	s_mov_b32 s16, 0x487ffff
	v_add3_u32 v3, v2, v3, s16
	s_mov_b64 s[10:11], exec
	v_lshrrev_b32_e32 v3, 20, v3
	s_andn2_saveexec_b64 s[12:13], s[12:13]
	s_cbranch_execnz .LBB7_571
.LBB7_339:
	s_or_b64 exec, exec, s[12:13]
	v_mov_b32_e32 v6, 0
	s_and_saveexec_b64 s[12:13], s[10:11]
.LBB7_340:
	v_lshrrev_b32_e32 v2, 24, v2
	s_movk_i32 s10, 0x80
	v_and_or_b32 v6, v2, s10, v3
.LBB7_341:
	s_or_b64 exec, exec, s[12:13]
.LBB7_342:
	s_or_b64 exec, exec, s[8:9]
	global_store_byte v[4:5], v6, off
.LBB7_343:
	s_mov_b64 s[8:9], -1
.LBB7_344:
	s_mov_b64 s[10:11], 0
.LBB7_345:
	s_and_b64 vcc, exec, s[10:11]
	s_cbranch_vccz .LBB7_386
; %bb.346:
	s_cmp_gt_i32 s15, 22
	s_mov_b64 s[10:11], -1
	s_cbranch_scc0 .LBB7_378
; %bb.347:
	s_cmp_lt_i32 s15, 24
	s_mov_b64 s[8:9], -1
	s_cbranch_scc1 .LBB7_367
; %bb.348:
	s_cmp_gt_i32 s15, 24
	s_cbranch_scc0 .LBB7_356
; %bb.349:
	v_cvt_f32_f64_e32 v2, v[0:1]
	s_mov_b32 s8, 0x47800000
	v_mov_b32_e32 v6, 0x80
	v_and_b32_e32 v3, 0x7fffffff, v2
	v_cmp_gt_u32_e32 vcc, s8, v3
	s_and_saveexec_b64 s[8:9], vcc
	s_cbranch_execz .LBB7_355
; %bb.350:
	s_mov_b32 s10, 0x37ffffff
	v_cmp_lt_u32_e32 vcc, s10, v3
	s_mov_b64 s[10:11], 0
                                        ; implicit-def: $vgpr3
	s_and_saveexec_b64 s[12:13], vcc
	s_xor_b64 s[12:13], exec, s[12:13]
	s_cbranch_execz .LBB7_573
; %bb.351:
	v_bfe_u32 v3, v2, 21, 1
	s_mov_b32 s16, 0x88fffff
	v_add3_u32 v3, v2, v3, s16
	s_mov_b64 s[10:11], exec
	v_lshrrev_b32_e32 v3, 21, v3
	s_andn2_saveexec_b64 s[12:13], s[12:13]
	s_cbranch_execnz .LBB7_574
.LBB7_352:
	s_or_b64 exec, exec, s[12:13]
	v_mov_b32_e32 v6, 0
	s_and_saveexec_b64 s[12:13], s[10:11]
.LBB7_353:
	v_lshrrev_b32_e32 v2, 24, v2
	s_movk_i32 s10, 0x80
	v_and_or_b32 v6, v2, s10, v3
.LBB7_354:
	s_or_b64 exec, exec, s[12:13]
.LBB7_355:
	s_or_b64 exec, exec, s[8:9]
	s_mov_b64 s[8:9], 0
	global_store_byte v[4:5], v6, off
.LBB7_356:
	s_and_b64 vcc, exec, s[8:9]
	s_cbranch_vccz .LBB7_366
; %bb.357:
	v_cvt_f32_f64_e32 v2, v[0:1]
	s_mov_b32 s8, 0x43f00000
                                        ; implicit-def: $vgpr3
	v_and_b32_e32 v6, 0x7fffffff, v2
	v_cmp_gt_u32_e32 vcc, s8, v6
	s_and_saveexec_b64 s[8:9], vcc
	s_xor_b64 s[8:9], exec, s[8:9]
	s_cbranch_execz .LBB7_363
; %bb.358:
	s_mov_b32 s10, 0x3c7fffff
	v_cmp_lt_u32_e32 vcc, s10, v6
                                        ; implicit-def: $vgpr3
	s_and_saveexec_b64 s[10:11], vcc
	s_xor_b64 s[10:11], exec, s[10:11]
; %bb.359:
	v_bfe_u32 v3, v2, 20, 1
	s_mov_b32 s12, 0x407ffff
	v_add3_u32 v3, v2, v3, s12
	v_lshrrev_b32_e32 v6, 20, v3
	v_and_b32_e32 v3, 0xff00000, v3
	s_mov_b32 s12, 0x7f00000
	v_mov_b32_e32 v7, 0x7e
	v_cmp_ne_u32_e32 vcc, s12, v3
	v_cndmask_b32_e32 v3, v7, v6, vcc
; %bb.360:
	s_andn2_saveexec_b64 s[10:11], s[10:11]
; %bb.361:
	s_mov_b32 s12, 0x46800000
	v_add_f32_e64 v3, |v2|, s12
; %bb.362:
	s_or_b64 exec, exec, s[10:11]
                                        ; implicit-def: $vgpr6
.LBB7_363:
	s_andn2_saveexec_b64 s[8:9], s[8:9]
; %bb.364:
	s_mov_b32 s10, 0x7f800000
	v_mov_b32_e32 v3, 0x7e
	v_mov_b32_e32 v7, 0x7f
	v_cmp_lt_u32_e32 vcc, s10, v6
	v_cndmask_b32_e32 v3, v3, v7, vcc
; %bb.365:
	s_or_b64 exec, exec, s[8:9]
	v_lshrrev_b32_e32 v2, 24, v2
	s_movk_i32 s8, 0x80
	v_and_or_b32 v2, v2, s8, v3
	global_store_byte v[4:5], v2, off
.LBB7_366:
	s_mov_b64 s[8:9], 0
.LBB7_367:
	s_andn2_b64 vcc, exec, s[8:9]
	s_cbranch_vccnz .LBB7_377
; %bb.368:
	v_cvt_f32_f64_e32 v2, v[0:1]
	s_mov_b32 s8, 0x47800000
                                        ; implicit-def: $vgpr3
	v_and_b32_e32 v6, 0x7fffffff, v2
	v_cmp_gt_u32_e32 vcc, s8, v6
	s_and_saveexec_b64 s[8:9], vcc
	s_xor_b64 s[8:9], exec, s[8:9]
	s_cbranch_execz .LBB7_374
; %bb.369:
	s_mov_b32 s10, 0x387fffff
	v_cmp_lt_u32_e32 vcc, s10, v6
                                        ; implicit-def: $vgpr3
	s_and_saveexec_b64 s[10:11], vcc
	s_xor_b64 s[10:11], exec, s[10:11]
; %bb.370:
	v_bfe_u32 v3, v2, 21, 1
	s_mov_b32 s12, 0x80fffff
	v_add3_u32 v3, v2, v3, s12
	v_lshrrev_b32_e32 v3, 21, v3
; %bb.371:
	s_andn2_saveexec_b64 s[10:11], s[10:11]
; %bb.372:
	s_mov_b32 s12, 0x43000000
	v_add_f32_e64 v3, |v2|, s12
; %bb.373:
	s_or_b64 exec, exec, s[10:11]
                                        ; implicit-def: $vgpr6
.LBB7_374:
	s_andn2_saveexec_b64 s[8:9], s[8:9]
; %bb.375:
	s_mov_b32 s10, 0x7f800000
	v_mov_b32_e32 v3, 0x7c
	v_mov_b32_e32 v7, 0x7f
	v_cmp_lt_u32_e32 vcc, s10, v6
	v_cndmask_b32_e32 v3, v3, v7, vcc
; %bb.376:
	s_or_b64 exec, exec, s[8:9]
	v_lshrrev_b32_e32 v2, 24, v2
	s_movk_i32 s8, 0x80
	v_and_or_b32 v2, v2, s8, v3
	global_store_byte v[4:5], v2, off
.LBB7_377:
	s_mov_b64 s[10:11], 0
	s_mov_b64 s[8:9], -1
.LBB7_378:
	s_andn2_b64 vcc, exec, s[10:11]
	s_cbranch_vccnz .LBB7_386
; %bb.379:
	s_cmp_gt_i32 s15, 14
	s_mov_b64 s[10:11], -1
	s_cbranch_scc0 .LBB7_383
; %bb.380:
	s_cmp_eq_u32 s15, 15
	s_mov_b64 s[0:1], -1
	s_cbranch_scc0 .LBB7_382
; %bb.381:
	v_cvt_f32_f64_e32 v2, v[0:1]
	s_movk_i32 s0, 0x7fff
	v_mov_b32_e32 v3, 0x7fc0
	s_mov_b64 s[8:9], -1
	v_bfe_u32 v6, v2, 16, 1
	v_cmp_o_f32_e32 vcc, v2, v2
	v_add3_u32 v2, v2, v6, s0
	v_cndmask_b32_sdwa v2, v3, v2, vcc dst_sel:DWORD dst_unused:UNUSED_PAD src0_sel:DWORD src1_sel:WORD_1
	global_store_short v[4:5], v2, off
	s_mov_b64 s[0:1], 0
.LBB7_382:
	s_mov_b64 s[10:11], 0
.LBB7_383:
	s_and_b64 vcc, exec, s[10:11]
	s_cbranch_vccz .LBB7_386
; %bb.384:
	s_cmp_eq_u32 s15, 11
	s_mov_b64 s[0:1], -1
	s_cbranch_scc0 .LBB7_386
; %bb.385:
	v_cmp_neq_f64_e32 vcc, 0, v[0:1]
	s_mov_b64 s[0:1], 0
	s_mov_b64 s[8:9], -1
	v_cndmask_b32_e64 v2, 0, 1, vcc
	global_store_byte v[4:5], v2, off
.LBB7_386:
	s_mov_b64 s[10:11], 0
.LBB7_387:
	s_and_b64 vcc, exec, s[10:11]
	s_cbranch_vccz .LBB7_426
; %bb.388:
	s_and_b32 s10, 0xffff, s14
	s_cmp_lt_i32 s10, 5
	s_mov_b64 s[8:9], -1
	s_cbranch_scc1 .LBB7_409
; %bb.389:
	s_cmp_lt_i32 s10, 8
	s_cbranch_scc1 .LBB7_399
; %bb.390:
	s_cmp_lt_i32 s10, 9
	s_cbranch_scc1 .LBB7_396
; %bb.391:
	s_cmp_gt_i32 s10, 9
	s_cbranch_scc0 .LBB7_393
; %bb.392:
	v_mov_b32_e32 v2, 0
	v_mov_b32_e32 v3, v2
	s_mov_b64 s[8:9], 0
	global_store_dwordx4 v[4:5], v[0:3], off
.LBB7_393:
	s_andn2_b64 vcc, exec, s[8:9]
	s_cbranch_vccnz .LBB7_395
; %bb.394:
	v_cvt_f32_f64_e32 v2, v[0:1]
	v_mov_b32_e32 v3, 0
	global_store_dwordx2 v[4:5], v[2:3], off
.LBB7_395:
	s_mov_b64 s[8:9], 0
.LBB7_396:
	s_andn2_b64 vcc, exec, s[8:9]
	s_cbranch_vccnz .LBB7_398
; %bb.397:
	s_movk_i32 s8, 0x1ff
	v_and_or_b32 v2, v1, s8, v0
	v_cmp_ne_u32_e32 vcc, 0, v2
	v_cndmask_b32_e64 v2, 0, 1, vcc
	v_lshrrev_b32_e32 v3, 8, v1
	s_movk_i32 s8, 0xffe
	v_bfe_u32 v6, v1, 20, 11
	v_and_or_b32 v2, v3, s8, v2
	v_sub_u32_e32 v7, 0x3f1, v6
	v_or_b32_e32 v3, 0x1000, v2
	v_med3_i32 v7, v7, 0, 13
	v_lshrrev_b32_e32 v8, v7, v3
	v_lshlrev_b32_e32 v7, v7, v8
	v_cmp_ne_u32_e32 vcc, v7, v3
	v_cndmask_b32_e64 v3, 0, 1, vcc
	v_add_u32_e32 v6, 0xfffffc10, v6
	v_or_b32_e32 v3, v8, v3
	v_lshl_or_b32 v7, v6, 12, v2
	v_cmp_gt_i32_e32 vcc, 1, v6
	v_cndmask_b32_e32 v3, v7, v3, vcc
	v_and_b32_e32 v7, 7, v3
	v_cmp_lt_i32_e32 vcc, 5, v7
	v_cndmask_b32_e64 v8, 0, 1, vcc
	v_cmp_eq_u32_e32 vcc, 3, v7
	v_cndmask_b32_e64 v7, 0, 1, vcc
	v_or_b32_e32 v7, v7, v8
	v_lshrrev_b32_e32 v3, 2, v3
	v_add_u32_e32 v3, v3, v7
	v_mov_b32_e32 v7, 0x7c00
	v_cmp_gt_i32_e32 vcc, 31, v6
	v_cndmask_b32_e32 v3, v7, v3, vcc
	v_mov_b32_e32 v8, 0x7e00
	v_cmp_ne_u32_e32 vcc, 0, v2
	s_movk_i32 s8, 0x40f
	v_cndmask_b32_e32 v2, v7, v8, vcc
	v_cmp_eq_u32_e32 vcc, s8, v6
	v_cndmask_b32_e32 v2, v3, v2, vcc
	v_lshrrev_b32_e32 v3, 16, v1
	s_mov_b32 s8, 0x8000
	v_and_or_b32 v2, v3, s8, v2
	v_and_b32_e32 v2, 0xffff, v2
	global_store_dword v[4:5], v2, off
.LBB7_398:
	s_mov_b64 s[8:9], 0
.LBB7_399:
	s_andn2_b64 vcc, exec, s[8:9]
	s_cbranch_vccnz .LBB7_408
; %bb.400:
	s_cmp_lt_i32 s10, 6
	s_mov_b64 s[8:9], -1
	s_cbranch_scc1 .LBB7_406
; %bb.401:
	s_cmp_gt_i32 s10, 6
	s_cbranch_scc0 .LBB7_403
; %bb.402:
	s_mov_b64 s[8:9], 0
	global_store_dwordx2 v[4:5], v[0:1], off
.LBB7_403:
	s_andn2_b64 vcc, exec, s[8:9]
	s_cbranch_vccnz .LBB7_405
; %bb.404:
	v_cvt_f32_f64_e32 v2, v[0:1]
	global_store_dword v[4:5], v2, off
.LBB7_405:
	s_mov_b64 s[8:9], 0
.LBB7_406:
	s_andn2_b64 vcc, exec, s[8:9]
	s_cbranch_vccnz .LBB7_408
; %bb.407:
	s_movk_i32 s8, 0x1ff
	v_and_or_b32 v2, v1, s8, v0
	v_cmp_ne_u32_e32 vcc, 0, v2
	v_cndmask_b32_e64 v2, 0, 1, vcc
	v_lshrrev_b32_e32 v3, 8, v1
	s_movk_i32 s8, 0xffe
	v_bfe_u32 v6, v1, 20, 11
	v_and_or_b32 v2, v3, s8, v2
	v_sub_u32_e32 v7, 0x3f1, v6
	v_or_b32_e32 v3, 0x1000, v2
	v_med3_i32 v7, v7, 0, 13
	v_lshrrev_b32_e32 v8, v7, v3
	v_lshlrev_b32_e32 v7, v7, v8
	v_cmp_ne_u32_e32 vcc, v7, v3
	v_cndmask_b32_e64 v3, 0, 1, vcc
	v_add_u32_e32 v6, 0xfffffc10, v6
	v_or_b32_e32 v3, v8, v3
	v_lshl_or_b32 v7, v6, 12, v2
	v_cmp_gt_i32_e32 vcc, 1, v6
	v_cndmask_b32_e32 v3, v7, v3, vcc
	v_and_b32_e32 v7, 7, v3
	v_cmp_lt_i32_e32 vcc, 5, v7
	v_cndmask_b32_e64 v8, 0, 1, vcc
	v_cmp_eq_u32_e32 vcc, 3, v7
	v_cndmask_b32_e64 v7, 0, 1, vcc
	v_or_b32_e32 v7, v7, v8
	v_lshrrev_b32_e32 v3, 2, v3
	v_add_u32_e32 v3, v3, v7
	v_mov_b32_e32 v7, 0x7c00
	v_cmp_gt_i32_e32 vcc, 31, v6
	v_cndmask_b32_e32 v3, v7, v3, vcc
	v_mov_b32_e32 v8, 0x7e00
	v_cmp_ne_u32_e32 vcc, 0, v2
	s_movk_i32 s8, 0x40f
	v_cndmask_b32_e32 v2, v7, v8, vcc
	v_cmp_eq_u32_e32 vcc, s8, v6
	v_cndmask_b32_e32 v2, v3, v2, vcc
	v_lshrrev_b32_e32 v3, 16, v1
	s_mov_b32 s8, 0x8000
	v_and_or_b32 v2, v3, s8, v2
	global_store_short v[4:5], v2, off
.LBB7_408:
	s_mov_b64 s[8:9], 0
.LBB7_409:
	s_andn2_b64 vcc, exec, s[8:9]
	s_cbranch_vccnz .LBB7_425
; %bb.410:
	s_cmp_lt_i32 s10, 2
	s_mov_b64 s[8:9], -1
	s_cbranch_scc1 .LBB7_420
; %bb.411:
	s_cmp_lt_i32 s10, 3
	s_cbranch_scc1 .LBB7_417
; %bb.412:
	s_cmp_gt_i32 s10, 3
	s_cbranch_scc0 .LBB7_414
; %bb.413:
	v_trunc_f64_e32 v[2:3], v[0:1]
	s_movk_i32 s8, 0xffe0
	v_ldexp_f64 v[6:7], v[2:3], s8
	s_mov_b32 s8, 0
	s_mov_b32 s9, 0xc1f00000
	v_floor_f64_e32 v[6:7], v[6:7]
	v_fma_f64 v[2:3], v[6:7], s[8:9], v[2:3]
	v_cvt_i32_f64_e32 v7, v[6:7]
	s_mov_b64 s[8:9], 0
	v_cvt_u32_f64_e32 v6, v[2:3]
	global_store_dwordx2 v[4:5], v[6:7], off
.LBB7_414:
	s_andn2_b64 vcc, exec, s[8:9]
	s_cbranch_vccnz .LBB7_416
; %bb.415:
	v_cvt_i32_f64_e32 v2, v[0:1]
	global_store_dword v[4:5], v2, off
.LBB7_416:
	s_mov_b64 s[8:9], 0
.LBB7_417:
	s_andn2_b64 vcc, exec, s[8:9]
	s_cbranch_vccnz .LBB7_419
; %bb.418:
	v_cvt_i32_f64_e32 v2, v[0:1]
	global_store_short v[4:5], v2, off
.LBB7_419:
	s_mov_b64 s[8:9], 0
.LBB7_420:
	s_andn2_b64 vcc, exec, s[8:9]
	s_cbranch_vccnz .LBB7_425
; %bb.421:
	s_cmp_gt_i32 s10, 0
	s_mov_b64 s[8:9], -1
	s_cbranch_scc0 .LBB7_423
; %bb.422:
	v_cvt_i32_f64_e32 v2, v[0:1]
	s_mov_b64 s[8:9], 0
	global_store_byte v[4:5], v2, off
.LBB7_423:
	s_andn2_b64 vcc, exec, s[8:9]
	s_cbranch_vccnz .LBB7_425
; %bb.424:
	v_trunc_f64_e32 v[0:1], v[0:1]
	s_movk_i32 s8, 0xffe0
	v_ldexp_f64 v[2:3], v[0:1], s8
	s_mov_b32 s8, 0
	s_mov_b32 s9, 0xc1f00000
	v_floor_f64_e32 v[2:3], v[2:3]
	v_fma_f64 v[0:1], v[2:3], s[8:9], v[0:1]
	v_cvt_u32_f64_e32 v0, v[0:1]
	global_store_byte v[4:5], v0, off
.LBB7_425:
	s_mov_b64 s[8:9], -1
.LBB7_426:
	s_andn2_b64 vcc, exec, s[8:9]
	s_cbranch_vccnz .LBB7_428
; %bb.427:
	v_add_u32_e32 v10, 0x80, v10
	s_mov_b64 s[8:9], -1
	s_branch .LBB7_541
.LBB7_428:
	s_mov_b64 s[8:9], 0
	s_branch .LBB7_540
.LBB7_429:
	s_mov_b64 s[2:3], -1
                                        ; implicit-def: $vgpr3_vgpr4
.LBB7_430:
	s_mov_b64 s[8:9], 0
.LBB7_431:
	s_and_b64 vcc, exec, s[8:9]
	s_cbranch_vccz .LBB7_435
; %bb.432:
	s_cmp_eq_u32 s12, 29
	s_cbranch_scc0 .LBB7_434
; %bb.433:
	global_load_dwordx2 v[3:4], v[0:1], off
	s_mov_b64 s[0:1], -1
	s_mov_b64 s[2:3], 0
	s_mov_b64 s[8:9], 0
	s_waitcnt vmcnt(0)
	v_cvt_f64_u32_e32 v[4:5], v4
	v_cvt_f64_u32_e32 v[6:7], v3
	v_ldexp_f64 v[4:5], v[4:5], 32
	v_add_f64 v[3:4], v[4:5], v[6:7]
	s_branch .LBB7_436
.LBB7_434:
	s_mov_b64 s[2:3], -1
                                        ; implicit-def: $vgpr3_vgpr4
.LBB7_435:
	s_mov_b64 s[8:9], 0
.LBB7_436:
	s_and_b64 vcc, exec, s[8:9]
	s_cbranch_vccz .LBB7_456
; %bb.437:
	s_cmp_lt_i32 s12, 27
	s_cbranch_scc1 .LBB7_440
; %bb.438:
	s_cmp_gt_i32 s12, 27
	s_cbranch_scc0 .LBB7_441
; %bb.439:
	global_load_dword v3, v[0:1], off
	s_mov_b64 s[0:1], 0
	s_waitcnt vmcnt(0)
	v_cvt_f64_u32_e32 v[3:4], v3
	s_branch .LBB7_442
.LBB7_440:
	s_mov_b64 s[0:1], -1
                                        ; implicit-def: $vgpr3_vgpr4
	s_branch .LBB7_445
.LBB7_441:
	s_mov_b64 s[0:1], -1
                                        ; implicit-def: $vgpr3_vgpr4
.LBB7_442:
	s_andn2_b64 vcc, exec, s[0:1]
	s_cbranch_vccnz .LBB7_444
; %bb.443:
	global_load_ushort v3, v[0:1], off
	s_waitcnt vmcnt(0)
	v_cvt_f64_u32_e32 v[3:4], v3
.LBB7_444:
	s_mov_b64 s[0:1], 0
.LBB7_445:
	s_andn2_b64 vcc, exec, s[0:1]
	s_cbranch_vccnz .LBB7_455
; %bb.446:
	global_load_ubyte v5, v[0:1], off
	s_movk_i32 s0, 0x7f
	s_waitcnt vmcnt(0)
	v_cmp_lt_i16_e32 vcc, s0, v5
	s_mov_b64 s[0:1], 0
	s_and_saveexec_b64 s[8:9], vcc
	s_xor_b64 s[8:9], exec, s[8:9]
	s_cbranch_execz .LBB7_450
; %bb.447:
	s_movk_i32 s0, 0x80
	v_cmp_eq_u16_e32 vcc, s0, v5
	s_mov_b64 s[0:1], -1
	s_and_saveexec_b64 s[10:11], vcc
; %bb.448:
	s_xor_b64 s[0:1], exec, -1
; %bb.449:
	s_or_b64 exec, exec, s[10:11]
	s_and_b64 s[0:1], s[0:1], exec
.LBB7_450:
	s_or_saveexec_b64 s[8:9], s[8:9]
	v_bfrev_b32_e32 v3, 4
	v_mov_b32_e32 v4, 0x7ff80000
	s_xor_b64 exec, exec, s[8:9]
; %bb.451:
	v_cmp_ne_u16_e32 vcc, 0, v5
	v_mov_b32_e32 v3, 0
	s_andn2_b64 s[0:1], s[0:1], exec
	s_and_b64 s[10:11], vcc, exec
	v_mov_b32_e32 v4, 0
	s_or_b64 s[0:1], s[0:1], s[10:11]
; %bb.452:
	s_or_b64 exec, exec, s[8:9]
	s_and_saveexec_b64 s[8:9], s[0:1]
	s_cbranch_execz .LBB7_454
; %bb.453:
	v_and_b32_e32 v4, 0xffff, v5
	v_lshlrev_b32_e32 v3, 24, v5
	v_and_b32_e32 v5, 7, v4
	v_ffbh_u32_e32 v7, v5
	v_min_u32_e32 v7, 32, v7
	v_subrev_u32_e32 v8, 28, v7
	v_bfe_u32 v6, v4, 3, 4
	v_lshlrev_b32_e32 v4, v8, v4
	v_sub_u32_e32 v7, 29, v7
	v_and_b32_e32 v4, 7, v4
	v_cmp_eq_u32_e32 vcc, 0, v6
	v_cndmask_b32_e32 v6, v6, v7, vcc
	v_cndmask_b32_e32 v4, v5, v4, vcc
	v_mov_b32_e32 v5, 0x3b800000
	v_lshlrev_b32_e32 v4, 20, v4
	v_and_b32_e32 v3, 0x80000000, v3
	v_lshl_add_u32 v5, v6, 23, v5
	v_or3_b32 v3, v3, v5, v4
	v_cvt_f64_f32_e32 v[3:4], v3
.LBB7_454:
	s_or_b64 exec, exec, s[8:9]
.LBB7_455:
	s_mov_b64 s[0:1], -1
.LBB7_456:
	s_mov_b64 s[8:9], 0
.LBB7_457:
	s_and_b64 vcc, exec, s[8:9]
	s_cbranch_vccz .LBB7_490
; %bb.458:
	s_cmp_gt_i32 s12, 22
	s_cbranch_scc0 .LBB7_470
; %bb.459:
	s_cmp_lt_i32 s12, 24
	s_cbranch_scc1 .LBB7_471
; %bb.460:
	s_cmp_gt_i32 s12, 24
	s_cbranch_scc0 .LBB7_472
; %bb.461:
	global_load_ubyte v5, v[0:1], off
	s_movk_i32 s0, 0x7f
	s_waitcnt vmcnt(0)
	v_cmp_lt_i16_e32 vcc, s0, v5
	s_mov_b64 s[0:1], 0
	s_and_saveexec_b64 s[8:9], vcc
	s_xor_b64 s[8:9], exec, s[8:9]
	s_cbranch_execz .LBB7_465
; %bb.462:
	s_movk_i32 s0, 0x80
	v_cmp_eq_u16_e32 vcc, s0, v5
	s_mov_b64 s[0:1], -1
	s_and_saveexec_b64 s[10:11], vcc
; %bb.463:
	s_xor_b64 s[0:1], exec, -1
; %bb.464:
	s_or_b64 exec, exec, s[10:11]
	s_and_b64 s[0:1], s[0:1], exec
.LBB7_465:
	s_or_saveexec_b64 s[8:9], s[8:9]
	v_bfrev_b32_e32 v3, 4
	v_mov_b32_e32 v4, 0x7ff80000
	s_xor_b64 exec, exec, s[8:9]
; %bb.466:
	v_cmp_ne_u16_e32 vcc, 0, v5
	v_mov_b32_e32 v3, 0
	s_andn2_b64 s[0:1], s[0:1], exec
	s_and_b64 s[10:11], vcc, exec
	v_mov_b32_e32 v4, 0
	s_or_b64 s[0:1], s[0:1], s[10:11]
; %bb.467:
	s_or_b64 exec, exec, s[8:9]
	s_and_saveexec_b64 s[8:9], s[0:1]
	s_cbranch_execz .LBB7_469
; %bb.468:
	v_and_b32_e32 v4, 0xffff, v5
	v_lshlrev_b32_e32 v3, 24, v5
	v_and_b32_e32 v5, 3, v4
	v_ffbh_u32_e32 v7, v5
	v_min_u32_e32 v7, 32, v7
	v_subrev_u32_e32 v8, 29, v7
	v_bfe_u32 v6, v4, 2, 5
	v_lshlrev_b32_e32 v4, v8, v4
	v_sub_u32_e32 v7, 30, v7
	v_and_b32_e32 v4, 3, v4
	v_cmp_eq_u32_e32 vcc, 0, v6
	v_cndmask_b32_e32 v6, v6, v7, vcc
	v_cndmask_b32_e32 v4, v5, v4, vcc
	v_mov_b32_e32 v5, 0x37800000
	v_lshlrev_b32_e32 v4, 21, v4
	v_and_b32_e32 v3, 0x80000000, v3
	v_lshl_add_u32 v5, v6, 23, v5
	v_or3_b32 v3, v3, v5, v4
	v_cvt_f64_f32_e32 v[3:4], v3
.LBB7_469:
	s_or_b64 exec, exec, s[8:9]
	s_mov_b64 s[0:1], 0
	s_branch .LBB7_473
.LBB7_470:
	s_mov_b64 s[8:9], -1
                                        ; implicit-def: $vgpr3_vgpr4
	s_branch .LBB7_479
.LBB7_471:
	s_mov_b64 s[0:1], -1
                                        ; implicit-def: $vgpr3_vgpr4
	s_branch .LBB7_476
.LBB7_472:
	s_mov_b64 s[0:1], -1
                                        ; implicit-def: $vgpr3_vgpr4
.LBB7_473:
	s_and_b64 vcc, exec, s[0:1]
	s_cbranch_vccz .LBB7_475
; %bb.474:
	global_load_ubyte v3, v[0:1], off
	s_mov_b32 s0, 0x7f800000
	s_waitcnt vmcnt(0)
	v_lshlrev_b32_e32 v3, 24, v3
	v_and_b32_e32 v4, 0x7f000000, v3
	v_ffbh_u32_e32 v5, v4
	v_min_u32_e32 v5, 32, v5
	v_sub_u32_e64 v5, v5, 4 clamp
	v_lshlrev_b32_e32 v7, v5, v4
	v_lshlrev_b32_e32 v5, 23, v5
	v_lshrrev_b32_e32 v7, 4, v7
	v_add_u32_e32 v6, 0x1000000, v4
	v_sub_u32_e32 v5, v7, v5
	v_ashrrev_i32_e32 v6, 8, v6
	v_add_u32_e32 v5, 0x3c000000, v5
	v_and_or_b32 v5, v6, s0, v5
	v_cmp_ne_u32_e32 vcc, 0, v4
	v_cndmask_b32_e32 v4, 0, v5, vcc
	s_brev_b32 s0, 1
	v_and_or_b32 v3, v3, s0, v4
	v_cvt_f64_f32_e32 v[3:4], v3
.LBB7_475:
	s_mov_b64 s[0:1], 0
.LBB7_476:
	s_andn2_b64 vcc, exec, s[0:1]
	s_cbranch_vccnz .LBB7_478
; %bb.477:
	global_load_ubyte v3, v[0:1], off
	s_movk_i32 s0, 0x7f00
	s_brev_b32 s1, 16
	s_waitcnt vmcnt(0)
	v_lshlrev_b16_e32 v4, 8, v3
	v_lshlrev_b32_e32 v3, 25, v3
	v_lshrrev_b32_e32 v5, 4, v3
	v_and_or_b32 v6, v4, s0, 0.5
	v_or_b32_e32 v5, 0x70000000, v5
	v_add_f32_e32 v6, -0.5, v6
	v_mul_f32_e32 v5, 0x7800000, v5
	v_cmp_gt_u32_e32 vcc, s1, v3
	v_bfe_i32 v4, v4, 0, 16
	v_cndmask_b32_e32 v3, v5, v6, vcc
	s_brev_b32 s0, 1
	v_and_or_b32 v3, v4, s0, v3
	v_cvt_f64_f32_e32 v[3:4], v3
.LBB7_478:
	s_mov_b64 s[8:9], 0
	s_mov_b64 s[0:1], -1
.LBB7_479:
	s_andn2_b64 vcc, exec, s[8:9]
	s_cbranch_vccnz .LBB7_490
; %bb.480:
	s_cmp_gt_i32 s12, 14
	s_cbranch_scc0 .LBB7_483
; %bb.481:
	s_cmp_eq_u32 s12, 15
	s_cbranch_scc0 .LBB7_484
; %bb.482:
	global_load_ushort v3, v[0:1], off
	s_mov_b64 s[0:1], -1
	s_mov_b64 s[2:3], 0
	s_waitcnt vmcnt(0)
	v_lshlrev_b32_e32 v3, 16, v3
	v_cvt_f64_f32_e32 v[3:4], v3
	s_branch .LBB7_485
.LBB7_483:
	s_mov_b64 s[8:9], -1
                                        ; implicit-def: $vgpr3_vgpr4
	s_branch .LBB7_486
.LBB7_484:
	s_mov_b64 s[2:3], -1
                                        ; implicit-def: $vgpr3_vgpr4
.LBB7_485:
	s_mov_b64 s[8:9], 0
.LBB7_486:
	s_and_b64 vcc, exec, s[8:9]
	s_cbranch_vccz .LBB7_490
; %bb.487:
	s_cmp_eq_u32 s12, 11
	s_cbranch_scc0 .LBB7_489
; %bb.488:
	global_load_ubyte v4, v[0:1], off
	v_mov_b32_e32 v5, 0x3ff00000
	s_waitcnt vmcnt(1)
	v_mov_b32_e32 v3, 0
	s_mov_b64 s[0:1], -1
	s_mov_b64 s[2:3], 0
	s_waitcnt vmcnt(0)
	v_cmp_ne_u16_e32 vcc, 0, v4
	v_cndmask_b32_e32 v4, 0, v5, vcc
	s_branch .LBB7_490
.LBB7_489:
	s_mov_b64 s[2:3], -1
                                        ; implicit-def: $vgpr3_vgpr4
.LBB7_490:
	s_branch .LBB7_293
.LBB7_491:
	s_cmp_lt_i32 s12, 5
	s_cbranch_scc1 .LBB7_496
; %bb.492:
	s_cmp_lt_i32 s12, 8
	s_cbranch_scc1 .LBB7_497
; %bb.493:
	;; [unrolled: 3-line block ×3, first 2 shown]
	s_cmp_gt_i32 s12, 9
	s_cbranch_scc0 .LBB7_499
; %bb.495:
	global_load_dwordx2 v[3:4], v[0:1], off
	s_mov_b64 s[0:1], 0
	s_branch .LBB7_500
.LBB7_496:
	s_mov_b64 s[0:1], -1
                                        ; implicit-def: $vgpr3_vgpr4
	s_branch .LBB7_518
.LBB7_497:
	s_mov_b64 s[0:1], -1
                                        ; implicit-def: $vgpr3_vgpr4
	s_branch .LBB7_506
.LBB7_498:
	s_mov_b64 s[0:1], -1
                                        ; implicit-def: $vgpr3_vgpr4
	s_branch .LBB7_503
.LBB7_499:
	s_mov_b64 s[0:1], -1
                                        ; implicit-def: $vgpr3_vgpr4
.LBB7_500:
	s_andn2_b64 vcc, exec, s[0:1]
	s_cbranch_vccnz .LBB7_502
; %bb.501:
	global_load_dword v3, v[0:1], off
	s_waitcnt vmcnt(0)
	v_cvt_f64_f32_e32 v[3:4], v3
.LBB7_502:
	s_mov_b64 s[0:1], 0
.LBB7_503:
	s_andn2_b64 vcc, exec, s[0:1]
	s_cbranch_vccnz .LBB7_505
; %bb.504:
	global_load_dword v3, v[0:1], off
	s_waitcnt vmcnt(0)
	v_cvt_f32_f16_e32 v3, v3
	v_cvt_f64_f32_e32 v[3:4], v3
.LBB7_505:
	s_mov_b64 s[0:1], 0
.LBB7_506:
	s_andn2_b64 vcc, exec, s[0:1]
	s_cbranch_vccnz .LBB7_517
; %bb.507:
	s_cmp_lt_i32 s12, 6
	s_cbranch_scc1 .LBB7_510
; %bb.508:
	s_cmp_gt_i32 s12, 6
	s_cbranch_scc0 .LBB7_511
; %bb.509:
	global_load_dwordx2 v[3:4], v[0:1], off
	s_mov_b64 s[0:1], 0
	s_branch .LBB7_512
.LBB7_510:
	s_mov_b64 s[0:1], -1
                                        ; implicit-def: $vgpr3_vgpr4
	s_branch .LBB7_515
.LBB7_511:
	s_mov_b64 s[0:1], -1
                                        ; implicit-def: $vgpr3_vgpr4
.LBB7_512:
	s_andn2_b64 vcc, exec, s[0:1]
	s_cbranch_vccnz .LBB7_514
; %bb.513:
	global_load_dword v3, v[0:1], off
	s_waitcnt vmcnt(0)
	v_cvt_f64_f32_e32 v[3:4], v3
.LBB7_514:
	s_mov_b64 s[0:1], 0
.LBB7_515:
	s_andn2_b64 vcc, exec, s[0:1]
	s_cbranch_vccnz .LBB7_517
; %bb.516:
	global_load_ushort v3, v[0:1], off
	s_waitcnt vmcnt(0)
	v_cvt_f32_f16_e32 v3, v3
	v_cvt_f64_f32_e32 v[3:4], v3
.LBB7_517:
	s_mov_b64 s[0:1], 0
.LBB7_518:
	s_andn2_b64 vcc, exec, s[0:1]
	s_cbranch_vccnz .LBB7_538
; %bb.519:
	s_cmp_lt_i32 s12, 2
	s_cbranch_scc1 .LBB7_523
; %bb.520:
	s_cmp_lt_i32 s12, 3
	s_cbranch_scc1 .LBB7_524
; %bb.521:
	s_cmp_gt_i32 s12, 3
	s_cbranch_scc0 .LBB7_525
; %bb.522:
	global_load_dwordx2 v[3:4], v[0:1], off
	s_mov_b64 s[0:1], 0
	s_waitcnt vmcnt(0)
	v_cvt_f64_i32_e32 v[4:5], v4
	v_cvt_f64_u32_e32 v[6:7], v3
	v_ldexp_f64 v[4:5], v[4:5], 32
	v_add_f64 v[3:4], v[4:5], v[6:7]
	s_branch .LBB7_526
.LBB7_523:
	s_mov_b64 s[0:1], -1
                                        ; implicit-def: $vgpr3_vgpr4
	s_branch .LBB7_532
.LBB7_524:
	s_mov_b64 s[0:1], -1
                                        ; implicit-def: $vgpr3_vgpr4
	s_branch .LBB7_529
.LBB7_525:
	s_mov_b64 s[0:1], -1
                                        ; implicit-def: $vgpr3_vgpr4
.LBB7_526:
	s_andn2_b64 vcc, exec, s[0:1]
	s_cbranch_vccnz .LBB7_528
; %bb.527:
	global_load_dword v3, v[0:1], off
	s_waitcnt vmcnt(0)
	v_cvt_f64_i32_e32 v[3:4], v3
.LBB7_528:
	s_mov_b64 s[0:1], 0
.LBB7_529:
	s_andn2_b64 vcc, exec, s[0:1]
	s_cbranch_vccnz .LBB7_531
; %bb.530:
	global_load_sshort v3, v[0:1], off
	s_waitcnt vmcnt(0)
	v_cvt_f64_i32_e32 v[3:4], v3
.LBB7_531:
	s_mov_b64 s[0:1], 0
.LBB7_532:
	s_andn2_b64 vcc, exec, s[0:1]
	s_cbranch_vccnz .LBB7_538
; %bb.533:
	s_cmp_gt_i32 s12, 0
	s_cbranch_scc0 .LBB7_535
; %bb.534:
	global_load_sbyte v3, v[0:1], off
	s_mov_b64 s[0:1], 0
	s_waitcnt vmcnt(0)
	v_cvt_f64_i32_e32 v[3:4], v3
	s_branch .LBB7_536
.LBB7_535:
	s_mov_b64 s[0:1], -1
                                        ; implicit-def: $vgpr3_vgpr4
.LBB7_536:
	s_andn2_b64 vcc, exec, s[0:1]
	s_cbranch_vccnz .LBB7_538
; %bb.537:
	global_load_ubyte v0, v[0:1], off
	s_waitcnt vmcnt(0)
	v_cvt_f64_u32_e32 v[3:4], v0
.LBB7_538:
	s_branch .LBB7_294
.LBB7_539:
	s_mov_b64 s[8:9], 0
	s_mov_b64 s[0:1], s[54:55]
.LBB7_540:
                                        ; implicit-def: $vgpr10
.LBB7_541:
	s_andn2_b64 s[10:11], s[54:55], exec
	s_and_b64 s[0:1], s[0:1], exec
	s_or_b64 s[62:63], s[10:11], s[0:1]
	s_andn2_b64 s[0:1], s[56:57], exec
	s_and_b64 s[2:3], s[2:3], exec
	s_or_b64 s[60:61], s[0:1], s[2:3]
	s_orn2_b64 s[0:1], s[8:9], exec
.LBB7_542:
	s_or_b64 exec, exec, s[64:65]
	s_mov_b64 s[2:3], 0
	s_mov_b64 s[8:9], 0
	;; [unrolled: 1-line block ×3, first 2 shown]
                                        ; implicit-def: $vgpr0_vgpr1
                                        ; implicit-def: $vgpr2
                                        ; implicit-def: $vgpr6_vgpr7
	s_and_saveexec_b64 s[64:65], s[0:1]
	s_cbranch_execz .LBB7_917
; %bb.543:
	v_cmp_gt_i32_e32 vcc, s72, v10
	s_mov_b64 s[2:3], -1
	s_mov_b64 s[68:69], s[60:61]
	s_mov_b64 s[70:71], s[62:63]
	s_and_saveexec_b64 s[66:67], vcc
	s_cbranch_execz .LBB7_817
; %bb.544:
	s_andn2_b64 vcc, exec, s[40:41]
	s_cbranch_vccnz .LBB7_549
; %bb.545:
	s_andn2_b64 vcc, exec, s[52:53]
	s_cbranch_vccnz .LBB7_550
; %bb.546:
	s_add_i32 s78, s77, 1
	s_cmp_eq_u32 s74, 2
	s_cbranch_scc1 .LBB7_551
; %bb.547:
	s_and_b32 s73, s78, 28
	v_mov_b32_e32 v0, 0
	s_mov_b32 s79, 0
	s_mov_b64 s[68:69], s[34:35]
	s_mov_b64 s[70:71], s[50:51]
	v_mov_b32_e32 v2, 0
	v_mov_b32_e32 v1, v10
.LBB7_548:                              ; =>This Inner Loop Header: Depth=1
	s_load_dwordx8 s[16:23], s[68:69], 0x4
	s_load_dwordx4 s[0:3], s[68:69], 0x24
	s_load_dwordx8 s[8:15], s[70:71], 0x0
	s_add_u32 s68, s68, 48
	s_addc_u32 s69, s69, 0
	s_waitcnt vmcnt(0) lgkmcnt(0)
	v_mul_hi_u32 v3, s17, v1
	s_add_i32 s79, s79, 4
	s_add_u32 s70, s70, 32
	s_addc_u32 s71, s71, 0
	v_add_u32_e32 v3, v1, v3
	v_lshrrev_b32_e32 v3, s18, v3
	v_mul_lo_u32 v4, v3, s16
	v_mul_hi_u32 v5, s20, v3
	s_cmp_eq_u32 s73, s79
	v_sub_u32_e32 v1, v1, v4
	v_add_u32_e32 v4, v3, v5
	v_mul_lo_u32 v5, v1, s8
	v_mul_lo_u32 v6, v1, s9
	v_lshrrev_b32_e32 v1, s21, v4
	v_mul_lo_u32 v4, v1, s19
	v_mul_hi_u32 v7, s23, v1
	v_sub_u32_e32 v3, v3, v4
	v_add_u32_e32 v4, v1, v7
	v_lshrrev_b32_e32 v4, s0, v4
	v_mul_hi_u32 v8, s2, v4
	v_mul_lo_u32 v9, v4, s22
	v_mul_lo_u32 v7, v3, s10
	;; [unrolled: 1-line block ×3, first 2 shown]
	v_sub_u32_e32 v9, v1, v9
	v_add_u32_e32 v1, v4, v8
	v_lshrrev_b32_e32 v1, s3, v1
	v_mul_lo_u32 v8, v1, s1
	v_mul_lo_u32 v11, v9, s12
	;; [unrolled: 1-line block ×3, first 2 shown]
	v_add3_u32 v2, v5, v2, v7
	v_sub_u32_e32 v4, v4, v8
	v_mul_lo_u32 v8, v4, s14
	v_mul_lo_u32 v4, v4, s15
	v_add3_u32 v0, v6, v0, v3
	v_add3_u32 v2, v11, v2, v8
	v_add3_u32 v0, v9, v0, v4
	s_cbranch_scc0 .LBB7_548
	s_branch .LBB7_552
.LBB7_549:
	s_mov_b64 s[0:1], -1
                                        ; implicit-def: $vgpr2
                                        ; implicit-def: $vgpr0
	s_branch .LBB7_556
.LBB7_550:
	v_mov_b32_e32 v2, 0
	v_mov_b32_e32 v0, 0
	s_branch .LBB7_555
.LBB7_551:
	s_mov_b32 s73, 0
	v_mov_b32_e32 v2, 0
	v_mov_b32_e32 v0, 0
	;; [unrolled: 1-line block ×3, first 2 shown]
.LBB7_552:
	s_and_b32 s8, s78, 3
	s_cmp_eq_u32 s8, 0
	s_cbranch_scc1 .LBB7_555
; %bb.553:
	s_lshl_b32 s0, s73, 3
	s_add_u32 s0, s34, s0
	s_addc_u32 s1, s35, 0
	s_add_u32 s0, s0, 0xc4
	s_addc_u32 s1, s1, 0
	s_mul_i32 s2, s73, 12
	s_add_u32 s2, s34, s2
	s_addc_u32 s3, s35, 0
.LBB7_554:                              ; =>This Inner Loop Header: Depth=1
	s_load_dwordx2 s[10:11], s[2:3], 0x4
	s_load_dword s9, s[2:3], 0xc
	s_load_dwordx2 s[12:13], s[0:1], 0x0
	s_add_u32 s2, s2, 12
	s_addc_u32 s3, s3, 0
	s_waitcnt vmcnt(0) lgkmcnt(0)
	v_mul_hi_u32 v3, s11, v1
	s_add_u32 s0, s0, 8
	s_addc_u32 s1, s1, 0
	s_add_i32 s8, s8, -1
	v_add_u32_e32 v3, v1, v3
	v_lshrrev_b32_e32 v4, s9, v3
	v_mul_lo_u32 v3, v4, s10
	s_cmp_lg_u32 s8, 0
	v_sub_u32_e32 v1, v1, v3
	v_mad_u64_u32 v[2:3], s[10:11], v1, s12, v[2:3]
	v_mad_u64_u32 v[0:1], s[10:11], v1, s13, v[0:1]
	v_mov_b32_e32 v1, v4
	s_cbranch_scc1 .LBB7_554
.LBB7_555:
	s_mov_b64 s[0:1], 0
.LBB7_556:
	s_andn2_b64 vcc, exec, s[0:1]
	s_cbranch_vccnz .LBB7_559
; %bb.557:
	v_mul_hi_u32 v0, s29, v10
	s_andn2_b64 vcc, exec, s[48:49]
	v_add_u32_e32 v0, v10, v0
	v_lshrrev_b32_e32 v1, s30, v0
	v_mul_lo_u32 v0, v1, s28
	v_sub_u32_e32 v0, v10, v0
	v_mul_lo_u32 v2, v0, s36
	v_mul_lo_u32 v0, v0, s37
	s_cbranch_vccnz .LBB7_559
; %bb.558:
	s_waitcnt vmcnt(0)
	v_mul_hi_u32 v3, s46, v1
	v_add_u32_e32 v3, v1, v3
	v_lshrrev_b32_e32 v3, s47, v3
	v_mul_lo_u32 v3, v3, s31
	v_sub_u32_e32 v1, v1, v3
	v_mad_u64_u32 v[2:3], s[0:1], v1, s38, v[2:3]
	v_mad_u64_u32 v[0:1], s[0:1], v1, s39, v[0:1]
.LBB7_559:
	v_mov_b32_e32 v1, s27
	s_and_b32 s12, 0xffff, s76
	v_add_co_u32_e32 v0, vcc, s26, v0
	s_cmp_lt_i32 s12, 11
	v_addc_co_u32_e32 v1, vcc, 0, v1, vcc
	s_cbranch_scc1 .LBB7_566
; %bb.560:
	s_cmp_gt_i32 s12, 25
	s_cbranch_scc0 .LBB7_567
; %bb.561:
	s_cmp_gt_i32 s12, 28
	s_cbranch_scc0 .LBB7_568
	;; [unrolled: 3-line block ×4, first 2 shown]
; %bb.564:
	s_cmp_eq_u32 s12, 46
	s_mov_b64 s[8:9], 0
	s_cbranch_scc0 .LBB7_575
; %bb.565:
	global_load_dword v3, v[0:1], off
	s_mov_b64 s[0:1], -1
	s_mov_b64 s[2:3], 0
	s_waitcnt vmcnt(0)
	v_lshlrev_b32_e32 v3, 16, v3
	v_cvt_f64_f32_e32 v[3:4], v3
	s_branch .LBB7_576
.LBB7_566:
	s_mov_b64 s[8:9], -1
	s_mov_b64 s[0:1], 0
                                        ; implicit-def: $vgpr3_vgpr4
	s_mov_b64 s[2:3], s[60:61]
	s_branch .LBB7_641
.LBB7_567:
	s_mov_b64 s[8:9], -1
	s_mov_b64 s[0:1], 0
	s_mov_b64 s[2:3], s[60:61]
                                        ; implicit-def: $vgpr3_vgpr4
	s_branch .LBB7_607
.LBB7_568:
	s_mov_b64 s[8:9], -1
	s_mov_b64 s[0:1], 0
	s_mov_b64 s[2:3], s[60:61]
                                        ; implicit-def: $vgpr3_vgpr4
	s_branch .LBB7_586
.LBB7_569:
	s_mov_b64 s[8:9], -1
	s_mov_b64 s[0:1], 0
	s_mov_b64 s[2:3], s[60:61]
                                        ; implicit-def: $vgpr3_vgpr4
	s_branch .LBB7_581
.LBB7_570:
	s_andn2_saveexec_b64 s[12:13], s[12:13]
	s_cbranch_execz .LBB7_339
.LBB7_571:
	s_mov_b32 s16, 0x46000000
	v_add_f32_e64 v3, |v2|, s16
	v_and_b32_e32 v3, 0xff, v3
	v_cmp_ne_u32_e32 vcc, 0, v3
	s_andn2_b64 s[10:11], s[10:11], exec
	s_and_b64 s[16:17], vcc, exec
	s_or_b64 s[10:11], s[10:11], s[16:17]
	s_or_b64 exec, exec, s[12:13]
	v_mov_b32_e32 v6, 0
	s_and_saveexec_b64 s[12:13], s[10:11]
	s_cbranch_execnz .LBB7_340
	s_branch .LBB7_341
.LBB7_572:
	s_mov_b64 s[8:9], -1
	s_mov_b64 s[0:1], 0
	s_mov_b64 s[2:3], s[60:61]
                                        ; implicit-def: $vgpr3_vgpr4
	s_branch .LBB7_576
.LBB7_573:
	s_andn2_saveexec_b64 s[12:13], s[12:13]
	s_cbranch_execz .LBB7_352
.LBB7_574:
	s_mov_b32 s16, 0x42800000
	v_add_f32_e64 v3, |v2|, s16
	v_and_b32_e32 v3, 0xff, v3
	v_cmp_ne_u32_e32 vcc, 0, v3
	s_andn2_b64 s[10:11], s[10:11], exec
	s_and_b64 s[16:17], vcc, exec
	s_or_b64 s[10:11], s[10:11], s[16:17]
	s_or_b64 exec, exec, s[12:13]
	v_mov_b32_e32 v6, 0
	s_and_saveexec_b64 s[12:13], s[10:11]
	s_cbranch_execnz .LBB7_353
	s_branch .LBB7_354
.LBB7_575:
	s_mov_b64 s[2:3], -1
                                        ; implicit-def: $vgpr3_vgpr4
	s_mov_b64 s[0:1], 0
.LBB7_576:
	s_and_b64 vcc, exec, s[8:9]
	s_cbranch_vccz .LBB7_580
; %bb.577:
	s_cmp_eq_u32 s12, 44
	s_cbranch_scc0 .LBB7_579
; %bb.578:
	global_load_ubyte v5, v[0:1], off
	s_movk_i32 s2, 0xff
	v_bfrev_b32_e32 v6, 4
	v_mov_b32_e32 v7, 0x7ff80000
	v_bfrev_b32_e32 v8, 28
	s_mov_b64 s[0:1], -1
	s_waitcnt vmcnt(0)
	v_lshlrev_b32_e32 v3, 23, v5
	v_cvt_f64_f32_e32 v[3:4], v3
	v_cmp_ne_u32_e32 vcc, s2, v5
	s_mov_b64 s[2:3], 0
	v_cndmask_b32_e32 v3, v6, v3, vcc
	v_cndmask_b32_e32 v4, v7, v4, vcc
	v_cmp_ne_u32_e32 vcc, 0, v5
	v_cndmask_b32_e32 v4, v8, v4, vcc
	v_cndmask_b32_e32 v3, 0, v3, vcc
	s_branch .LBB7_580
.LBB7_579:
	s_mov_b64 s[2:3], -1
                                        ; implicit-def: $vgpr3_vgpr4
.LBB7_580:
	s_mov_b64 s[8:9], 0
.LBB7_581:
	s_and_b64 vcc, exec, s[8:9]
	s_cbranch_vccz .LBB7_585
; %bb.582:
	s_cmp_eq_u32 s12, 29
	s_cbranch_scc0 .LBB7_584
; %bb.583:
	global_load_dwordx2 v[3:4], v[0:1], off
	s_mov_b64 s[0:1], -1
	s_mov_b64 s[2:3], 0
	s_mov_b64 s[8:9], 0
	s_waitcnt vmcnt(0)
	v_cvt_f64_u32_e32 v[4:5], v4
	v_cvt_f64_u32_e32 v[6:7], v3
	v_ldexp_f64 v[4:5], v[4:5], 32
	v_add_f64 v[3:4], v[4:5], v[6:7]
	s_branch .LBB7_586
.LBB7_584:
	s_mov_b64 s[2:3], -1
                                        ; implicit-def: $vgpr3_vgpr4
.LBB7_585:
	s_mov_b64 s[8:9], 0
.LBB7_586:
	s_and_b64 vcc, exec, s[8:9]
	s_cbranch_vccz .LBB7_606
; %bb.587:
	s_cmp_lt_i32 s12, 27
	s_cbranch_scc1 .LBB7_590
; %bb.588:
	s_cmp_gt_i32 s12, 27
	s_cbranch_scc0 .LBB7_591
; %bb.589:
	global_load_dword v3, v[0:1], off
	s_mov_b64 s[0:1], 0
	s_waitcnt vmcnt(0)
	v_cvt_f64_u32_e32 v[3:4], v3
	s_branch .LBB7_592
.LBB7_590:
	s_mov_b64 s[0:1], -1
                                        ; implicit-def: $vgpr3_vgpr4
	s_branch .LBB7_595
.LBB7_591:
	s_mov_b64 s[0:1], -1
                                        ; implicit-def: $vgpr3_vgpr4
.LBB7_592:
	s_andn2_b64 vcc, exec, s[0:1]
	s_cbranch_vccnz .LBB7_594
; %bb.593:
	global_load_ushort v3, v[0:1], off
	s_waitcnt vmcnt(0)
	v_cvt_f64_u32_e32 v[3:4], v3
.LBB7_594:
	s_mov_b64 s[0:1], 0
.LBB7_595:
	s_andn2_b64 vcc, exec, s[0:1]
	s_cbranch_vccnz .LBB7_605
; %bb.596:
	global_load_ubyte v5, v[0:1], off
	s_movk_i32 s0, 0x7f
	s_waitcnt vmcnt(0)
	v_cmp_lt_i16_e32 vcc, s0, v5
	s_mov_b64 s[0:1], 0
	s_and_saveexec_b64 s[8:9], vcc
	s_xor_b64 s[8:9], exec, s[8:9]
	s_cbranch_execz .LBB7_600
; %bb.597:
	s_movk_i32 s0, 0x80
	v_cmp_eq_u16_e32 vcc, s0, v5
	s_mov_b64 s[0:1], -1
	s_and_saveexec_b64 s[10:11], vcc
; %bb.598:
	s_xor_b64 s[0:1], exec, -1
; %bb.599:
	s_or_b64 exec, exec, s[10:11]
	s_and_b64 s[0:1], s[0:1], exec
.LBB7_600:
	s_or_saveexec_b64 s[8:9], s[8:9]
	v_bfrev_b32_e32 v3, 4
	v_mov_b32_e32 v4, 0x7ff80000
	s_xor_b64 exec, exec, s[8:9]
; %bb.601:
	v_cmp_ne_u16_e32 vcc, 0, v5
	v_mov_b32_e32 v3, 0
	s_andn2_b64 s[0:1], s[0:1], exec
	s_and_b64 s[10:11], vcc, exec
	v_mov_b32_e32 v4, 0
	s_or_b64 s[0:1], s[0:1], s[10:11]
; %bb.602:
	s_or_b64 exec, exec, s[8:9]
	s_and_saveexec_b64 s[8:9], s[0:1]
	s_cbranch_execz .LBB7_604
; %bb.603:
	v_and_b32_e32 v4, 0xffff, v5
	v_lshlrev_b32_e32 v3, 24, v5
	v_and_b32_e32 v5, 7, v4
	v_ffbh_u32_e32 v7, v5
	v_min_u32_e32 v7, 32, v7
	v_subrev_u32_e32 v8, 28, v7
	v_bfe_u32 v6, v4, 3, 4
	v_lshlrev_b32_e32 v4, v8, v4
	v_sub_u32_e32 v7, 29, v7
	v_and_b32_e32 v4, 7, v4
	v_cmp_eq_u32_e32 vcc, 0, v6
	v_cndmask_b32_e32 v6, v6, v7, vcc
	v_cndmask_b32_e32 v4, v5, v4, vcc
	v_mov_b32_e32 v5, 0x3b800000
	v_lshlrev_b32_e32 v4, 20, v4
	v_and_b32_e32 v3, 0x80000000, v3
	v_lshl_add_u32 v5, v6, 23, v5
	v_or3_b32 v3, v3, v5, v4
	v_cvt_f64_f32_e32 v[3:4], v3
.LBB7_604:
	s_or_b64 exec, exec, s[8:9]
.LBB7_605:
	s_mov_b64 s[0:1], -1
.LBB7_606:
	s_mov_b64 s[8:9], 0
.LBB7_607:
	s_and_b64 vcc, exec, s[8:9]
	s_cbranch_vccz .LBB7_640
; %bb.608:
	s_cmp_gt_i32 s12, 22
	s_cbranch_scc0 .LBB7_620
; %bb.609:
	s_cmp_lt_i32 s12, 24
	s_cbranch_scc1 .LBB7_621
; %bb.610:
	s_cmp_gt_i32 s12, 24
	s_cbranch_scc0 .LBB7_622
; %bb.611:
	global_load_ubyte v5, v[0:1], off
	s_movk_i32 s0, 0x7f
	s_waitcnt vmcnt(0)
	v_cmp_lt_i16_e32 vcc, s0, v5
	s_mov_b64 s[0:1], 0
	s_and_saveexec_b64 s[8:9], vcc
	s_xor_b64 s[8:9], exec, s[8:9]
	s_cbranch_execz .LBB7_615
; %bb.612:
	s_movk_i32 s0, 0x80
	v_cmp_eq_u16_e32 vcc, s0, v5
	s_mov_b64 s[0:1], -1
	s_and_saveexec_b64 s[10:11], vcc
; %bb.613:
	s_xor_b64 s[0:1], exec, -1
; %bb.614:
	s_or_b64 exec, exec, s[10:11]
	s_and_b64 s[0:1], s[0:1], exec
.LBB7_615:
	s_or_saveexec_b64 s[8:9], s[8:9]
	v_bfrev_b32_e32 v3, 4
	v_mov_b32_e32 v4, 0x7ff80000
	s_xor_b64 exec, exec, s[8:9]
; %bb.616:
	v_cmp_ne_u16_e32 vcc, 0, v5
	v_mov_b32_e32 v3, 0
	s_andn2_b64 s[0:1], s[0:1], exec
	s_and_b64 s[10:11], vcc, exec
	v_mov_b32_e32 v4, 0
	s_or_b64 s[0:1], s[0:1], s[10:11]
; %bb.617:
	s_or_b64 exec, exec, s[8:9]
	s_and_saveexec_b64 s[8:9], s[0:1]
	s_cbranch_execz .LBB7_619
; %bb.618:
	v_and_b32_e32 v4, 0xffff, v5
	v_lshlrev_b32_e32 v3, 24, v5
	v_and_b32_e32 v5, 3, v4
	v_ffbh_u32_e32 v7, v5
	v_min_u32_e32 v7, 32, v7
	v_subrev_u32_e32 v8, 29, v7
	v_bfe_u32 v6, v4, 2, 5
	v_lshlrev_b32_e32 v4, v8, v4
	v_sub_u32_e32 v7, 30, v7
	v_and_b32_e32 v4, 3, v4
	v_cmp_eq_u32_e32 vcc, 0, v6
	v_cndmask_b32_e32 v6, v6, v7, vcc
	v_cndmask_b32_e32 v4, v5, v4, vcc
	v_mov_b32_e32 v5, 0x37800000
	v_lshlrev_b32_e32 v4, 21, v4
	v_and_b32_e32 v3, 0x80000000, v3
	v_lshl_add_u32 v5, v6, 23, v5
	v_or3_b32 v3, v3, v5, v4
	v_cvt_f64_f32_e32 v[3:4], v3
.LBB7_619:
	s_or_b64 exec, exec, s[8:9]
	s_mov_b64 s[0:1], 0
	s_branch .LBB7_623
.LBB7_620:
	s_mov_b64 s[8:9], -1
                                        ; implicit-def: $vgpr3_vgpr4
	s_branch .LBB7_629
.LBB7_621:
	s_mov_b64 s[0:1], -1
                                        ; implicit-def: $vgpr3_vgpr4
	s_branch .LBB7_626
.LBB7_622:
	s_mov_b64 s[0:1], -1
                                        ; implicit-def: $vgpr3_vgpr4
.LBB7_623:
	s_and_b64 vcc, exec, s[0:1]
	s_cbranch_vccz .LBB7_625
; %bb.624:
	global_load_ubyte v3, v[0:1], off
	s_mov_b32 s0, 0x7f800000
	s_waitcnt vmcnt(0)
	v_lshlrev_b32_e32 v3, 24, v3
	v_and_b32_e32 v4, 0x7f000000, v3
	v_ffbh_u32_e32 v5, v4
	v_min_u32_e32 v5, 32, v5
	v_sub_u32_e64 v5, v5, 4 clamp
	v_lshlrev_b32_e32 v7, v5, v4
	v_lshlrev_b32_e32 v5, 23, v5
	v_lshrrev_b32_e32 v7, 4, v7
	v_add_u32_e32 v6, 0x1000000, v4
	v_sub_u32_e32 v5, v7, v5
	v_ashrrev_i32_e32 v6, 8, v6
	v_add_u32_e32 v5, 0x3c000000, v5
	v_and_or_b32 v5, v6, s0, v5
	v_cmp_ne_u32_e32 vcc, 0, v4
	v_cndmask_b32_e32 v4, 0, v5, vcc
	s_brev_b32 s0, 1
	v_and_or_b32 v3, v3, s0, v4
	v_cvt_f64_f32_e32 v[3:4], v3
.LBB7_625:
	s_mov_b64 s[0:1], 0
.LBB7_626:
	s_andn2_b64 vcc, exec, s[0:1]
	s_cbranch_vccnz .LBB7_628
; %bb.627:
	global_load_ubyte v3, v[0:1], off
	s_movk_i32 s0, 0x7f00
	s_brev_b32 s1, 16
	s_waitcnt vmcnt(0)
	v_lshlrev_b16_e32 v4, 8, v3
	v_lshlrev_b32_e32 v3, 25, v3
	v_lshrrev_b32_e32 v5, 4, v3
	v_and_or_b32 v6, v4, s0, 0.5
	v_or_b32_e32 v5, 0x70000000, v5
	v_add_f32_e32 v6, -0.5, v6
	v_mul_f32_e32 v5, 0x7800000, v5
	v_cmp_gt_u32_e32 vcc, s1, v3
	v_bfe_i32 v4, v4, 0, 16
	v_cndmask_b32_e32 v3, v5, v6, vcc
	s_brev_b32 s0, 1
	v_and_or_b32 v3, v4, s0, v3
	v_cvt_f64_f32_e32 v[3:4], v3
.LBB7_628:
	s_mov_b64 s[8:9], 0
	s_mov_b64 s[0:1], -1
.LBB7_629:
	s_andn2_b64 vcc, exec, s[8:9]
	s_cbranch_vccnz .LBB7_640
; %bb.630:
	s_cmp_gt_i32 s12, 14
	s_cbranch_scc0 .LBB7_633
; %bb.631:
	s_cmp_eq_u32 s12, 15
	s_cbranch_scc0 .LBB7_634
; %bb.632:
	global_load_ushort v3, v[0:1], off
	s_mov_b64 s[0:1], -1
	s_mov_b64 s[2:3], 0
	s_waitcnt vmcnt(0)
	v_lshlrev_b32_e32 v3, 16, v3
	v_cvt_f64_f32_e32 v[3:4], v3
	s_branch .LBB7_635
.LBB7_633:
	s_mov_b64 s[8:9], -1
                                        ; implicit-def: $vgpr3_vgpr4
	s_branch .LBB7_636
.LBB7_634:
	s_mov_b64 s[2:3], -1
                                        ; implicit-def: $vgpr3_vgpr4
.LBB7_635:
	s_mov_b64 s[8:9], 0
.LBB7_636:
	s_and_b64 vcc, exec, s[8:9]
	s_cbranch_vccz .LBB7_640
; %bb.637:
	s_cmp_eq_u32 s12, 11
	s_cbranch_scc0 .LBB7_639
; %bb.638:
	global_load_ubyte v4, v[0:1], off
	v_mov_b32_e32 v5, 0x3ff00000
	s_waitcnt vmcnt(1)
	v_mov_b32_e32 v3, 0
	s_mov_b64 s[0:1], -1
	s_mov_b64 s[2:3], 0
	s_waitcnt vmcnt(0)
	v_cmp_ne_u16_e32 vcc, 0, v4
	v_cndmask_b32_e32 v4, 0, v5, vcc
	s_branch .LBB7_640
.LBB7_639:
	s_mov_b64 s[2:3], -1
                                        ; implicit-def: $vgpr3_vgpr4
.LBB7_640:
	s_mov_b64 s[8:9], 0
.LBB7_641:
	s_and_b64 vcc, exec, s[8:9]
	s_cbranch_vccz .LBB7_690
; %bb.642:
	s_cmp_lt_i32 s12, 5
	s_cbranch_scc1 .LBB7_647
; %bb.643:
	s_cmp_lt_i32 s12, 8
	s_cbranch_scc1 .LBB7_648
	;; [unrolled: 3-line block ×3, first 2 shown]
; %bb.645:
	s_cmp_gt_i32 s12, 9
	s_cbranch_scc0 .LBB7_650
; %bb.646:
	global_load_dwordx2 v[3:4], v[0:1], off
	s_mov_b64 s[0:1], 0
	s_branch .LBB7_651
.LBB7_647:
	s_mov_b64 s[0:1], -1
                                        ; implicit-def: $vgpr3_vgpr4
	s_branch .LBB7_669
.LBB7_648:
	s_mov_b64 s[0:1], -1
                                        ; implicit-def: $vgpr3_vgpr4
	s_branch .LBB7_657
.LBB7_649:
	s_mov_b64 s[0:1], -1
                                        ; implicit-def: $vgpr3_vgpr4
	s_branch .LBB7_654
.LBB7_650:
	s_mov_b64 s[0:1], -1
                                        ; implicit-def: $vgpr3_vgpr4
.LBB7_651:
	s_andn2_b64 vcc, exec, s[0:1]
	s_cbranch_vccnz .LBB7_653
; %bb.652:
	global_load_dword v3, v[0:1], off
	s_waitcnt vmcnt(0)
	v_cvt_f64_f32_e32 v[3:4], v3
.LBB7_653:
	s_mov_b64 s[0:1], 0
.LBB7_654:
	s_andn2_b64 vcc, exec, s[0:1]
	s_cbranch_vccnz .LBB7_656
; %bb.655:
	global_load_dword v3, v[0:1], off
	s_waitcnt vmcnt(0)
	v_cvt_f32_f16_e32 v3, v3
	v_cvt_f64_f32_e32 v[3:4], v3
.LBB7_656:
	s_mov_b64 s[0:1], 0
.LBB7_657:
	s_andn2_b64 vcc, exec, s[0:1]
	s_cbranch_vccnz .LBB7_668
; %bb.658:
	s_cmp_lt_i32 s12, 6
	s_cbranch_scc1 .LBB7_661
; %bb.659:
	s_cmp_gt_i32 s12, 6
	s_cbranch_scc0 .LBB7_662
; %bb.660:
	global_load_dwordx2 v[3:4], v[0:1], off
	s_mov_b64 s[0:1], 0
	s_branch .LBB7_663
.LBB7_661:
	s_mov_b64 s[0:1], -1
                                        ; implicit-def: $vgpr3_vgpr4
	s_branch .LBB7_666
.LBB7_662:
	s_mov_b64 s[0:1], -1
                                        ; implicit-def: $vgpr3_vgpr4
.LBB7_663:
	s_andn2_b64 vcc, exec, s[0:1]
	s_cbranch_vccnz .LBB7_665
; %bb.664:
	global_load_dword v3, v[0:1], off
	s_waitcnt vmcnt(0)
	v_cvt_f64_f32_e32 v[3:4], v3
.LBB7_665:
	s_mov_b64 s[0:1], 0
.LBB7_666:
	s_andn2_b64 vcc, exec, s[0:1]
	s_cbranch_vccnz .LBB7_668
; %bb.667:
	global_load_ushort v3, v[0:1], off
	s_waitcnt vmcnt(0)
	v_cvt_f32_f16_e32 v3, v3
	v_cvt_f64_f32_e32 v[3:4], v3
.LBB7_668:
	s_mov_b64 s[0:1], 0
.LBB7_669:
	s_andn2_b64 vcc, exec, s[0:1]
	s_cbranch_vccnz .LBB7_689
; %bb.670:
	s_cmp_lt_i32 s12, 2
	s_cbranch_scc1 .LBB7_674
; %bb.671:
	s_cmp_lt_i32 s12, 3
	s_cbranch_scc1 .LBB7_675
; %bb.672:
	s_cmp_gt_i32 s12, 3
	s_cbranch_scc0 .LBB7_676
; %bb.673:
	global_load_dwordx2 v[3:4], v[0:1], off
	s_mov_b64 s[0:1], 0
	s_waitcnt vmcnt(0)
	v_cvt_f64_i32_e32 v[4:5], v4
	v_cvt_f64_u32_e32 v[6:7], v3
	v_ldexp_f64 v[4:5], v[4:5], 32
	v_add_f64 v[3:4], v[4:5], v[6:7]
	s_branch .LBB7_677
.LBB7_674:
	s_mov_b64 s[0:1], -1
                                        ; implicit-def: $vgpr3_vgpr4
	s_branch .LBB7_683
.LBB7_675:
	s_mov_b64 s[0:1], -1
                                        ; implicit-def: $vgpr3_vgpr4
	s_branch .LBB7_680
.LBB7_676:
	s_mov_b64 s[0:1], -1
                                        ; implicit-def: $vgpr3_vgpr4
.LBB7_677:
	s_andn2_b64 vcc, exec, s[0:1]
	s_cbranch_vccnz .LBB7_679
; %bb.678:
	global_load_dword v3, v[0:1], off
	s_waitcnt vmcnt(0)
	v_cvt_f64_i32_e32 v[3:4], v3
.LBB7_679:
	s_mov_b64 s[0:1], 0
.LBB7_680:
	s_andn2_b64 vcc, exec, s[0:1]
	s_cbranch_vccnz .LBB7_682
; %bb.681:
	global_load_sshort v3, v[0:1], off
	s_waitcnt vmcnt(0)
	v_cvt_f64_i32_e32 v[3:4], v3
.LBB7_682:
	s_mov_b64 s[0:1], 0
.LBB7_683:
	s_andn2_b64 vcc, exec, s[0:1]
	s_cbranch_vccnz .LBB7_689
; %bb.684:
	s_cmp_gt_i32 s12, 0
	s_cbranch_scc0 .LBB7_686
; %bb.685:
	global_load_sbyte v3, v[0:1], off
	s_mov_b64 s[0:1], 0
	s_waitcnt vmcnt(0)
	v_cvt_f64_i32_e32 v[3:4], v3
	s_branch .LBB7_687
.LBB7_686:
	s_mov_b64 s[0:1], -1
                                        ; implicit-def: $vgpr3_vgpr4
.LBB7_687:
	s_andn2_b64 vcc, exec, s[0:1]
	s_cbranch_vccnz .LBB7_689
; %bb.688:
	global_load_ubyte v0, v[0:1], off
	s_waitcnt vmcnt(0)
	v_cvt_f64_u32_e32 v[3:4], v0
.LBB7_689:
	s_mov_b64 s[0:1], -1
.LBB7_690:
	s_andn2_b64 vcc, exec, s[0:1]
	s_cbranch_vccnz .LBB7_698
; %bb.691:
	s_waitcnt vmcnt(0)
	v_cmp_nge_f64_e64 s[0:1], v[3:4], -s[44:45]
	v_cmp_nge_f64_e32 vcc, s[44:45], v[3:4]
	v_mov_b32_e32 v5, s25
	s_and_b32 s14, s75, 0xff
	s_or_b64 vcc, s[0:1], vcc
	v_cndmask_b32_e32 v1, 0, v4, vcc
	v_cndmask_b32_e32 v0, 0, v3, vcc
	v_add_co_u32_e32 v4, vcc, s24, v2
	s_cmp_lt_i32 s14, 11
	v_addc_co_u32_e32 v5, vcc, 0, v5, vcc
	s_cbranch_scc1 .LBB7_699
; %bb.692:
	s_and_b32 s15, 0xffff, s14
	s_cmp_gt_i32 s15, 25
	s_cbranch_scc0 .LBB7_700
; %bb.693:
	s_cmp_gt_i32 s15, 28
	s_cbranch_scc0 .LBB7_701
; %bb.694:
	;; [unrolled: 3-line block ×4, first 2 shown]
	s_mov_b64 s[10:11], 0
	s_mov_b64 s[0:1], -1
	s_cmp_eq_u32 s15, 46
	s_mov_b64 s[8:9], 0
	s_cbranch_scc0 .LBB7_704
; %bb.697:
	v_cvt_f32_f64_e32 v2, v[0:1]
	s_movk_i32 s0, 0x7fff
	v_mov_b32_e32 v3, 0x7fc0
	s_mov_b64 s[8:9], -1
	v_bfe_u32 v6, v2, 16, 1
	v_cmp_o_f32_e32 vcc, v2, v2
	v_add3_u32 v2, v2, v6, s0
	v_cndmask_b32_sdwa v2, v3, v2, vcc dst_sel:DWORD dst_unused:UNUSED_PAD src0_sel:DWORD src1_sel:WORD_1
	global_store_dword v[4:5], v2, off
	s_mov_b64 s[0:1], 0
	s_branch .LBB7_704
.LBB7_698:
	s_mov_b64 s[8:9], 0
	s_mov_b64 s[0:1], s[62:63]
	s_branch .LBB7_815
.LBB7_699:
	s_mov_b64 s[10:11], -1
	s_mov_b64 s[8:9], 0
	s_mov_b64 s[0:1], s[62:63]
	s_branch .LBB7_773
.LBB7_700:
	s_mov_b64 s[10:11], -1
	s_mov_b64 s[8:9], 0
	s_mov_b64 s[0:1], s[62:63]
	s_branch .LBB7_731
.LBB7_701:
	s_mov_b64 s[10:11], -1
	s_mov_b64 s[8:9], 0
	s_mov_b64 s[0:1], s[62:63]
	s_branch .LBB7_714
.LBB7_702:
	s_mov_b64 s[10:11], -1
	s_mov_b64 s[8:9], 0
	s_mov_b64 s[0:1], s[62:63]
	s_branch .LBB7_710
.LBB7_703:
	s_mov_b64 s[10:11], -1
	s_mov_b64 s[8:9], 0
	s_mov_b64 s[0:1], s[62:63]
.LBB7_704:
	s_and_b64 vcc, exec, s[10:11]
	s_cbranch_vccz .LBB7_709
; %bb.705:
	s_cmp_eq_u32 s15, 44
	s_mov_b64 s[0:1], -1
	s_cbranch_scc0 .LBB7_709
; %bb.706:
	v_cvt_f32_f64_e32 v2, v[0:1]
	s_movk_i32 s0, 0xff
	v_mov_b32_e32 v6, 0xff
	v_bfe_u32 v3, v2, 23, 8
	v_cmp_ne_u32_e32 vcc, s0, v3
	s_and_saveexec_b64 s[8:9], vcc
; %bb.707:
	s_mov_b32 s0, 0x3fffff
	v_lshrrev_b32_e32 v6, 23, v2
	v_and_b32_e32 v7, 0x400000, v2
	v_and_or_b32 v2, v2, s0, v3
	v_cmp_ne_u32_e32 vcc, 0, v7
	v_cmp_ne_u32_e64 s[0:1], 0, v2
	s_and_b64 s[0:1], vcc, s[0:1]
	v_cndmask_b32_e64 v2, 0, 1, s[0:1]
	v_add_u32_e32 v6, v6, v2
; %bb.708:
	s_or_b64 exec, exec, s[8:9]
	s_mov_b64 s[8:9], -1
	s_mov_b64 s[0:1], 0
	global_store_byte v[4:5], v6, off
.LBB7_709:
	s_mov_b64 s[10:11], 0
.LBB7_710:
	s_and_b64 vcc, exec, s[10:11]
	s_cbranch_vccz .LBB7_713
; %bb.711:
	s_cmp_eq_u32 s15, 29
	s_mov_b64 s[0:1], -1
	s_cbranch_scc0 .LBB7_713
; %bb.712:
	v_trunc_f64_e32 v[2:3], v[0:1]
	s_movk_i32 s0, 0xffe0
	s_mov_b64 s[8:9], -1
	s_mov_b64 s[10:11], 0
	v_ldexp_f64 v[6:7], v[2:3], s0
	s_mov_b32 s0, 0
	s_mov_b32 s1, 0xc1f00000
	v_floor_f64_e32 v[6:7], v[6:7]
	v_fma_f64 v[2:3], v[6:7], s[0:1], v[2:3]
	v_cvt_u32_f64_e32 v7, v[6:7]
	s_mov_b64 s[0:1], 0
	v_cvt_u32_f64_e32 v6, v[2:3]
	global_store_dwordx2 v[4:5], v[6:7], off
	s_branch .LBB7_714
.LBB7_713:
	s_mov_b64 s[10:11], 0
.LBB7_714:
	s_and_b64 vcc, exec, s[10:11]
	s_cbranch_vccz .LBB7_730
; %bb.715:
	s_cmp_lt_i32 s15, 27
	s_mov_b64 s[8:9], -1
	s_cbranch_scc1 .LBB7_721
; %bb.716:
	v_cvt_u32_f64_e32 v2, v[0:1]
	s_cmp_gt_i32 s15, 27
	s_cbranch_scc0 .LBB7_718
; %bb.717:
	s_mov_b64 s[8:9], 0
	global_store_dword v[4:5], v2, off
.LBB7_718:
	s_andn2_b64 vcc, exec, s[8:9]
	s_cbranch_vccnz .LBB7_720
; %bb.719:
	global_store_short v[4:5], v2, off
.LBB7_720:
	s_mov_b64 s[8:9], 0
.LBB7_721:
	s_andn2_b64 vcc, exec, s[8:9]
	s_cbranch_vccnz .LBB7_729
; %bb.722:
	v_cvt_f32_f64_e32 v2, v[0:1]
	s_mov_b32 s8, 0x43800000
	v_mov_b32_e32 v6, 0x80
	v_and_b32_e32 v3, 0x7fffffff, v2
	v_cmp_gt_u32_e32 vcc, s8, v3
	s_and_saveexec_b64 s[8:9], vcc
	s_cbranch_execz .LBB7_728
; %bb.723:
	s_mov_b32 s10, 0x3bffffff
	v_cmp_lt_u32_e32 vcc, s10, v3
	s_mov_b64 s[10:11], 0
                                        ; implicit-def: $vgpr3
	s_and_saveexec_b64 s[12:13], vcc
	s_xor_b64 s[12:13], exec, s[12:13]
	s_cbranch_execz .LBB7_845
; %bb.724:
	v_bfe_u32 v3, v2, 20, 1
	s_mov_b32 s16, 0x487ffff
	v_add3_u32 v3, v2, v3, s16
	s_mov_b64 s[10:11], exec
	v_lshrrev_b32_e32 v3, 20, v3
	s_andn2_saveexec_b64 s[12:13], s[12:13]
	s_cbranch_execnz .LBB7_846
.LBB7_725:
	s_or_b64 exec, exec, s[12:13]
	v_mov_b32_e32 v6, 0
	s_and_saveexec_b64 s[12:13], s[10:11]
.LBB7_726:
	v_lshrrev_b32_e32 v2, 24, v2
	s_movk_i32 s10, 0x80
	v_and_or_b32 v6, v2, s10, v3
.LBB7_727:
	s_or_b64 exec, exec, s[12:13]
.LBB7_728:
	s_or_b64 exec, exec, s[8:9]
	global_store_byte v[4:5], v6, off
.LBB7_729:
	s_mov_b64 s[8:9], -1
.LBB7_730:
	s_mov_b64 s[10:11], 0
.LBB7_731:
	s_and_b64 vcc, exec, s[10:11]
	s_cbranch_vccz .LBB7_772
; %bb.732:
	s_cmp_gt_i32 s15, 22
	s_mov_b64 s[10:11], -1
	s_cbranch_scc0 .LBB7_764
; %bb.733:
	s_cmp_lt_i32 s15, 24
	s_mov_b64 s[8:9], -1
	s_cbranch_scc1 .LBB7_753
; %bb.734:
	s_cmp_gt_i32 s15, 24
	s_cbranch_scc0 .LBB7_742
; %bb.735:
	v_cvt_f32_f64_e32 v2, v[0:1]
	s_mov_b32 s8, 0x47800000
	v_mov_b32_e32 v6, 0x80
	v_and_b32_e32 v3, 0x7fffffff, v2
	v_cmp_gt_u32_e32 vcc, s8, v3
	s_and_saveexec_b64 s[8:9], vcc
	s_cbranch_execz .LBB7_741
; %bb.736:
	s_mov_b32 s10, 0x37ffffff
	v_cmp_lt_u32_e32 vcc, s10, v3
	s_mov_b64 s[10:11], 0
                                        ; implicit-def: $vgpr3
	s_and_saveexec_b64 s[12:13], vcc
	s_xor_b64 s[12:13], exec, s[12:13]
	s_cbranch_execz .LBB7_848
; %bb.737:
	v_bfe_u32 v3, v2, 21, 1
	s_mov_b32 s16, 0x88fffff
	v_add3_u32 v3, v2, v3, s16
	s_mov_b64 s[10:11], exec
	v_lshrrev_b32_e32 v3, 21, v3
	s_andn2_saveexec_b64 s[12:13], s[12:13]
	s_cbranch_execnz .LBB7_849
.LBB7_738:
	s_or_b64 exec, exec, s[12:13]
	v_mov_b32_e32 v6, 0
	s_and_saveexec_b64 s[12:13], s[10:11]
.LBB7_739:
	v_lshrrev_b32_e32 v2, 24, v2
	s_movk_i32 s10, 0x80
	v_and_or_b32 v6, v2, s10, v3
.LBB7_740:
	s_or_b64 exec, exec, s[12:13]
.LBB7_741:
	s_or_b64 exec, exec, s[8:9]
	s_mov_b64 s[8:9], 0
	global_store_byte v[4:5], v6, off
.LBB7_742:
	s_and_b64 vcc, exec, s[8:9]
	s_cbranch_vccz .LBB7_752
; %bb.743:
	v_cvt_f32_f64_e32 v2, v[0:1]
	s_mov_b32 s8, 0x43f00000
                                        ; implicit-def: $vgpr3
	v_and_b32_e32 v6, 0x7fffffff, v2
	v_cmp_gt_u32_e32 vcc, s8, v6
	s_and_saveexec_b64 s[8:9], vcc
	s_xor_b64 s[8:9], exec, s[8:9]
	s_cbranch_execz .LBB7_749
; %bb.744:
	s_mov_b32 s10, 0x3c7fffff
	v_cmp_lt_u32_e32 vcc, s10, v6
                                        ; implicit-def: $vgpr3
	s_and_saveexec_b64 s[10:11], vcc
	s_xor_b64 s[10:11], exec, s[10:11]
; %bb.745:
	v_bfe_u32 v3, v2, 20, 1
	s_mov_b32 s12, 0x407ffff
	v_add3_u32 v3, v2, v3, s12
	v_lshrrev_b32_e32 v6, 20, v3
	v_and_b32_e32 v3, 0xff00000, v3
	s_mov_b32 s12, 0x7f00000
	v_mov_b32_e32 v7, 0x7e
	v_cmp_ne_u32_e32 vcc, s12, v3
	v_cndmask_b32_e32 v3, v7, v6, vcc
; %bb.746:
	s_andn2_saveexec_b64 s[10:11], s[10:11]
; %bb.747:
	s_mov_b32 s12, 0x46800000
	v_add_f32_e64 v3, |v2|, s12
; %bb.748:
	s_or_b64 exec, exec, s[10:11]
                                        ; implicit-def: $vgpr6
.LBB7_749:
	s_andn2_saveexec_b64 s[8:9], s[8:9]
; %bb.750:
	s_mov_b32 s10, 0x7f800000
	v_mov_b32_e32 v3, 0x7e
	v_mov_b32_e32 v7, 0x7f
	v_cmp_lt_u32_e32 vcc, s10, v6
	v_cndmask_b32_e32 v3, v3, v7, vcc
; %bb.751:
	s_or_b64 exec, exec, s[8:9]
	v_lshrrev_b32_e32 v2, 24, v2
	s_movk_i32 s8, 0x80
	v_and_or_b32 v2, v2, s8, v3
	global_store_byte v[4:5], v2, off
.LBB7_752:
	s_mov_b64 s[8:9], 0
.LBB7_753:
	s_andn2_b64 vcc, exec, s[8:9]
	s_cbranch_vccnz .LBB7_763
; %bb.754:
	v_cvt_f32_f64_e32 v2, v[0:1]
	s_mov_b32 s8, 0x47800000
                                        ; implicit-def: $vgpr3
	v_and_b32_e32 v6, 0x7fffffff, v2
	v_cmp_gt_u32_e32 vcc, s8, v6
	s_and_saveexec_b64 s[8:9], vcc
	s_xor_b64 s[8:9], exec, s[8:9]
	s_cbranch_execz .LBB7_760
; %bb.755:
	s_mov_b32 s10, 0x387fffff
	v_cmp_lt_u32_e32 vcc, s10, v6
                                        ; implicit-def: $vgpr3
	s_and_saveexec_b64 s[10:11], vcc
	s_xor_b64 s[10:11], exec, s[10:11]
; %bb.756:
	v_bfe_u32 v3, v2, 21, 1
	s_mov_b32 s12, 0x80fffff
	v_add3_u32 v3, v2, v3, s12
	v_lshrrev_b32_e32 v3, 21, v3
; %bb.757:
	s_andn2_saveexec_b64 s[10:11], s[10:11]
; %bb.758:
	s_mov_b32 s12, 0x43000000
	v_add_f32_e64 v3, |v2|, s12
; %bb.759:
	s_or_b64 exec, exec, s[10:11]
                                        ; implicit-def: $vgpr6
.LBB7_760:
	s_andn2_saveexec_b64 s[8:9], s[8:9]
; %bb.761:
	s_mov_b32 s10, 0x7f800000
	v_mov_b32_e32 v3, 0x7c
	v_mov_b32_e32 v7, 0x7f
	v_cmp_lt_u32_e32 vcc, s10, v6
	v_cndmask_b32_e32 v3, v3, v7, vcc
; %bb.762:
	s_or_b64 exec, exec, s[8:9]
	v_lshrrev_b32_e32 v2, 24, v2
	s_movk_i32 s8, 0x80
	v_and_or_b32 v2, v2, s8, v3
	global_store_byte v[4:5], v2, off
.LBB7_763:
	s_mov_b64 s[10:11], 0
	s_mov_b64 s[8:9], -1
.LBB7_764:
	s_andn2_b64 vcc, exec, s[10:11]
	s_cbranch_vccnz .LBB7_772
; %bb.765:
	s_cmp_gt_i32 s15, 14
	s_mov_b64 s[10:11], -1
	s_cbranch_scc0 .LBB7_769
; %bb.766:
	s_cmp_eq_u32 s15, 15
	s_mov_b64 s[0:1], -1
	s_cbranch_scc0 .LBB7_768
; %bb.767:
	v_cvt_f32_f64_e32 v2, v[0:1]
	s_movk_i32 s0, 0x7fff
	v_mov_b32_e32 v3, 0x7fc0
	s_mov_b64 s[8:9], -1
	v_bfe_u32 v6, v2, 16, 1
	v_cmp_o_f32_e32 vcc, v2, v2
	v_add3_u32 v2, v2, v6, s0
	v_cndmask_b32_sdwa v2, v3, v2, vcc dst_sel:DWORD dst_unused:UNUSED_PAD src0_sel:DWORD src1_sel:WORD_1
	global_store_short v[4:5], v2, off
	s_mov_b64 s[0:1], 0
.LBB7_768:
	s_mov_b64 s[10:11], 0
.LBB7_769:
	s_and_b64 vcc, exec, s[10:11]
	s_cbranch_vccz .LBB7_772
; %bb.770:
	s_cmp_eq_u32 s15, 11
	s_mov_b64 s[0:1], -1
	s_cbranch_scc0 .LBB7_772
; %bb.771:
	v_cmp_neq_f64_e32 vcc, 0, v[0:1]
	s_mov_b64 s[0:1], 0
	s_mov_b64 s[8:9], -1
	v_cndmask_b32_e64 v2, 0, 1, vcc
	global_store_byte v[4:5], v2, off
.LBB7_772:
	s_mov_b64 s[10:11], 0
.LBB7_773:
	s_and_b64 vcc, exec, s[10:11]
	s_cbranch_vccz .LBB7_812
; %bb.774:
	s_and_b32 s10, 0xffff, s14
	s_cmp_lt_i32 s10, 5
	s_mov_b64 s[8:9], -1
	s_cbranch_scc1 .LBB7_795
; %bb.775:
	s_cmp_lt_i32 s10, 8
	s_cbranch_scc1 .LBB7_785
; %bb.776:
	s_cmp_lt_i32 s10, 9
	s_cbranch_scc1 .LBB7_782
; %bb.777:
	s_cmp_gt_i32 s10, 9
	s_cbranch_scc0 .LBB7_779
; %bb.778:
	v_mov_b32_e32 v2, 0
	v_mov_b32_e32 v3, v2
	s_mov_b64 s[8:9], 0
	global_store_dwordx4 v[4:5], v[0:3], off
.LBB7_779:
	s_andn2_b64 vcc, exec, s[8:9]
	s_cbranch_vccnz .LBB7_781
; %bb.780:
	v_cvt_f32_f64_e32 v2, v[0:1]
	v_mov_b32_e32 v3, 0
	global_store_dwordx2 v[4:5], v[2:3], off
.LBB7_781:
	s_mov_b64 s[8:9], 0
.LBB7_782:
	s_andn2_b64 vcc, exec, s[8:9]
	s_cbranch_vccnz .LBB7_784
; %bb.783:
	s_movk_i32 s8, 0x1ff
	v_and_or_b32 v2, v1, s8, v0
	v_cmp_ne_u32_e32 vcc, 0, v2
	v_cndmask_b32_e64 v2, 0, 1, vcc
	v_lshrrev_b32_e32 v3, 8, v1
	s_movk_i32 s8, 0xffe
	v_bfe_u32 v6, v1, 20, 11
	v_and_or_b32 v2, v3, s8, v2
	v_sub_u32_e32 v7, 0x3f1, v6
	v_or_b32_e32 v3, 0x1000, v2
	v_med3_i32 v7, v7, 0, 13
	v_lshrrev_b32_e32 v8, v7, v3
	v_lshlrev_b32_e32 v7, v7, v8
	v_cmp_ne_u32_e32 vcc, v7, v3
	v_cndmask_b32_e64 v3, 0, 1, vcc
	v_add_u32_e32 v6, 0xfffffc10, v6
	v_or_b32_e32 v3, v8, v3
	v_lshl_or_b32 v7, v6, 12, v2
	v_cmp_gt_i32_e32 vcc, 1, v6
	v_cndmask_b32_e32 v3, v7, v3, vcc
	v_and_b32_e32 v7, 7, v3
	v_cmp_lt_i32_e32 vcc, 5, v7
	v_cndmask_b32_e64 v8, 0, 1, vcc
	v_cmp_eq_u32_e32 vcc, 3, v7
	v_cndmask_b32_e64 v7, 0, 1, vcc
	v_or_b32_e32 v7, v7, v8
	v_lshrrev_b32_e32 v3, 2, v3
	v_add_u32_e32 v3, v3, v7
	v_mov_b32_e32 v7, 0x7c00
	v_cmp_gt_i32_e32 vcc, 31, v6
	v_cndmask_b32_e32 v3, v7, v3, vcc
	v_mov_b32_e32 v8, 0x7e00
	v_cmp_ne_u32_e32 vcc, 0, v2
	s_movk_i32 s8, 0x40f
	v_cndmask_b32_e32 v2, v7, v8, vcc
	v_cmp_eq_u32_e32 vcc, s8, v6
	v_cndmask_b32_e32 v2, v3, v2, vcc
	v_lshrrev_b32_e32 v3, 16, v1
	s_mov_b32 s8, 0x8000
	v_and_or_b32 v2, v3, s8, v2
	v_and_b32_e32 v2, 0xffff, v2
	global_store_dword v[4:5], v2, off
.LBB7_784:
	s_mov_b64 s[8:9], 0
.LBB7_785:
	s_andn2_b64 vcc, exec, s[8:9]
	s_cbranch_vccnz .LBB7_794
; %bb.786:
	s_cmp_lt_i32 s10, 6
	s_mov_b64 s[8:9], -1
	s_cbranch_scc1 .LBB7_792
; %bb.787:
	s_cmp_gt_i32 s10, 6
	s_cbranch_scc0 .LBB7_789
; %bb.788:
	s_mov_b64 s[8:9], 0
	global_store_dwordx2 v[4:5], v[0:1], off
.LBB7_789:
	s_andn2_b64 vcc, exec, s[8:9]
	s_cbranch_vccnz .LBB7_791
; %bb.790:
	v_cvt_f32_f64_e32 v2, v[0:1]
	global_store_dword v[4:5], v2, off
.LBB7_791:
	s_mov_b64 s[8:9], 0
.LBB7_792:
	s_andn2_b64 vcc, exec, s[8:9]
	s_cbranch_vccnz .LBB7_794
; %bb.793:
	s_movk_i32 s8, 0x1ff
	v_and_or_b32 v2, v1, s8, v0
	v_cmp_ne_u32_e32 vcc, 0, v2
	v_cndmask_b32_e64 v2, 0, 1, vcc
	v_lshrrev_b32_e32 v3, 8, v1
	s_movk_i32 s8, 0xffe
	v_bfe_u32 v6, v1, 20, 11
	v_and_or_b32 v2, v3, s8, v2
	v_sub_u32_e32 v7, 0x3f1, v6
	v_or_b32_e32 v3, 0x1000, v2
	v_med3_i32 v7, v7, 0, 13
	v_lshrrev_b32_e32 v8, v7, v3
	v_lshlrev_b32_e32 v7, v7, v8
	v_cmp_ne_u32_e32 vcc, v7, v3
	v_cndmask_b32_e64 v3, 0, 1, vcc
	v_add_u32_e32 v6, 0xfffffc10, v6
	v_or_b32_e32 v3, v8, v3
	v_lshl_or_b32 v7, v6, 12, v2
	v_cmp_gt_i32_e32 vcc, 1, v6
	v_cndmask_b32_e32 v3, v7, v3, vcc
	v_and_b32_e32 v7, 7, v3
	v_cmp_lt_i32_e32 vcc, 5, v7
	v_cndmask_b32_e64 v8, 0, 1, vcc
	v_cmp_eq_u32_e32 vcc, 3, v7
	v_cndmask_b32_e64 v7, 0, 1, vcc
	v_or_b32_e32 v7, v7, v8
	v_lshrrev_b32_e32 v3, 2, v3
	v_add_u32_e32 v3, v3, v7
	v_mov_b32_e32 v7, 0x7c00
	v_cmp_gt_i32_e32 vcc, 31, v6
	v_cndmask_b32_e32 v3, v7, v3, vcc
	v_mov_b32_e32 v8, 0x7e00
	v_cmp_ne_u32_e32 vcc, 0, v2
	s_movk_i32 s8, 0x40f
	v_cndmask_b32_e32 v2, v7, v8, vcc
	v_cmp_eq_u32_e32 vcc, s8, v6
	v_cndmask_b32_e32 v2, v3, v2, vcc
	v_lshrrev_b32_e32 v3, 16, v1
	s_mov_b32 s8, 0x8000
	v_and_or_b32 v2, v3, s8, v2
	global_store_short v[4:5], v2, off
.LBB7_794:
	s_mov_b64 s[8:9], 0
.LBB7_795:
	s_andn2_b64 vcc, exec, s[8:9]
	s_cbranch_vccnz .LBB7_811
; %bb.796:
	s_cmp_lt_i32 s10, 2
	s_mov_b64 s[8:9], -1
	s_cbranch_scc1 .LBB7_806
; %bb.797:
	s_cmp_lt_i32 s10, 3
	s_cbranch_scc1 .LBB7_803
; %bb.798:
	s_cmp_gt_i32 s10, 3
	s_cbranch_scc0 .LBB7_800
; %bb.799:
	v_trunc_f64_e32 v[2:3], v[0:1]
	s_movk_i32 s8, 0xffe0
	v_ldexp_f64 v[6:7], v[2:3], s8
	s_mov_b32 s8, 0
	s_mov_b32 s9, 0xc1f00000
	v_floor_f64_e32 v[6:7], v[6:7]
	v_fma_f64 v[2:3], v[6:7], s[8:9], v[2:3]
	v_cvt_i32_f64_e32 v7, v[6:7]
	s_mov_b64 s[8:9], 0
	v_cvt_u32_f64_e32 v6, v[2:3]
	global_store_dwordx2 v[4:5], v[6:7], off
.LBB7_800:
	s_andn2_b64 vcc, exec, s[8:9]
	s_cbranch_vccnz .LBB7_802
; %bb.801:
	v_cvt_i32_f64_e32 v2, v[0:1]
	global_store_dword v[4:5], v2, off
.LBB7_802:
	s_mov_b64 s[8:9], 0
.LBB7_803:
	s_andn2_b64 vcc, exec, s[8:9]
	s_cbranch_vccnz .LBB7_805
; %bb.804:
	v_cvt_i32_f64_e32 v2, v[0:1]
	global_store_short v[4:5], v2, off
.LBB7_805:
	s_mov_b64 s[8:9], 0
.LBB7_806:
	s_andn2_b64 vcc, exec, s[8:9]
	s_cbranch_vccnz .LBB7_811
; %bb.807:
	s_cmp_gt_i32 s10, 0
	s_mov_b64 s[8:9], -1
	s_cbranch_scc0 .LBB7_809
; %bb.808:
	v_cvt_i32_f64_e32 v2, v[0:1]
	s_mov_b64 s[8:9], 0
	global_store_byte v[4:5], v2, off
.LBB7_809:
	s_andn2_b64 vcc, exec, s[8:9]
	s_cbranch_vccnz .LBB7_811
; %bb.810:
	v_trunc_f64_e32 v[0:1], v[0:1]
	s_movk_i32 s8, 0xffe0
	v_ldexp_f64 v[2:3], v[0:1], s8
	s_mov_b32 s8, 0
	s_mov_b32 s9, 0xc1f00000
	v_floor_f64_e32 v[2:3], v[2:3]
	v_fma_f64 v[0:1], v[2:3], s[8:9], v[0:1]
	v_cvt_u32_f64_e32 v0, v[0:1]
	global_store_byte v[4:5], v0, off
.LBB7_811:
	s_mov_b64 s[8:9], -1
.LBB7_812:
	s_andn2_b64 vcc, exec, s[8:9]
	s_cbranch_vccnz .LBB7_814
; %bb.813:
	v_add_u32_e32 v10, 0x80, v10
	s_mov_b64 s[8:9], -1
	s_branch .LBB7_816
.LBB7_814:
	s_mov_b64 s[8:9], 0
.LBB7_815:
                                        ; implicit-def: $vgpr10
.LBB7_816:
	s_andn2_b64 s[10:11], s[62:63], exec
	s_and_b64 s[0:1], s[0:1], exec
	s_or_b64 s[70:71], s[10:11], s[0:1]
	s_andn2_b64 s[0:1], s[60:61], exec
	s_and_b64 s[2:3], s[2:3], exec
	s_or_b64 s[68:69], s[0:1], s[2:3]
	s_orn2_b64 s[2:3], s[8:9], exec
.LBB7_817:
	s_or_b64 exec, exec, s[66:67]
	s_mov_b64 s[0:1], 0
	s_mov_b64 s[8:9], 0
	;; [unrolled: 1-line block ×3, first 2 shown]
                                        ; implicit-def: $vgpr0_vgpr1
                                        ; implicit-def: $vgpr2
                                        ; implicit-def: $vgpr6_vgpr7
	s_and_saveexec_b64 s[66:67], s[2:3]
	s_cbranch_execz .LBB7_916
; %bb.818:
	v_cmp_gt_i32_e32 vcc, s72, v10
	s_mov_b64 s[2:3], 0
	s_mov_b64 s[12:13], s[68:69]
                                        ; implicit-def: $vgpr0_vgpr1
                                        ; implicit-def: $vgpr2
                                        ; implicit-def: $vgpr6_vgpr7
	s_and_saveexec_b64 s[72:73], vcc
	s_cbranch_execz .LBB7_915
; %bb.819:
	s_andn2_b64 vcc, exec, s[40:41]
	s_cbranch_vccnz .LBB7_824
; %bb.820:
	s_andn2_b64 vcc, exec, s[52:53]
	s_cbranch_vccnz .LBB7_825
; %bb.821:
	s_add_i32 s78, s77, 1
	s_cmp_eq_u32 s74, 2
	s_cbranch_scc1 .LBB7_826
; %bb.822:
	s_and_b32 s77, s78, 28
	v_mov_b32_e32 v0, 0
	s_mov_b32 s79, 0
	s_mov_b64 s[52:53], s[34:35]
	v_mov_b32_e32 v2, 0
	v_mov_b32_e32 v1, v10
.LBB7_823:                              ; =>This Inner Loop Header: Depth=1
	s_load_dwordx8 s[16:23], s[52:53], 0x4
	s_load_dwordx4 s[0:3], s[52:53], 0x24
	s_load_dwordx8 s[8:15], s[50:51], 0x0
	s_add_u32 s52, s52, 48
	s_addc_u32 s53, s53, 0
	s_waitcnt vmcnt(0) lgkmcnt(0)
	v_mul_hi_u32 v3, s17, v1
	s_add_i32 s79, s79, 4
	s_add_u32 s50, s50, 32
	s_addc_u32 s51, s51, 0
	v_add_u32_e32 v3, v1, v3
	v_lshrrev_b32_e32 v3, s18, v3
	v_mul_lo_u32 v4, v3, s16
	v_mul_hi_u32 v5, s20, v3
	s_cmp_eq_u32 s77, s79
	v_sub_u32_e32 v1, v1, v4
	v_add_u32_e32 v4, v3, v5
	v_mul_lo_u32 v5, v1, s8
	v_mul_lo_u32 v6, v1, s9
	v_lshrrev_b32_e32 v1, s21, v4
	v_mul_lo_u32 v4, v1, s19
	v_mul_hi_u32 v7, s23, v1
	v_sub_u32_e32 v3, v3, v4
	v_add_u32_e32 v4, v1, v7
	v_lshrrev_b32_e32 v4, s0, v4
	v_mul_hi_u32 v8, s2, v4
	v_mul_lo_u32 v9, v4, s22
	v_mul_lo_u32 v7, v3, s10
	;; [unrolled: 1-line block ×3, first 2 shown]
	v_sub_u32_e32 v9, v1, v9
	v_add_u32_e32 v1, v4, v8
	v_lshrrev_b32_e32 v1, s3, v1
	v_mul_lo_u32 v8, v1, s1
	v_mul_lo_u32 v11, v9, s12
	;; [unrolled: 1-line block ×3, first 2 shown]
	v_add3_u32 v2, v5, v2, v7
	v_sub_u32_e32 v4, v4, v8
	v_mul_lo_u32 v8, v4, s14
	v_mul_lo_u32 v4, v4, s15
	v_add3_u32 v0, v6, v0, v3
	v_add3_u32 v2, v11, v2, v8
	;; [unrolled: 1-line block ×3, first 2 shown]
	s_cbranch_scc0 .LBB7_823
	s_branch .LBB7_827
.LBB7_824:
	s_mov_b64 s[0:1], -1
                                        ; implicit-def: $vgpr2
                                        ; implicit-def: $vgpr0
	s_branch .LBB7_831
.LBB7_825:
	v_mov_b32_e32 v2, 0
	v_mov_b32_e32 v0, 0
	s_branch .LBB7_830
.LBB7_826:
	s_mov_b32 s77, 0
	v_mov_b32_e32 v2, 0
	v_mov_b32_e32 v0, 0
	;; [unrolled: 1-line block ×3, first 2 shown]
.LBB7_827:
	s_and_b32 s8, s78, 3
	s_cmp_eq_u32 s8, 0
	s_cbranch_scc1 .LBB7_830
; %bb.828:
	s_lshl_b32 s0, s77, 3
	s_add_u32 s0, s34, s0
	s_addc_u32 s1, s35, 0
	s_add_u32 s0, s0, 0xc4
	s_addc_u32 s1, s1, 0
	s_mul_i32 s2, s77, 12
	s_add_u32 s2, s34, s2
	s_addc_u32 s3, s35, 0
.LBB7_829:                              ; =>This Inner Loop Header: Depth=1
	s_load_dwordx2 s[10:11], s[2:3], 0x4
	s_load_dword s9, s[2:3], 0xc
	s_load_dwordx2 s[12:13], s[0:1], 0x0
	s_add_u32 s2, s2, 12
	s_addc_u32 s3, s3, 0
	s_waitcnt vmcnt(0) lgkmcnt(0)
	v_mul_hi_u32 v3, s11, v1
	s_add_u32 s0, s0, 8
	s_addc_u32 s1, s1, 0
	s_add_i32 s8, s8, -1
	v_add_u32_e32 v3, v1, v3
	v_lshrrev_b32_e32 v4, s9, v3
	v_mul_lo_u32 v3, v4, s10
	s_cmp_lg_u32 s8, 0
	v_sub_u32_e32 v1, v1, v3
	v_mad_u64_u32 v[2:3], s[10:11], v1, s12, v[2:3]
	v_mad_u64_u32 v[0:1], s[10:11], v1, s13, v[0:1]
	v_mov_b32_e32 v1, v4
	s_cbranch_scc1 .LBB7_829
.LBB7_830:
	s_mov_b64 s[0:1], 0
.LBB7_831:
	s_andn2_b64 vcc, exec, s[0:1]
	s_cbranch_vccnz .LBB7_834
; %bb.832:
	v_mul_hi_u32 v0, s29, v10
	s_andn2_b64 vcc, exec, s[48:49]
	v_add_u32_e32 v0, v10, v0
	v_lshrrev_b32_e32 v1, s30, v0
	v_mul_lo_u32 v0, v1, s28
	v_sub_u32_e32 v0, v10, v0
	v_mul_lo_u32 v2, v0, s36
	v_mul_lo_u32 v0, v0, s37
	s_cbranch_vccnz .LBB7_834
; %bb.833:
	s_waitcnt vmcnt(0)
	v_mul_hi_u32 v3, s46, v1
	v_add_u32_e32 v3, v1, v3
	v_lshrrev_b32_e32 v3, s47, v3
	v_mul_lo_u32 v3, v3, s31
	v_sub_u32_e32 v1, v1, v3
	v_mad_u64_u32 v[2:3], s[0:1], v1, s38, v[2:3]
	v_mad_u64_u32 v[0:1], s[0:1], v1, s39, v[0:1]
.LBB7_834:
	v_mov_b32_e32 v1, s27
	s_and_b32 s14, 0xffff, s76
	v_add_co_u32_e32 v0, vcc, s26, v0
	s_cmp_lt_i32 s14, 11
	v_addc_co_u32_e32 v1, vcc, 0, v1, vcc
	s_cbranch_scc1 .LBB7_841
; %bb.835:
	s_cmp_gt_i32 s14, 25
	s_mov_b64 s[2:3], 0
	s_cbranch_scc0 .LBB7_842
; %bb.836:
	s_cmp_gt_i32 s14, 28
	s_cbranch_scc0 .LBB7_843
; %bb.837:
	s_cmp_gt_i32 s14, 43
	;; [unrolled: 3-line block ×3, first 2 shown]
	s_cbranch_scc0 .LBB7_847
; %bb.839:
	s_cmp_eq_u32 s14, 46
	s_mov_b64 s[10:11], 0
	s_cbranch_scc0 .LBB7_850
; %bb.840:
	global_load_dword v3, v[0:1], off
	s_mov_b64 s[0:1], 0
	s_mov_b64 s[8:9], -1
	s_waitcnt vmcnt(0)
	v_lshlrev_b32_e32 v3, 16, v3
	v_cvt_f64_f32_e32 v[6:7], v3
	s_branch .LBB7_851
.LBB7_841:
	s_mov_b64 s[12:13], -1
	s_mov_b64 s[8:9], 0
	s_mov_b64 s[2:3], 0
	;; [unrolled: 1-line block ×3, first 2 shown]
                                        ; implicit-def: $vgpr6_vgpr7
	s_branch .LBB7_914
.LBB7_842:
	s_mov_b64 s[10:11], -1
	s_mov_b64 s[8:9], 0
	s_mov_b64 s[0:1], s[68:69]
                                        ; implicit-def: $vgpr6_vgpr7
	s_branch .LBB7_882
.LBB7_843:
	s_mov_b64 s[10:11], -1
	s_mov_b64 s[8:9], 0
	s_mov_b64 s[0:1], s[68:69]
                                        ; implicit-def: $vgpr6_vgpr7
	s_branch .LBB7_861
.LBB7_844:
	s_mov_b64 s[10:11], -1
	s_mov_b64 s[8:9], 0
	s_mov_b64 s[0:1], s[68:69]
                                        ; implicit-def: $vgpr6_vgpr7
	s_branch .LBB7_856
.LBB7_845:
	s_andn2_saveexec_b64 s[12:13], s[12:13]
	s_cbranch_execz .LBB7_725
.LBB7_846:
	s_mov_b32 s16, 0x46000000
	v_add_f32_e64 v3, |v2|, s16
	v_and_b32_e32 v3, 0xff, v3
	v_cmp_ne_u32_e32 vcc, 0, v3
	s_andn2_b64 s[10:11], s[10:11], exec
	s_and_b64 s[16:17], vcc, exec
	s_or_b64 s[10:11], s[10:11], s[16:17]
	s_or_b64 exec, exec, s[12:13]
	v_mov_b32_e32 v6, 0
	s_and_saveexec_b64 s[12:13], s[10:11]
	s_cbranch_execnz .LBB7_726
	s_branch .LBB7_727
.LBB7_847:
	s_mov_b64 s[10:11], -1
	s_mov_b64 s[8:9], 0
	s_mov_b64 s[0:1], s[68:69]
                                        ; implicit-def: $vgpr6_vgpr7
	s_branch .LBB7_851
.LBB7_848:
	s_andn2_saveexec_b64 s[12:13], s[12:13]
	s_cbranch_execz .LBB7_738
.LBB7_849:
	s_mov_b32 s16, 0x42800000
	v_add_f32_e64 v3, |v2|, s16
	v_and_b32_e32 v3, 0xff, v3
	v_cmp_ne_u32_e32 vcc, 0, v3
	s_andn2_b64 s[10:11], s[10:11], exec
	s_and_b64 s[16:17], vcc, exec
	s_or_b64 s[10:11], s[10:11], s[16:17]
	s_or_b64 exec, exec, s[12:13]
	v_mov_b32_e32 v6, 0
	s_and_saveexec_b64 s[12:13], s[10:11]
	s_cbranch_execnz .LBB7_739
	s_branch .LBB7_740
.LBB7_850:
	s_mov_b64 s[0:1], -1
                                        ; implicit-def: $vgpr6_vgpr7
	s_mov_b64 s[8:9], 0
.LBB7_851:
	s_and_b64 vcc, exec, s[10:11]
	s_cbranch_vccz .LBB7_855
; %bb.852:
	s_cmp_eq_u32 s14, 44
	s_cbranch_scc0 .LBB7_854
; %bb.853:
	global_load_ubyte v5, v[0:1], off
	s_movk_i32 s8, 0xff
	v_bfrev_b32_e32 v6, 4
	v_mov_b32_e32 v7, 0x7ff80000
	v_bfrev_b32_e32 v8, 28
	s_mov_b64 s[0:1], 0
	s_waitcnt vmcnt(0)
	v_lshlrev_b32_e32 v3, 23, v5
	v_cvt_f64_f32_e32 v[3:4], v3
	v_cmp_ne_u32_e32 vcc, s8, v5
	s_mov_b64 s[8:9], -1
	v_cndmask_b32_e32 v3, v6, v3, vcc
	v_cndmask_b32_e32 v4, v7, v4, vcc
	v_cmp_ne_u32_e32 vcc, 0, v5
	v_cndmask_b32_e32 v7, v8, v4, vcc
	v_cndmask_b32_e32 v6, 0, v3, vcc
	s_branch .LBB7_855
.LBB7_854:
	s_mov_b64 s[0:1], -1
                                        ; implicit-def: $vgpr6_vgpr7
.LBB7_855:
	s_mov_b64 s[10:11], 0
.LBB7_856:
	s_and_b64 vcc, exec, s[10:11]
	s_cbranch_vccz .LBB7_860
; %bb.857:
	s_cmp_eq_u32 s14, 29
	s_cbranch_scc0 .LBB7_859
; %bb.858:
	global_load_dwordx2 v[3:4], v[0:1], off
	s_mov_b64 s[0:1], 0
	s_mov_b64 s[8:9], -1
	s_mov_b64 s[10:11], 0
	s_waitcnt vmcnt(0)
	v_cvt_f64_u32_e32 v[4:5], v4
	v_cvt_f64_u32_e32 v[6:7], v3
	v_ldexp_f64 v[4:5], v[4:5], 32
	v_add_f64 v[6:7], v[4:5], v[6:7]
	s_branch .LBB7_861
.LBB7_859:
	s_mov_b64 s[0:1], -1
                                        ; implicit-def: $vgpr6_vgpr7
.LBB7_860:
	s_mov_b64 s[10:11], 0
.LBB7_861:
	s_and_b64 vcc, exec, s[10:11]
	s_cbranch_vccz .LBB7_881
; %bb.862:
	s_cmp_lt_i32 s14, 27
	s_cbranch_scc1 .LBB7_865
; %bb.863:
	s_cmp_gt_i32 s14, 27
	s_cbranch_scc0 .LBB7_866
; %bb.864:
	global_load_dword v3, v[0:1], off
	s_mov_b64 s[8:9], 0
	s_waitcnt vmcnt(0)
	v_cvt_f64_u32_e32 v[6:7], v3
	s_branch .LBB7_867
.LBB7_865:
	s_mov_b64 s[8:9], -1
                                        ; implicit-def: $vgpr6_vgpr7
	s_branch .LBB7_870
.LBB7_866:
	s_mov_b64 s[8:9], -1
                                        ; implicit-def: $vgpr6_vgpr7
.LBB7_867:
	s_andn2_b64 vcc, exec, s[8:9]
	s_cbranch_vccnz .LBB7_869
; %bb.868:
	global_load_ushort v3, v[0:1], off
	s_waitcnt vmcnt(0)
	v_cvt_f64_u32_e32 v[6:7], v3
.LBB7_869:
	s_mov_b64 s[8:9], 0
.LBB7_870:
	s_andn2_b64 vcc, exec, s[8:9]
	s_cbranch_vccnz .LBB7_880
; %bb.871:
	global_load_ubyte v3, v[0:1], off
	s_movk_i32 s8, 0x7f
	s_waitcnt vmcnt(0)
	v_cmp_lt_i16_e32 vcc, s8, v3
	s_mov_b64 s[8:9], 0
	s_and_saveexec_b64 s[10:11], vcc
	s_xor_b64 s[10:11], exec, s[10:11]
	s_cbranch_execz .LBB7_875
; %bb.872:
	s_movk_i32 s8, 0x80
	v_cmp_eq_u16_e32 vcc, s8, v3
	s_mov_b64 s[8:9], -1
	s_and_saveexec_b64 s[12:13], vcc
; %bb.873:
	s_xor_b64 s[8:9], exec, -1
; %bb.874:
	s_or_b64 exec, exec, s[12:13]
	s_and_b64 s[8:9], s[8:9], exec
.LBB7_875:
	s_or_saveexec_b64 s[10:11], s[10:11]
	v_bfrev_b32_e32 v6, 4
	v_mov_b32_e32 v7, 0x7ff80000
	s_xor_b64 exec, exec, s[10:11]
; %bb.876:
	v_cmp_ne_u16_e32 vcc, 0, v3
	v_mov_b32_e32 v6, 0
	s_andn2_b64 s[8:9], s[8:9], exec
	s_and_b64 s[12:13], vcc, exec
	v_mov_b32_e32 v7, 0
	s_or_b64 s[8:9], s[8:9], s[12:13]
; %bb.877:
	s_or_b64 exec, exec, s[10:11]
	s_and_saveexec_b64 s[10:11], s[8:9]
	s_cbranch_execz .LBB7_879
; %bb.878:
	v_lshlrev_b32_e32 v4, 24, v3
	v_and_b32_e32 v3, 0xffff, v3
	v_and_b32_e32 v5, 7, v3
	v_ffbh_u32_e32 v7, v5
	v_min_u32_e32 v7, 32, v7
	v_subrev_u32_e32 v8, 28, v7
	v_bfe_u32 v6, v3, 3, 4
	v_lshlrev_b32_e32 v3, v8, v3
	v_sub_u32_e32 v7, 29, v7
	v_and_b32_e32 v3, 7, v3
	v_cmp_eq_u32_e32 vcc, 0, v6
	v_cndmask_b32_e32 v6, v6, v7, vcc
	v_cndmask_b32_e32 v3, v5, v3, vcc
	v_mov_b32_e32 v5, 0x3b800000
	v_lshlrev_b32_e32 v3, 20, v3
	v_and_b32_e32 v4, 0x80000000, v4
	v_lshl_add_u32 v5, v6, 23, v5
	v_or3_b32 v3, v4, v5, v3
	v_cvt_f64_f32_e32 v[6:7], v3
.LBB7_879:
	s_or_b64 exec, exec, s[10:11]
.LBB7_880:
	s_mov_b64 s[8:9], -1
.LBB7_881:
	s_mov_b64 s[10:11], 0
.LBB7_882:
	s_and_b64 vcc, exec, s[10:11]
	s_cbranch_vccz .LBB7_913
; %bb.883:
	s_cmp_gt_i32 s14, 22
	s_cbranch_scc0 .LBB7_895
; %bb.884:
	s_cmp_lt_i32 s14, 24
	s_cbranch_scc1 .LBB7_896
; %bb.885:
	s_cmp_gt_i32 s14, 24
	s_cbranch_scc0 .LBB7_897
; %bb.886:
	global_load_ubyte v3, v[0:1], off
	s_movk_i32 s2, 0x7f
	s_waitcnt vmcnt(0)
	v_cmp_lt_i16_e32 vcc, s2, v3
	s_mov_b64 s[2:3], 0
	s_and_saveexec_b64 s[8:9], vcc
	s_xor_b64 s[8:9], exec, s[8:9]
	s_cbranch_execz .LBB7_890
; %bb.887:
	s_movk_i32 s2, 0x80
	v_cmp_eq_u16_e32 vcc, s2, v3
	s_mov_b64 s[2:3], -1
	s_and_saveexec_b64 s[10:11], vcc
; %bb.888:
	s_xor_b64 s[2:3], exec, -1
; %bb.889:
	s_or_b64 exec, exec, s[10:11]
	s_and_b64 s[2:3], s[2:3], exec
.LBB7_890:
	s_or_saveexec_b64 s[8:9], s[8:9]
	v_bfrev_b32_e32 v6, 4
	v_mov_b32_e32 v7, 0x7ff80000
	s_xor_b64 exec, exec, s[8:9]
; %bb.891:
	v_cmp_ne_u16_e32 vcc, 0, v3
	v_mov_b32_e32 v6, 0
	s_andn2_b64 s[2:3], s[2:3], exec
	s_and_b64 s[10:11], vcc, exec
	v_mov_b32_e32 v7, 0
	s_or_b64 s[2:3], s[2:3], s[10:11]
; %bb.892:
	s_or_b64 exec, exec, s[8:9]
	s_and_saveexec_b64 s[8:9], s[2:3]
	s_cbranch_execz .LBB7_894
; %bb.893:
	v_lshlrev_b32_e32 v4, 24, v3
	v_and_b32_e32 v3, 0xffff, v3
	v_and_b32_e32 v5, 3, v3
	v_ffbh_u32_e32 v7, v5
	v_min_u32_e32 v7, 32, v7
	v_subrev_u32_e32 v8, 29, v7
	v_bfe_u32 v6, v3, 2, 5
	v_lshlrev_b32_e32 v3, v8, v3
	v_sub_u32_e32 v7, 30, v7
	v_and_b32_e32 v3, 3, v3
	v_cmp_eq_u32_e32 vcc, 0, v6
	v_cndmask_b32_e32 v6, v6, v7, vcc
	v_cndmask_b32_e32 v3, v5, v3, vcc
	v_mov_b32_e32 v5, 0x37800000
	v_lshlrev_b32_e32 v3, 21, v3
	v_and_b32_e32 v4, 0x80000000, v4
	v_lshl_add_u32 v5, v6, 23, v5
	v_or3_b32 v3, v4, v5, v3
	v_cvt_f64_f32_e32 v[6:7], v3
.LBB7_894:
	s_or_b64 exec, exec, s[8:9]
	s_mov_b64 s[2:3], 0
	s_branch .LBB7_898
.LBB7_895:
	s_mov_b64 s[2:3], -1
                                        ; implicit-def: $vgpr6_vgpr7
	s_branch .LBB7_904
.LBB7_896:
	s_mov_b64 s[2:3], -1
                                        ; implicit-def: $vgpr6_vgpr7
	s_branch .LBB7_901
.LBB7_897:
	s_mov_b64 s[2:3], -1
                                        ; implicit-def: $vgpr6_vgpr7
.LBB7_898:
	s_and_b64 vcc, exec, s[2:3]
	s_cbranch_vccz .LBB7_900
; %bb.899:
	global_load_ubyte v3, v[0:1], off
	s_mov_b32 s2, 0x7f800000
	s_waitcnt vmcnt(0)
	v_lshlrev_b32_e32 v3, 24, v3
	v_and_b32_e32 v4, 0x7f000000, v3
	v_ffbh_u32_e32 v5, v4
	v_min_u32_e32 v5, 32, v5
	v_sub_u32_e64 v5, v5, 4 clamp
	v_lshlrev_b32_e32 v7, v5, v4
	v_lshlrev_b32_e32 v5, 23, v5
	v_lshrrev_b32_e32 v7, 4, v7
	v_add_u32_e32 v6, 0x1000000, v4
	v_sub_u32_e32 v5, v7, v5
	v_ashrrev_i32_e32 v6, 8, v6
	v_add_u32_e32 v5, 0x3c000000, v5
	v_and_or_b32 v5, v6, s2, v5
	v_cmp_ne_u32_e32 vcc, 0, v4
	v_cndmask_b32_e32 v4, 0, v5, vcc
	s_brev_b32 s2, 1
	v_and_or_b32 v3, v3, s2, v4
	v_cvt_f64_f32_e32 v[6:7], v3
.LBB7_900:
	s_mov_b64 s[2:3], 0
.LBB7_901:
	s_andn2_b64 vcc, exec, s[2:3]
	s_cbranch_vccnz .LBB7_903
; %bb.902:
	global_load_ubyte v3, v[0:1], off
	s_movk_i32 s2, 0x7f00
	s_brev_b32 s3, 16
	s_waitcnt vmcnt(0)
	v_lshlrev_b16_e32 v4, 8, v3
	v_lshlrev_b32_e32 v3, 25, v3
	v_lshrrev_b32_e32 v5, 4, v3
	v_and_or_b32 v6, v4, s2, 0.5
	v_or_b32_e32 v5, 0x70000000, v5
	v_add_f32_e32 v6, -0.5, v6
	v_mul_f32_e32 v5, 0x7800000, v5
	v_cmp_gt_u32_e32 vcc, s3, v3
	v_bfe_i32 v4, v4, 0, 16
	v_cndmask_b32_e32 v3, v5, v6, vcc
	s_brev_b32 s2, 1
	v_and_or_b32 v3, v4, s2, v3
	v_cvt_f64_f32_e32 v[6:7], v3
.LBB7_903:
	s_mov_b64 s[2:3], 0
	s_mov_b64 s[8:9], -1
.LBB7_904:
	s_andn2_b64 vcc, exec, s[2:3]
	s_mov_b64 s[2:3], 0
	s_cbranch_vccnz .LBB7_913
; %bb.905:
	s_cmp_gt_i32 s14, 14
	s_cbranch_scc0 .LBB7_908
; %bb.906:
	s_cmp_eq_u32 s14, 15
	s_cbranch_scc0 .LBB7_909
; %bb.907:
	global_load_ushort v3, v[0:1], off
	s_mov_b64 s[0:1], 0
	s_mov_b64 s[8:9], -1
	s_waitcnt vmcnt(0)
	v_lshlrev_b32_e32 v3, 16, v3
	v_cvt_f64_f32_e32 v[6:7], v3
	s_branch .LBB7_910
.LBB7_908:
	s_mov_b64 s[10:11], -1
                                        ; implicit-def: $vgpr6_vgpr7
	s_branch .LBB7_911
.LBB7_909:
	s_mov_b64 s[0:1], -1
                                        ; implicit-def: $vgpr6_vgpr7
.LBB7_910:
	s_mov_b64 s[10:11], 0
.LBB7_911:
	s_and_b64 vcc, exec, s[10:11]
	s_cbranch_vccz .LBB7_913
; %bb.912:
	s_cmp_lg_u32 s14, 11
	s_cselect_b64 s[10:11], -1, 0
	s_andn2_b64 s[0:1], s[0:1], exec
	s_and_b64 s[10:11], s[10:11], exec
	s_mov_b64 s[2:3], -1
	s_or_b64 s[0:1], s[0:1], s[10:11]
.LBB7_913:
	s_mov_b64 s[12:13], 0
.LBB7_914:
	s_and_b64 s[10:11], s[8:9], exec
	s_and_b64 s[8:9], s[12:13], exec
	s_andn2_b64 s[12:13], s[68:69], exec
	s_and_b64 s[0:1], s[0:1], exec
	s_and_b64 s[2:3], s[2:3], exec
	s_or_b64 s[12:13], s[12:13], s[0:1]
.LBB7_915:
	s_or_b64 exec, exec, s[72:73]
	s_and_b64 s[0:1], s[2:3], exec
	s_andn2_b64 s[2:3], s[68:69], exec
	s_and_b64 s[12:13], s[12:13], exec
	s_and_b64 s[10:11], s[10:11], exec
	s_and_b64 s[8:9], s[8:9], exec
	s_or_b64 s[68:69], s[2:3], s[12:13]
.LBB7_916:
	s_or_b64 exec, exec, s[66:67]
	s_andn2_b64 s[2:3], s[62:63], exec
	s_and_b64 s[12:13], s[70:71], exec
	s_or_b64 s[62:63], s[2:3], s[12:13]
	s_and_b64 s[2:3], s[0:1], exec
	s_andn2_b64 s[0:1], s[60:61], exec
	s_and_b64 s[12:13], s[68:69], exec
	s_and_b64 s[10:11], s[10:11], exec
	;; [unrolled: 1-line block ×3, first 2 shown]
	s_or_b64 s[60:61], s[0:1], s[12:13]
.LBB7_917:
	s_or_b64 exec, exec, s[64:65]
	s_andn2_b64 s[0:1], s[54:55], exec
	s_and_b64 s[12:13], s[62:63], exec
	s_or_b64 s[54:55], s[0:1], s[12:13]
	s_and_b64 s[0:1], s[10:11], exec
	s_and_b64 s[10:11], s[8:9], exec
	s_and_b64 s[62:63], s[2:3], exec
	s_andn2_b64 s[2:3], s[56:57], exec
	s_and_b64 s[8:9], s[60:61], exec
	s_or_b64 s[56:57], s[2:3], s[8:9]
	s_or_b64 exec, exec, s[58:59]
	s_mov_b64 s[2:3], 0
	s_and_saveexec_b64 s[8:9], s[56:57]
	s_cbranch_execz .LBB7_274
.LBB7_918:
	s_mov_b64 s[2:3], exec
	s_andn2_b64 s[62:63], s[62:63], exec
	s_trap 2
	s_or_b64 exec, exec, s[8:9]
	s_and_saveexec_b64 s[8:9], s[62:63]
	s_xor_b64 s[8:9], exec, s[8:9]
	s_cbranch_execnz .LBB7_275
.LBB7_919:
	s_or_b64 exec, exec, s[8:9]
	s_and_saveexec_b64 s[8:9], s[10:11]
	s_cbranch_execz .LBB7_965
.LBB7_920:
	s_sext_i32_i16 s10, s76
	s_cmp_lt_i32 s10, 5
	s_cbranch_scc1 .LBB7_925
; %bb.921:
	s_cmp_lt_i32 s10, 8
	s_cbranch_scc1 .LBB7_926
; %bb.922:
	;; [unrolled: 3-line block ×3, first 2 shown]
	s_cmp_gt_i32 s10, 9
	s_cbranch_scc0 .LBB7_928
; %bb.924:
	global_load_dwordx2 v[6:7], v[0:1], off
	s_mov_b64 s[10:11], 0
	s_branch .LBB7_929
.LBB7_925:
                                        ; implicit-def: $vgpr6_vgpr7
	s_branch .LBB7_946
.LBB7_926:
                                        ; implicit-def: $vgpr6_vgpr7
	s_branch .LBB7_935
.LBB7_927:
	s_mov_b64 s[10:11], -1
                                        ; implicit-def: $vgpr6_vgpr7
	s_branch .LBB7_932
.LBB7_928:
	s_mov_b64 s[10:11], -1
                                        ; implicit-def: $vgpr6_vgpr7
.LBB7_929:
	s_andn2_b64 vcc, exec, s[10:11]
	s_cbranch_vccnz .LBB7_931
; %bb.930:
	global_load_dword v3, v[0:1], off
	s_waitcnt vmcnt(0)
	v_cvt_f64_f32_e32 v[6:7], v3
.LBB7_931:
	s_mov_b64 s[10:11], 0
.LBB7_932:
	s_andn2_b64 vcc, exec, s[10:11]
	s_cbranch_vccnz .LBB7_934
; %bb.933:
	global_load_dword v3, v[0:1], off
	s_waitcnt vmcnt(0)
	v_cvt_f32_f16_e32 v3, v3
	v_cvt_f64_f32_e32 v[6:7], v3
.LBB7_934:
	s_cbranch_execnz .LBB7_945
.LBB7_935:
	s_sext_i32_i16 s10, s76
	s_cmp_lt_i32 s10, 6
	s_cbranch_scc1 .LBB7_938
; %bb.936:
	s_cmp_gt_i32 s10, 6
	s_cbranch_scc0 .LBB7_939
; %bb.937:
	global_load_dwordx2 v[6:7], v[0:1], off
	s_mov_b64 s[10:11], 0
	s_branch .LBB7_940
.LBB7_938:
	s_mov_b64 s[10:11], -1
                                        ; implicit-def: $vgpr6_vgpr7
	s_branch .LBB7_943
.LBB7_939:
	s_mov_b64 s[10:11], -1
                                        ; implicit-def: $vgpr6_vgpr7
.LBB7_940:
	s_andn2_b64 vcc, exec, s[10:11]
	s_cbranch_vccnz .LBB7_942
; %bb.941:
	global_load_dword v3, v[0:1], off
	s_waitcnt vmcnt(0)
	v_cvt_f64_f32_e32 v[6:7], v3
.LBB7_942:
	s_mov_b64 s[10:11], 0
.LBB7_943:
	s_andn2_b64 vcc, exec, s[10:11]
	s_cbranch_vccnz .LBB7_945
; %bb.944:
	global_load_ushort v3, v[0:1], off
	s_waitcnt vmcnt(0)
	v_cvt_f32_f16_e32 v3, v3
	v_cvt_f64_f32_e32 v[6:7], v3
.LBB7_945:
	s_cbranch_execnz .LBB7_964
.LBB7_946:
	s_sext_i32_i16 s10, s76
	s_cmp_lt_i32 s10, 2
	s_cbranch_scc1 .LBB7_950
; %bb.947:
	s_cmp_lt_i32 s10, 3
	s_cbranch_scc1 .LBB7_951
; %bb.948:
	s_cmp_gt_i32 s10, 3
	s_cbranch_scc0 .LBB7_952
; %bb.949:
	global_load_dwordx2 v[3:4], v[0:1], off
	s_mov_b64 s[10:11], 0
	s_waitcnt vmcnt(0)
	v_cvt_f64_i32_e32 v[4:5], v4
	v_cvt_f64_u32_e32 v[6:7], v3
	v_ldexp_f64 v[4:5], v[4:5], 32
	v_add_f64 v[6:7], v[4:5], v[6:7]
	s_branch .LBB7_953
.LBB7_950:
                                        ; implicit-def: $vgpr6_vgpr7
	s_branch .LBB7_959
.LBB7_951:
	s_mov_b64 s[10:11], -1
                                        ; implicit-def: $vgpr6_vgpr7
	s_branch .LBB7_956
.LBB7_952:
	s_mov_b64 s[10:11], -1
                                        ; implicit-def: $vgpr6_vgpr7
.LBB7_953:
	s_andn2_b64 vcc, exec, s[10:11]
	s_cbranch_vccnz .LBB7_955
; %bb.954:
	global_load_dword v3, v[0:1], off
	s_waitcnt vmcnt(0)
	v_cvt_f64_i32_e32 v[6:7], v3
.LBB7_955:
	s_mov_b64 s[10:11], 0
.LBB7_956:
	s_andn2_b64 vcc, exec, s[10:11]
	s_cbranch_vccnz .LBB7_958
; %bb.957:
	global_load_sshort v3, v[0:1], off
	s_waitcnt vmcnt(0)
	v_cvt_f64_i32_e32 v[6:7], v3
.LBB7_958:
	s_cbranch_execnz .LBB7_964
.LBB7_959:
	s_sext_i32_i16 s10, s76
	s_cmp_gt_i32 s10, 0
	s_cbranch_scc0 .LBB7_961
; %bb.960:
	global_load_sbyte v3, v[0:1], off
	s_mov_b64 s[10:11], 0
	s_waitcnt vmcnt(0)
	v_cvt_f64_i32_e32 v[6:7], v3
	s_branch .LBB7_962
.LBB7_961:
	s_mov_b64 s[10:11], -1
                                        ; implicit-def: $vgpr6_vgpr7
.LBB7_962:
	s_andn2_b64 vcc, exec, s[10:11]
	s_cbranch_vccnz .LBB7_964
; %bb.963:
	global_load_ubyte v0, v[0:1], off
	s_waitcnt vmcnt(0)
	v_cvt_f64_u32_e32 v[6:7], v0
.LBB7_964:
	s_or_b64 s[0:1], s[0:1], exec
.LBB7_965:
	s_or_b64 exec, exec, s[8:9]
	s_mov_b64 s[12:13], 0
	s_mov_b64 s[10:11], 0
                                        ; implicit-def: $sgpr18
                                        ; implicit-def: $vgpr4_vgpr5
                                        ; implicit-def: $vgpr0_vgpr1
	s_and_saveexec_b64 s[8:9], s[0:1]
	s_cbranch_execz .LBB7_973
; %bb.966:
	s_waitcnt vmcnt(0)
	v_cmp_nge_f64_e64 s[0:1], v[6:7], -s[44:45]
	v_cmp_nge_f64_e32 vcc, s[44:45], v[6:7]
	v_mov_b32_e32 v3, s25
	s_and_b32 s18, s75, 0xff
	s_or_b64 vcc, s[0:1], vcc
	v_cndmask_b32_e32 v1, 0, v7, vcc
	v_cndmask_b32_e32 v0, 0, v6, vcc
	v_add_co_u32_e32 v4, vcc, s24, v2
	s_cmp_lt_i32 s18, 11
	v_addc_co_u32_e32 v5, vcc, 0, v3, vcc
	s_cbranch_scc1 .LBB7_976
; %bb.967:
	s_and_b32 s19, 0xffff, s18
	s_mov_b64 s[12:13], -1
	s_cmp_gt_i32 s19, 25
	s_mov_b64 s[0:1], s[54:55]
	s_cbranch_scc0 .LBB7_1004
; %bb.968:
	s_mov_b64 s[10:11], -1
	s_cmp_gt_i32 s19, 28
	s_mov_b64 s[0:1], s[54:55]
	s_cbranch_scc0 .LBB7_988
; %bb.969:
	s_cmp_gt_i32 s19, 43
	s_mov_b64 s[0:1], s[54:55]
	s_cbranch_scc0 .LBB7_984
; %bb.970:
	;; [unrolled: 4-line block ×3, first 2 shown]
	s_cmp_eq_u32 s19, 46
	s_mov_b64 s[0:1], -1
	s_cbranch_scc0 .LBB7_977
; %bb.972:
	v_cvt_f32_f64_e32 v2, v[0:1]
	s_movk_i32 s0, 0x7fff
	v_mov_b32_e32 v3, 0x7fc0
	s_mov_b64 s[10:11], 0
	v_bfe_u32 v6, v2, 16, 1
	v_cmp_o_f32_e32 vcc, v2, v2
	v_add3_u32 v2, v2, v6, s0
	v_cndmask_b32_sdwa v2, v3, v2, vcc dst_sel:DWORD dst_unused:UNUSED_PAD src0_sel:DWORD src1_sel:WORD_1
	global_store_dword v[4:5], v2, off
	s_mov_b64 s[0:1], 0
	s_branch .LBB7_978
.LBB7_973:
	s_or_b64 exec, exec, s[8:9]
	s_and_saveexec_b64 s[0:1], s[54:55]
	s_cbranch_execnz .LBB7_1046
.LBB7_974:
	s_or_b64 exec, exec, s[0:1]
	s_and_saveexec_b64 s[0:1], s[12:13]
	s_xor_b64 s[0:1], exec, s[0:1]
	s_cbranch_execz .LBB7_1047
.LBB7_975:
	v_cmp_neq_f64_e32 vcc, 0, v[0:1]
	v_cndmask_b32_e64 v2, 0, 1, vcc
	s_waitcnt vmcnt(0)
	global_store_byte v[4:5], v2, off
	s_or_b64 exec, exec, s[0:1]
	s_and_saveexec_b64 s[0:1], s[10:11]
	s_xor_b64 s[0:1], exec, s[0:1]
	s_cbranch_execz .LBB7_1085
	s_branch .LBB7_1048
.LBB7_976:
	s_mov_b64 s[10:11], -1
	s_mov_b64 s[0:1], s[54:55]
	s_branch .LBB7_1045
.LBB7_977:
	s_mov_b64 s[10:11], 0
.LBB7_978:
	s_and_b64 vcc, exec, s[10:11]
	s_cbranch_vccz .LBB7_983
; %bb.979:
	s_cmp_eq_u32 s19, 44
	s_mov_b64 s[0:1], -1
	s_cbranch_scc0 .LBB7_983
; %bb.980:
	v_cvt_f32_f64_e32 v2, v[0:1]
	s_movk_i32 s0, 0xff
	v_mov_b32_e32 v6, 0xff
	v_bfe_u32 v3, v2, 23, 8
	v_cmp_ne_u32_e32 vcc, s0, v3
	s_and_saveexec_b64 s[10:11], vcc
; %bb.981:
	s_mov_b32 s0, 0x3fffff
	v_lshrrev_b32_e32 v6, 23, v2
	v_and_b32_e32 v7, 0x400000, v2
	v_and_or_b32 v2, v2, s0, v3
	v_cmp_ne_u32_e32 vcc, 0, v7
	v_cmp_ne_u32_e64 s[0:1], 0, v2
	s_and_b64 s[0:1], vcc, s[0:1]
	v_cndmask_b32_e64 v2, 0, 1, s[0:1]
	v_add_u32_e32 v6, v6, v2
; %bb.982:
	s_or_b64 exec, exec, s[10:11]
	s_mov_b64 s[0:1], 0
	global_store_byte v[4:5], v6, off
.LBB7_983:
	s_mov_b64 s[10:11], 0
.LBB7_984:
	s_and_b64 vcc, exec, s[10:11]
	s_cbranch_vccz .LBB7_987
; %bb.985:
	s_cmp_eq_u32 s19, 29
	s_mov_b64 s[0:1], -1
	s_cbranch_scc0 .LBB7_987
; %bb.986:
	v_trunc_f64_e32 v[2:3], v[0:1]
	s_movk_i32 s0, 0xffe0
	s_mov_b64 s[10:11], 0
	v_ldexp_f64 v[6:7], v[2:3], s0
	s_mov_b32 s0, 0
	s_mov_b32 s1, 0xc1f00000
	v_floor_f64_e32 v[6:7], v[6:7]
	v_fma_f64 v[2:3], v[6:7], s[0:1], v[2:3]
	v_cvt_u32_f64_e32 v7, v[6:7]
	s_mov_b64 s[0:1], 0
	v_cvt_u32_f64_e32 v6, v[2:3]
	global_store_dwordx2 v[4:5], v[6:7], off
	s_branch .LBB7_988
.LBB7_987:
	s_mov_b64 s[10:11], 0
.LBB7_988:
	s_and_b64 vcc, exec, s[10:11]
	s_cbranch_vccz .LBB7_1003
; %bb.989:
	s_cmp_lt_i32 s19, 27
	s_mov_b64 s[10:11], -1
	s_cbranch_scc1 .LBB7_995
; %bb.990:
	s_cmp_gt_i32 s19, 27
	s_cbranch_scc0 .LBB7_992
; %bb.991:
	v_cvt_u32_f64_e32 v2, v[0:1]
	s_mov_b64 s[10:11], 0
	global_store_dword v[4:5], v2, off
.LBB7_992:
	s_andn2_b64 vcc, exec, s[10:11]
	s_cbranch_vccnz .LBB7_994
; %bb.993:
	v_cvt_u32_f64_e32 v2, v[0:1]
	global_store_short v[4:5], v2, off
.LBB7_994:
	s_mov_b64 s[10:11], 0
.LBB7_995:
	s_andn2_b64 vcc, exec, s[10:11]
	s_cbranch_vccnz .LBB7_1003
; %bb.996:
	v_cvt_f32_f64_e32 v2, v[0:1]
	s_mov_b32 s10, 0x43800000
	v_mov_b32_e32 v6, 0x80
	v_and_b32_e32 v3, 0x7fffffff, v2
	v_cmp_gt_u32_e32 vcc, s10, v3
	s_and_saveexec_b64 s[10:11], vcc
	s_cbranch_execz .LBB7_1002
; %bb.997:
	s_mov_b32 s12, 0x3bffffff
	v_cmp_lt_u32_e32 vcc, s12, v3
	s_mov_b64 s[12:13], 0
                                        ; implicit-def: $vgpr3
	s_and_saveexec_b64 s[14:15], vcc
	s_xor_b64 s[14:15], exec, s[14:15]
	s_cbranch_execz .LBB7_1156
; %bb.998:
	v_bfe_u32 v3, v2, 20, 1
	s_mov_b32 s16, 0x487ffff
	v_add3_u32 v3, v2, v3, s16
	s_mov_b64 s[12:13], exec
	v_lshrrev_b32_e32 v3, 20, v3
	s_andn2_saveexec_b64 s[14:15], s[14:15]
	s_cbranch_execnz .LBB7_1157
.LBB7_999:
	s_or_b64 exec, exec, s[14:15]
	v_mov_b32_e32 v6, 0
	s_and_saveexec_b64 s[14:15], s[12:13]
.LBB7_1000:
	v_lshrrev_b32_e32 v2, 24, v2
	s_movk_i32 s12, 0x80
	v_and_or_b32 v6, v2, s12, v3
.LBB7_1001:
	s_or_b64 exec, exec, s[14:15]
.LBB7_1002:
	s_or_b64 exec, exec, s[10:11]
	global_store_byte v[4:5], v6, off
.LBB7_1003:
	s_mov_b64 s[12:13], 0
.LBB7_1004:
	s_mov_b64 s[10:11], 0
	s_and_b64 vcc, exec, s[12:13]
	s_cbranch_vccz .LBB7_1044
; %bb.1005:
	s_cmp_gt_i32 s19, 22
	s_mov_b64 s[12:13], -1
	s_cbranch_scc0 .LBB7_1037
; %bb.1006:
	s_cmp_lt_i32 s19, 24
	s_cbranch_scc1 .LBB7_1026
; %bb.1007:
	s_cmp_gt_i32 s19, 24
	s_cbranch_scc0 .LBB7_1015
; %bb.1008:
	v_cvt_f32_f64_e32 v2, v[0:1]
	s_mov_b32 s12, 0x47800000
	v_mov_b32_e32 v6, 0x80
	v_and_b32_e32 v3, 0x7fffffff, v2
	v_cmp_gt_u32_e32 vcc, s12, v3
	s_and_saveexec_b64 s[12:13], vcc
	s_cbranch_execz .LBB7_1014
; %bb.1009:
	s_mov_b32 s14, 0x37ffffff
	v_cmp_lt_u32_e32 vcc, s14, v3
	s_mov_b64 s[14:15], 0
                                        ; implicit-def: $vgpr3
	s_and_saveexec_b64 s[16:17], vcc
	s_xor_b64 s[16:17], exec, s[16:17]
	s_cbranch_execz .LBB7_1281
; %bb.1010:
	v_bfe_u32 v3, v2, 21, 1
	s_mov_b32 s20, 0x88fffff
	v_add3_u32 v3, v2, v3, s20
	s_mov_b64 s[14:15], exec
	v_lshrrev_b32_e32 v3, 21, v3
	s_andn2_saveexec_b64 s[16:17], s[16:17]
	s_cbranch_execnz .LBB7_1282
.LBB7_1011:
	s_or_b64 exec, exec, s[16:17]
	v_mov_b32_e32 v6, 0
	s_and_saveexec_b64 s[16:17], s[14:15]
.LBB7_1012:
	v_lshrrev_b32_e32 v2, 24, v2
	s_movk_i32 s14, 0x80
	v_and_or_b32 v6, v2, s14, v3
.LBB7_1013:
	s_or_b64 exec, exec, s[16:17]
.LBB7_1014:
	s_or_b64 exec, exec, s[12:13]
	s_mov_b64 s[12:13], 0
	global_store_byte v[4:5], v6, off
.LBB7_1015:
	s_and_b64 vcc, exec, s[12:13]
	s_cbranch_vccz .LBB7_1025
; %bb.1016:
	v_cvt_f32_f64_e32 v2, v[0:1]
	s_mov_b32 s12, 0x43f00000
                                        ; implicit-def: $vgpr3
	v_and_b32_e32 v6, 0x7fffffff, v2
	v_cmp_gt_u32_e32 vcc, s12, v6
	s_and_saveexec_b64 s[12:13], vcc
	s_xor_b64 s[12:13], exec, s[12:13]
	s_cbranch_execz .LBB7_1022
; %bb.1017:
	s_mov_b32 s14, 0x3c7fffff
	v_cmp_lt_u32_e32 vcc, s14, v6
                                        ; implicit-def: $vgpr3
	s_and_saveexec_b64 s[14:15], vcc
	s_xor_b64 s[14:15], exec, s[14:15]
; %bb.1018:
	v_bfe_u32 v3, v2, 20, 1
	s_mov_b32 s16, 0x407ffff
	v_add3_u32 v3, v2, v3, s16
	v_lshrrev_b32_e32 v6, 20, v3
	v_and_b32_e32 v3, 0xff00000, v3
	s_mov_b32 s16, 0x7f00000
	v_mov_b32_e32 v7, 0x7e
	v_cmp_ne_u32_e32 vcc, s16, v3
	v_cndmask_b32_e32 v3, v7, v6, vcc
; %bb.1019:
	s_andn2_saveexec_b64 s[14:15], s[14:15]
; %bb.1020:
	s_mov_b32 s16, 0x46800000
	v_add_f32_e64 v3, |v2|, s16
; %bb.1021:
	s_or_b64 exec, exec, s[14:15]
                                        ; implicit-def: $vgpr6
.LBB7_1022:
	s_andn2_saveexec_b64 s[12:13], s[12:13]
; %bb.1023:
	s_mov_b32 s14, 0x7f800000
	v_mov_b32_e32 v3, 0x7e
	v_mov_b32_e32 v7, 0x7f
	v_cmp_lt_u32_e32 vcc, s14, v6
	v_cndmask_b32_e32 v3, v3, v7, vcc
; %bb.1024:
	s_or_b64 exec, exec, s[12:13]
	v_lshrrev_b32_e32 v2, 24, v2
	s_movk_i32 s12, 0x80
	v_and_or_b32 v2, v2, s12, v3
	global_store_byte v[4:5], v2, off
.LBB7_1025:
	s_mov_b64 s[12:13], 0
.LBB7_1026:
	s_andn2_b64 vcc, exec, s[12:13]
	s_cbranch_vccnz .LBB7_1036
; %bb.1027:
	v_cvt_f32_f64_e32 v2, v[0:1]
	s_mov_b32 s12, 0x47800000
                                        ; implicit-def: $vgpr3
	v_and_b32_e32 v6, 0x7fffffff, v2
	v_cmp_gt_u32_e32 vcc, s12, v6
	s_and_saveexec_b64 s[12:13], vcc
	s_xor_b64 s[12:13], exec, s[12:13]
	s_cbranch_execz .LBB7_1033
; %bb.1028:
	s_mov_b32 s14, 0x387fffff
	v_cmp_lt_u32_e32 vcc, s14, v6
                                        ; implicit-def: $vgpr3
	s_and_saveexec_b64 s[14:15], vcc
	s_xor_b64 s[14:15], exec, s[14:15]
; %bb.1029:
	v_bfe_u32 v3, v2, 21, 1
	s_mov_b32 s16, 0x80fffff
	v_add3_u32 v3, v2, v3, s16
	v_lshrrev_b32_e32 v3, 21, v3
; %bb.1030:
	s_andn2_saveexec_b64 s[14:15], s[14:15]
; %bb.1031:
	s_mov_b32 s16, 0x43000000
	v_add_f32_e64 v3, |v2|, s16
; %bb.1032:
	s_or_b64 exec, exec, s[14:15]
                                        ; implicit-def: $vgpr6
.LBB7_1033:
	s_andn2_saveexec_b64 s[12:13], s[12:13]
; %bb.1034:
	s_mov_b32 s14, 0x7f800000
	v_mov_b32_e32 v3, 0x7c
	v_mov_b32_e32 v7, 0x7f
	v_cmp_lt_u32_e32 vcc, s14, v6
	v_cndmask_b32_e32 v3, v3, v7, vcc
; %bb.1035:
	s_or_b64 exec, exec, s[12:13]
	v_lshrrev_b32_e32 v2, 24, v2
	s_movk_i32 s12, 0x80
	v_and_or_b32 v2, v2, s12, v3
	global_store_byte v[4:5], v2, off
.LBB7_1036:
	s_mov_b64 s[12:13], 0
.LBB7_1037:
	s_andn2_b64 vcc, exec, s[12:13]
	s_mov_b64 s[12:13], 0
	s_cbranch_vccnz .LBB7_1045
; %bb.1038:
	s_cmp_gt_i32 s19, 14
	s_mov_b64 s[14:15], -1
	s_cbranch_scc0 .LBB7_1042
; %bb.1039:
	s_cmp_eq_u32 s19, 15
	s_mov_b64 s[0:1], -1
	s_cbranch_scc0 .LBB7_1041
; %bb.1040:
	v_cvt_f32_f64_e32 v2, v[0:1]
	s_movk_i32 s0, 0x7fff
	v_mov_b32_e32 v3, 0x7fc0
	v_bfe_u32 v6, v2, 16, 1
	v_cmp_o_f32_e32 vcc, v2, v2
	v_add3_u32 v2, v2, v6, s0
	v_cndmask_b32_sdwa v2, v3, v2, vcc dst_sel:DWORD dst_unused:UNUSED_PAD src0_sel:DWORD src1_sel:WORD_1
	global_store_short v[4:5], v2, off
	s_mov_b64 s[0:1], 0
.LBB7_1041:
	s_mov_b64 s[14:15], 0
.LBB7_1042:
	s_and_b64 vcc, exec, s[14:15]
	s_cbranch_vccz .LBB7_1045
; %bb.1043:
	s_cmp_lg_u32 s19, 11
	s_cselect_b64 s[14:15], -1, 0
	s_andn2_b64 s[0:1], s[0:1], exec
	s_and_b64 s[14:15], s[14:15], exec
	s_mov_b64 s[12:13], -1
	s_or_b64 s[0:1], s[0:1], s[14:15]
	s_branch .LBB7_1045
.LBB7_1044:
	s_mov_b64 s[12:13], 0
.LBB7_1045:
	s_andn2_b64 s[14:15], s[54:55], exec
	s_and_b64 s[0:1], s[0:1], exec
	s_and_b64 s[10:11], s[10:11], exec
	;; [unrolled: 1-line block ×3, first 2 shown]
	s_or_b64 s[54:55], s[14:15], s[0:1]
	s_or_b64 exec, exec, s[8:9]
	s_and_saveexec_b64 s[0:1], s[54:55]
	s_cbranch_execz .LBB7_974
.LBB7_1046:
	s_or_b64 s[2:3], s[2:3], exec
	s_andn2_b64 s[12:13], s[12:13], exec
	s_trap 2
	s_or_b64 exec, exec, s[0:1]
	s_and_saveexec_b64 s[0:1], s[12:13]
	s_xor_b64 s[0:1], exec, s[0:1]
	s_cbranch_execnz .LBB7_975
.LBB7_1047:
	s_or_b64 exec, exec, s[0:1]
	s_and_saveexec_b64 s[0:1], s[10:11]
	s_xor_b64 s[0:1], exec, s[0:1]
	s_cbranch_execz .LBB7_1085
.LBB7_1048:
	s_sext_i32_i16 s10, s18
	s_cmp_lt_i32 s10, 5
	s_mov_b64 s[8:9], -1
	s_cbranch_scc1 .LBB7_1069
; %bb.1049:
	s_cmp_lt_i32 s10, 8
	s_cbranch_scc1 .LBB7_1059
; %bb.1050:
	s_cmp_lt_i32 s10, 9
	s_cbranch_scc1 .LBB7_1056
; %bb.1051:
	s_cmp_gt_i32 s10, 9
	s_cbranch_scc0 .LBB7_1053
; %bb.1052:
	v_mov_b32_e32 v2, 0
	s_waitcnt vmcnt(0)
	v_mov_b32_e32 v3, v2
	s_mov_b64 s[8:9], 0
	global_store_dwordx4 v[4:5], v[0:3], off
.LBB7_1053:
	s_andn2_b64 vcc, exec, s[8:9]
	s_cbranch_vccnz .LBB7_1055
; %bb.1054:
	v_cvt_f32_f64_e32 v2, v[0:1]
	s_waitcnt vmcnt(0)
	v_mov_b32_e32 v3, 0
	global_store_dwordx2 v[4:5], v[2:3], off
.LBB7_1055:
	s_mov_b64 s[8:9], 0
.LBB7_1056:
	s_andn2_b64 vcc, exec, s[8:9]
	s_cbranch_vccnz .LBB7_1058
; %bb.1057:
	s_movk_i32 s8, 0x1ff
	v_and_or_b32 v2, v1, s8, v0
	v_cmp_ne_u32_e32 vcc, 0, v2
	v_cndmask_b32_e64 v2, 0, 1, vcc
	s_waitcnt vmcnt(0)
	v_lshrrev_b32_e32 v3, 8, v1
	s_movk_i32 s8, 0xffe
	v_bfe_u32 v6, v1, 20, 11
	v_and_or_b32 v2, v3, s8, v2
	v_sub_u32_e32 v7, 0x3f1, v6
	v_or_b32_e32 v3, 0x1000, v2
	v_med3_i32 v7, v7, 0, 13
	v_lshrrev_b32_e32 v8, v7, v3
	v_lshlrev_b32_e32 v7, v7, v8
	v_cmp_ne_u32_e32 vcc, v7, v3
	v_cndmask_b32_e64 v3, 0, 1, vcc
	v_add_u32_e32 v6, 0xfffffc10, v6
	v_or_b32_e32 v3, v8, v3
	v_lshl_or_b32 v7, v6, 12, v2
	v_cmp_gt_i32_e32 vcc, 1, v6
	v_cndmask_b32_e32 v3, v7, v3, vcc
	v_and_b32_e32 v7, 7, v3
	v_cmp_lt_i32_e32 vcc, 5, v7
	v_cndmask_b32_e64 v8, 0, 1, vcc
	v_cmp_eq_u32_e32 vcc, 3, v7
	v_cndmask_b32_e64 v7, 0, 1, vcc
	v_or_b32_e32 v7, v7, v8
	v_lshrrev_b32_e32 v3, 2, v3
	v_add_u32_e32 v3, v3, v7
	v_mov_b32_e32 v7, 0x7c00
	v_cmp_gt_i32_e32 vcc, 31, v6
	v_cndmask_b32_e32 v3, v7, v3, vcc
	v_mov_b32_e32 v8, 0x7e00
	v_cmp_ne_u32_e32 vcc, 0, v2
	s_movk_i32 s8, 0x40f
	v_cndmask_b32_e32 v2, v7, v8, vcc
	v_cmp_eq_u32_e32 vcc, s8, v6
	v_cndmask_b32_e32 v2, v3, v2, vcc
	v_lshrrev_b32_e32 v3, 16, v1
	s_mov_b32 s8, 0x8000
	v_and_or_b32 v2, v3, s8, v2
	v_and_b32_e32 v2, 0xffff, v2
	global_store_dword v[4:5], v2, off
.LBB7_1058:
	s_mov_b64 s[8:9], 0
.LBB7_1059:
	s_andn2_b64 vcc, exec, s[8:9]
	s_cbranch_vccnz .LBB7_1068
; %bb.1060:
	s_sext_i32_i16 s10, s18
	s_cmp_lt_i32 s10, 6
	s_mov_b64 s[8:9], -1
	s_cbranch_scc1 .LBB7_1066
; %bb.1061:
	s_cmp_gt_i32 s10, 6
	s_cbranch_scc0 .LBB7_1063
; %bb.1062:
	s_mov_b64 s[8:9], 0
	s_waitcnt vmcnt(0)
	global_store_dwordx2 v[4:5], v[0:1], off
.LBB7_1063:
	s_andn2_b64 vcc, exec, s[8:9]
	s_cbranch_vccnz .LBB7_1065
; %bb.1064:
	v_cvt_f32_f64_e32 v2, v[0:1]
	s_waitcnt vmcnt(0)
	global_store_dword v[4:5], v2, off
.LBB7_1065:
	s_mov_b64 s[8:9], 0
.LBB7_1066:
	s_andn2_b64 vcc, exec, s[8:9]
	s_cbranch_vccnz .LBB7_1068
; %bb.1067:
	s_movk_i32 s8, 0x1ff
	v_and_or_b32 v2, v1, s8, v0
	v_cmp_ne_u32_e32 vcc, 0, v2
	v_cndmask_b32_e64 v2, 0, 1, vcc
	s_waitcnt vmcnt(0)
	v_lshrrev_b32_e32 v3, 8, v1
	s_movk_i32 s8, 0xffe
	v_bfe_u32 v6, v1, 20, 11
	v_and_or_b32 v2, v3, s8, v2
	v_sub_u32_e32 v7, 0x3f1, v6
	v_or_b32_e32 v3, 0x1000, v2
	v_med3_i32 v7, v7, 0, 13
	v_lshrrev_b32_e32 v8, v7, v3
	v_lshlrev_b32_e32 v7, v7, v8
	v_cmp_ne_u32_e32 vcc, v7, v3
	v_cndmask_b32_e64 v3, 0, 1, vcc
	v_add_u32_e32 v6, 0xfffffc10, v6
	v_or_b32_e32 v3, v8, v3
	v_lshl_or_b32 v7, v6, 12, v2
	v_cmp_gt_i32_e32 vcc, 1, v6
	v_cndmask_b32_e32 v3, v7, v3, vcc
	v_and_b32_e32 v7, 7, v3
	v_cmp_lt_i32_e32 vcc, 5, v7
	v_cndmask_b32_e64 v8, 0, 1, vcc
	v_cmp_eq_u32_e32 vcc, 3, v7
	v_cndmask_b32_e64 v7, 0, 1, vcc
	v_or_b32_e32 v7, v7, v8
	v_lshrrev_b32_e32 v3, 2, v3
	v_add_u32_e32 v3, v3, v7
	v_mov_b32_e32 v7, 0x7c00
	v_cmp_gt_i32_e32 vcc, 31, v6
	v_cndmask_b32_e32 v3, v7, v3, vcc
	v_mov_b32_e32 v8, 0x7e00
	v_cmp_ne_u32_e32 vcc, 0, v2
	s_movk_i32 s8, 0x40f
	v_cndmask_b32_e32 v2, v7, v8, vcc
	v_cmp_eq_u32_e32 vcc, s8, v6
	v_cndmask_b32_e32 v2, v3, v2, vcc
	v_lshrrev_b32_e32 v3, 16, v1
	s_mov_b32 s8, 0x8000
	v_and_or_b32 v2, v3, s8, v2
	global_store_short v[4:5], v2, off
.LBB7_1068:
	s_mov_b64 s[8:9], 0
.LBB7_1069:
	s_andn2_b64 vcc, exec, s[8:9]
	s_cbranch_vccnz .LBB7_1085
; %bb.1070:
	s_sext_i32_i16 s10, s18
	s_cmp_lt_i32 s10, 2
	s_mov_b64 s[8:9], -1
	s_cbranch_scc1 .LBB7_1080
; %bb.1071:
	s_cmp_lt_i32 s10, 3
	s_cbranch_scc1 .LBB7_1077
; %bb.1072:
	s_cmp_gt_i32 s10, 3
	s_cbranch_scc0 .LBB7_1074
; %bb.1073:
	s_waitcnt vmcnt(0)
	v_trunc_f64_e32 v[2:3], v[0:1]
	s_movk_i32 s8, 0xffe0
	v_ldexp_f64 v[6:7], v[2:3], s8
	s_mov_b32 s8, 0
	s_mov_b32 s9, 0xc1f00000
	v_floor_f64_e32 v[6:7], v[6:7]
	v_fma_f64 v[2:3], v[6:7], s[8:9], v[2:3]
	v_cvt_i32_f64_e32 v7, v[6:7]
	s_mov_b64 s[8:9], 0
	v_cvt_u32_f64_e32 v6, v[2:3]
	global_store_dwordx2 v[4:5], v[6:7], off
.LBB7_1074:
	s_andn2_b64 vcc, exec, s[8:9]
	s_cbranch_vccnz .LBB7_1076
; %bb.1075:
	v_cvt_i32_f64_e32 v2, v[0:1]
	s_waitcnt vmcnt(0)
	global_store_dword v[4:5], v2, off
.LBB7_1076:
	s_mov_b64 s[8:9], 0
.LBB7_1077:
	s_andn2_b64 vcc, exec, s[8:9]
	s_cbranch_vccnz .LBB7_1079
; %bb.1078:
	v_cvt_i32_f64_e32 v2, v[0:1]
	s_waitcnt vmcnt(0)
	global_store_short v[4:5], v2, off
.LBB7_1079:
	s_mov_b64 s[8:9], 0
.LBB7_1080:
	s_andn2_b64 vcc, exec, s[8:9]
	s_cbranch_vccnz .LBB7_1085
; %bb.1081:
	s_sext_i32_i16 s8, s18
	s_cmp_gt_i32 s8, 0
	s_mov_b64 s[8:9], -1
	s_cbranch_scc0 .LBB7_1083
; %bb.1082:
	v_cvt_i32_f64_e32 v2, v[0:1]
	s_mov_b64 s[8:9], 0
	s_waitcnt vmcnt(0)
	global_store_byte v[4:5], v2, off
.LBB7_1083:
	s_andn2_b64 vcc, exec, s[8:9]
	s_cbranch_vccnz .LBB7_1085
; %bb.1084:
	v_trunc_f64_e32 v[0:1], v[0:1]
	s_movk_i32 s8, 0xffe0
	s_waitcnt vmcnt(0)
	v_ldexp_f64 v[2:3], v[0:1], s8
	s_mov_b32 s8, 0
	s_mov_b32 s9, 0xc1f00000
	v_floor_f64_e32 v[2:3], v[2:3]
	v_fma_f64 v[0:1], v[2:3], s[8:9], v[0:1]
	v_cvt_u32_f64_e32 v0, v[0:1]
	global_store_byte v[4:5], v0, off
.LBB7_1085:
	s_or_b64 exec, exec, s[0:1]
	s_and_b64 s[28:29], s[2:3], exec
                                        ; implicit-def: $vgpr13
                                        ; implicit-def: $vgpr10
.LBB7_1086:
	s_or_saveexec_b64 s[30:31], s[42:43]
	s_mov_b64 s[0:1], 0
                                        ; implicit-def: $vgpr4_vgpr5
                                        ; implicit-def: $sgpr16
                                        ; implicit-def: $vgpr0_vgpr1
	s_xor_b64 exec, exec, s[30:31]
	s_cbranch_execz .LBB7_2090
; %bb.1087:
	v_cndmask_b32_e64 v0, 0, 1, s[40:41]
	v_cmp_ne_u32_e64 s[0:1], 1, v0
	s_andn2_b64 vcc, exec, s[40:41]
	s_cbranch_vccnz .LBB7_1093
; %bb.1088:
	s_cmp_lg_u32 s33, 0
	s_mov_b32 s36, 0
	s_cbranch_scc0 .LBB7_1094
; %bb.1089:
	s_min_u32 s37, s74, 15
	s_add_i32 s37, s37, 1
	s_cmp_eq_u32 s74, 2
	s_cbranch_scc1 .LBB7_1095
; %bb.1090:
	s_and_b32 s36, s37, 28
	s_add_u32 s2, s34, 0xc4
	s_addc_u32 s3, s35, 0
	v_mov_b32_e32 v0, 0
	s_mov_b32 s38, 0
	s_mov_b64 s[6:7], s[34:35]
	v_mov_b32_e32 v2, 0
	v_mov_b32_e32 v1, v10
.LBB7_1091:                             ; =>This Inner Loop Header: Depth=1
	s_load_dwordx8 s[16:23], s[6:7], 0x4
	s_load_dwordx4 s[24:27], s[6:7], 0x24
	s_load_dwordx8 s[8:15], s[2:3], 0x0
	s_add_u32 s6, s6, 48
	s_addc_u32 s7, s7, 0
	s_waitcnt vmcnt(0) lgkmcnt(0)
	v_mul_hi_u32 v3, s17, v1
	s_add_i32 s38, s38, 4
	s_add_u32 s2, s2, 32
	s_addc_u32 s3, s3, 0
	v_add_u32_e32 v3, v1, v3
	v_lshrrev_b32_e32 v3, s18, v3
	v_mul_lo_u32 v4, v3, s16
	v_mul_hi_u32 v5, s20, v3
	s_cmp_lg_u32 s36, s38
	v_sub_u32_e32 v1, v1, v4
	v_add_u32_e32 v4, v3, v5
	v_mul_lo_u32 v5, v1, s8
	v_mul_lo_u32 v6, v1, s9
	v_lshrrev_b32_e32 v1, s21, v4
	v_mul_lo_u32 v4, v1, s19
	v_mul_hi_u32 v7, s23, v1
	v_sub_u32_e32 v3, v3, v4
	v_add_u32_e32 v4, v1, v7
	v_lshrrev_b32_e32 v4, s24, v4
	v_mul_hi_u32 v8, s26, v4
	v_mul_lo_u32 v9, v4, s22
	v_mul_lo_u32 v7, v3, s10
	;; [unrolled: 1-line block ×3, first 2 shown]
	v_sub_u32_e32 v9, v1, v9
	v_add_u32_e32 v1, v4, v8
	v_lshrrev_b32_e32 v1, s27, v1
	v_mul_lo_u32 v8, v1, s25
	v_mul_lo_u32 v11, v9, s12
	;; [unrolled: 1-line block ×3, first 2 shown]
	v_add3_u32 v2, v5, v2, v7
	v_sub_u32_e32 v4, v4, v8
	v_mul_lo_u32 v8, v4, s14
	v_mul_lo_u32 v4, v4, s15
	v_add3_u32 v0, v6, v0, v3
	v_add3_u32 v2, v11, v2, v8
	;; [unrolled: 1-line block ×3, first 2 shown]
	s_cbranch_scc1 .LBB7_1091
; %bb.1092:
	s_and_b32 s8, s37, 3
	s_cmp_eq_u32 s8, 0
	s_cbranch_scc0 .LBB7_1096
	s_branch .LBB7_1098
.LBB7_1093:
                                        ; implicit-def: $vgpr2
                                        ; implicit-def: $vgpr0
	s_branch .LBB7_1099
.LBB7_1094:
	v_mov_b32_e32 v2, 0
	v_mov_b32_e32 v0, 0
	s_branch .LBB7_1098
.LBB7_1095:
	v_mov_b32_e32 v2, 0
	v_mov_b32_e32 v0, 0
	;; [unrolled: 1-line block ×3, first 2 shown]
	s_and_b32 s8, s37, 3
	s_cmp_eq_u32 s8, 0
	s_cbranch_scc1 .LBB7_1098
.LBB7_1096:
	s_lshl_b32 s2, s36, 3
	s_add_u32 s2, s34, s2
	s_addc_u32 s3, s35, 0
	s_add_u32 s2, s2, 0xc4
	s_addc_u32 s3, s3, 0
	s_mul_i32 s6, s36, 12
	s_add_u32 s6, s34, s6
	s_addc_u32 s7, s35, 0
.LBB7_1097:                             ; =>This Inner Loop Header: Depth=1
	s_load_dwordx2 s[10:11], s[6:7], 0x4
	s_load_dword s9, s[6:7], 0xc
	s_load_dwordx2 s[12:13], s[2:3], 0x0
	s_add_u32 s6, s6, 12
	s_addc_u32 s7, s7, 0
	s_waitcnt vmcnt(0) lgkmcnt(0)
	v_mul_hi_u32 v3, s11, v1
	s_add_u32 s2, s2, 8
	s_addc_u32 s3, s3, 0
	s_add_i32 s8, s8, -1
	v_add_u32_e32 v3, v1, v3
	v_lshrrev_b32_e32 v4, s9, v3
	v_mul_lo_u32 v3, v4, s10
	s_cmp_lg_u32 s8, 0
	v_sub_u32_e32 v1, v1, v3
	v_mad_u64_u32 v[2:3], s[10:11], v1, s12, v[2:3]
	v_mad_u64_u32 v[0:1], s[10:11], v1, s13, v[0:1]
	v_mov_b32_e32 v1, v4
	s_cbranch_scc1 .LBB7_1097
.LBB7_1098:
	s_cbranch_execnz .LBB7_1101
.LBB7_1099:
	s_load_dwordx4 s[8:11], s[34:35], 0x4
	s_load_dwordx2 s[2:3], s[34:35], 0xc4
	s_cmp_lt_u32 s33, 2
	s_waitcnt lgkmcnt(0)
	v_mul_hi_u32 v0, s9, v10
	v_add_u32_e32 v0, v10, v0
	v_lshrrev_b32_e32 v1, s10, v0
	v_mul_lo_u32 v0, v1, s8
	v_sub_u32_e32 v0, v10, v0
	v_mul_lo_u32 v2, v0, s2
	v_mul_lo_u32 v0, v0, s3
	s_cbranch_scc1 .LBB7_1101
; %bb.1100:
	s_load_dwordx4 s[8:11], s[34:35], 0x10
	s_load_dwordx2 s[2:3], s[34:35], 0xcc
	s_waitcnt vmcnt(0) lgkmcnt(0)
	v_mul_hi_u32 v3, s9, v1
	v_add_u32_e32 v3, v1, v3
	v_lshrrev_b32_e32 v3, s10, v3
	v_mul_lo_u32 v3, v3, s8
	v_sub_u32_e32 v1, v1, v3
	v_mad_u64_u32 v[2:3], s[6:7], v1, s2, v[2:3]
	v_mad_u64_u32 v[0:1], s[2:3], v1, s3, v[0:1]
.LBB7_1101:
	s_and_b64 vcc, exec, s[0:1]
	v_add_u32_e32 v1, 0x80, v10
	s_cbranch_vccnz .LBB7_1107
; %bb.1102:
	s_cmp_lg_u32 s33, 0
	s_mov_b32 s36, 0
	s_cbranch_scc0 .LBB7_1108
; %bb.1103:
	s_min_u32 s37, s74, 15
	s_add_i32 s37, s37, 1
	s_cmp_eq_u32 s74, 2
	s_cbranch_scc1 .LBB7_1109
; %bb.1104:
	s_and_b32 s36, s37, 28
	s_add_u32 s2, s34, 0xc4
	s_addc_u32 s3, s35, 0
	v_mov_b32_e32 v11, 0
	s_mov_b32 s38, 0
	s_mov_b64 s[6:7], s[34:35]
	v_mov_b32_e32 v8, 0
	s_waitcnt vmcnt(0)
	v_mov_b32_e32 v3, v1
.LBB7_1105:                             ; =>This Inner Loop Header: Depth=1
	s_load_dwordx8 s[16:23], s[6:7], 0x4
	s_load_dwordx4 s[24:27], s[6:7], 0x24
	s_load_dwordx8 s[8:15], s[2:3], 0x0
	s_add_u32 s6, s6, 48
	s_addc_u32 s7, s7, 0
	s_waitcnt lgkmcnt(0)
	v_mul_hi_u32 v4, s17, v3
	s_add_i32 s38, s38, 4
	s_add_u32 s2, s2, 32
	s_addc_u32 s3, s3, 0
	v_add_u32_e32 v4, v3, v4
	v_lshrrev_b32_e32 v4, s18, v4
	v_mul_lo_u32 v5, v4, s16
	v_mul_hi_u32 v6, s20, v4
	s_cmp_lg_u32 s36, s38
	v_sub_u32_e32 v3, v3, v5
	v_add_u32_e32 v5, v4, v6
	v_mul_lo_u32 v6, v3, s8
	v_mul_lo_u32 v7, v3, s9
	v_lshrrev_b32_e32 v3, s21, v5
	v_mul_lo_u32 v5, v3, s19
	v_mul_hi_u32 v9, s23, v3
	v_sub_u32_e32 v4, v4, v5
	v_add_u32_e32 v5, v3, v9
	v_lshrrev_b32_e32 v5, s24, v5
	v_mul_hi_u32 v12, s26, v5
	v_mul_lo_u32 v14, v5, s22
	v_mul_lo_u32 v9, v4, s10
	;; [unrolled: 1-line block ×3, first 2 shown]
	v_sub_u32_e32 v14, v3, v14
	v_add_u32_e32 v3, v5, v12
	v_lshrrev_b32_e32 v3, s27, v3
	v_mul_lo_u32 v12, v3, s25
	v_mul_lo_u32 v15, v14, s12
	;; [unrolled: 1-line block ×3, first 2 shown]
	v_add3_u32 v6, v6, v8, v9
	v_sub_u32_e32 v5, v5, v12
	v_mul_lo_u32 v12, v5, s14
	v_mul_lo_u32 v5, v5, s15
	v_add3_u32 v4, v7, v11, v4
	v_add3_u32 v8, v15, v6, v12
	;; [unrolled: 1-line block ×3, first 2 shown]
	s_cbranch_scc1 .LBB7_1105
; %bb.1106:
	s_and_b32 s8, s37, 3
	s_cmp_eq_u32 s8, 0
	s_cbranch_scc0 .LBB7_1110
	s_branch .LBB7_1112
.LBB7_1107:
                                        ; implicit-def: $vgpr8
                                        ; implicit-def: $vgpr11
	s_branch .LBB7_1113
.LBB7_1108:
	v_mov_b32_e32 v8, 0
	v_mov_b32_e32 v11, 0
	s_branch .LBB7_1112
.LBB7_1109:
	v_mov_b32_e32 v8, 0
	v_mov_b32_e32 v11, 0
	s_waitcnt vmcnt(0)
	v_mov_b32_e32 v3, v1
	s_and_b32 s8, s37, 3
	s_cmp_eq_u32 s8, 0
	s_cbranch_scc1 .LBB7_1112
.LBB7_1110:
	s_lshl_b32 s2, s36, 3
	s_add_u32 s2, s34, s2
	s_addc_u32 s3, s35, 0
	s_add_u32 s2, s2, 0xc4
	s_addc_u32 s3, s3, 0
	s_mul_i32 s6, s36, 12
	s_add_u32 s6, s34, s6
	s_addc_u32 s7, s35, 0
.LBB7_1111:                             ; =>This Inner Loop Header: Depth=1
	s_load_dwordx2 s[10:11], s[6:7], 0x4
	s_load_dword s9, s[6:7], 0xc
	s_load_dwordx2 s[12:13], s[2:3], 0x0
	s_add_u32 s6, s6, 12
	s_addc_u32 s7, s7, 0
	s_waitcnt lgkmcnt(0)
	v_mul_hi_u32 v4, s11, v3
	s_add_u32 s2, s2, 8
	s_addc_u32 s3, s3, 0
	s_add_i32 s8, s8, -1
	v_add_u32_e32 v4, v3, v4
	v_lshrrev_b32_e32 v4, s9, v4
	v_mul_lo_u32 v5, v4, s10
	s_cmp_lg_u32 s8, 0
	v_sub_u32_e32 v3, v3, v5
	v_mad_u64_u32 v[8:9], s[10:11], v3, s12, v[8:9]
	v_mad_u64_u32 v[11:12], s[10:11], v3, s13, v[11:12]
	v_mov_b32_e32 v3, v4
	s_cbranch_scc1 .LBB7_1111
.LBB7_1112:
	s_cbranch_execnz .LBB7_1115
.LBB7_1113:
	s_load_dwordx4 s[8:11], s[34:35], 0x4
	s_load_dwordx2 s[2:3], s[34:35], 0xc4
	s_cmp_lt_u32 s33, 2
	s_waitcnt vmcnt(0) lgkmcnt(0)
	v_mul_hi_u32 v3, s9, v1
	v_add_u32_e32 v3, v1, v3
	v_lshrrev_b32_e32 v3, s10, v3
	v_mul_lo_u32 v4, v3, s8
	v_sub_u32_e32 v1, v1, v4
	v_mul_lo_u32 v8, v1, s2
	v_mul_lo_u32 v11, v1, s3
	s_cbranch_scc1 .LBB7_1115
; %bb.1114:
	s_load_dwordx4 s[8:11], s[34:35], 0x10
	s_load_dwordx2 s[2:3], s[34:35], 0xcc
	s_waitcnt lgkmcnt(0)
	v_mul_hi_u32 v1, s9, v3
	v_add_u32_e32 v1, v3, v1
	v_lshrrev_b32_e32 v1, s10, v1
	v_mul_lo_u32 v1, v1, s8
	v_sub_u32_e32 v1, v3, v1
	v_mad_u64_u32 v[8:9], s[6:7], v1, s2, v[8:9]
	v_mad_u64_u32 v[11:12], s[2:3], v1, s3, v[11:12]
.LBB7_1115:
	s_and_b64 vcc, exec, s[0:1]
	v_add_u32_e32 v1, 0x100, v10
	s_cbranch_vccnz .LBB7_1121
; %bb.1116:
	s_cmp_lg_u32 s33, 0
	s_mov_b32 s36, 0
	s_cbranch_scc0 .LBB7_1122
; %bb.1117:
	s_min_u32 s37, s74, 15
	s_add_i32 s37, s37, 1
	s_cmp_eq_u32 s74, 2
	s_cbranch_scc1 .LBB7_1123
; %bb.1118:
	s_and_b32 s36, s37, 28
	s_add_u32 s2, s34, 0xc4
	s_addc_u32 s3, s35, 0
	s_waitcnt vmcnt(0)
	v_mov_b32_e32 v3, 0
	s_mov_b32 s38, 0
	s_mov_b64 s[6:7], s[34:35]
	v_mov_b32_e32 v6, 0
	v_mov_b32_e32 v4, v1
.LBB7_1119:                             ; =>This Inner Loop Header: Depth=1
	s_load_dwordx8 s[16:23], s[6:7], 0x4
	s_load_dwordx4 s[24:27], s[6:7], 0x24
	s_load_dwordx8 s[8:15], s[2:3], 0x0
	s_add_u32 s6, s6, 48
	s_addc_u32 s7, s7, 0
	s_waitcnt lgkmcnt(0)
	v_mul_hi_u32 v5, s17, v4
	s_add_i32 s38, s38, 4
	s_add_u32 s2, s2, 32
	s_addc_u32 s3, s3, 0
	v_add_u32_e32 v5, v4, v5
	v_lshrrev_b32_e32 v5, s18, v5
	v_mul_lo_u32 v7, v5, s16
	v_mul_hi_u32 v9, s20, v5
	s_cmp_lg_u32 s36, s38
	v_sub_u32_e32 v4, v4, v7
	v_add_u32_e32 v7, v5, v9
	v_mul_lo_u32 v9, v4, s8
	v_mul_lo_u32 v10, v4, s9
	v_lshrrev_b32_e32 v4, s21, v7
	v_mul_lo_u32 v7, v4, s19
	v_mul_hi_u32 v12, s23, v4
	v_sub_u32_e32 v5, v5, v7
	v_add_u32_e32 v7, v4, v12
	v_lshrrev_b32_e32 v7, s24, v7
	v_mul_hi_u32 v14, s26, v7
	v_mul_lo_u32 v15, v7, s22
	v_mul_lo_u32 v12, v5, s10
	;; [unrolled: 1-line block ×3, first 2 shown]
	v_sub_u32_e32 v15, v4, v15
	v_add_u32_e32 v4, v7, v14
	v_lshrrev_b32_e32 v4, s27, v4
	v_mul_lo_u32 v14, v4, s25
	v_mul_lo_u32 v16, v15, s12
	;; [unrolled: 1-line block ×3, first 2 shown]
	v_add3_u32 v6, v9, v6, v12
	v_sub_u32_e32 v7, v7, v14
	v_mul_lo_u32 v14, v7, s14
	v_mul_lo_u32 v7, v7, s15
	v_add3_u32 v3, v10, v3, v5
	v_add3_u32 v6, v16, v6, v14
	;; [unrolled: 1-line block ×3, first 2 shown]
	s_cbranch_scc1 .LBB7_1119
; %bb.1120:
	s_and_b32 s8, s37, 3
	s_cmp_eq_u32 s8, 0
	s_cbranch_scc0 .LBB7_1124
	s_branch .LBB7_1126
.LBB7_1121:
                                        ; implicit-def: $vgpr6
                                        ; implicit-def: $vgpr3
	s_branch .LBB7_1127
.LBB7_1122:
	s_waitcnt vmcnt(0)
	v_mov_b32_e32 v6, 0
	v_mov_b32_e32 v3, 0
	s_branch .LBB7_1126
.LBB7_1123:
	s_waitcnt vmcnt(0)
	v_mov_b32_e32 v6, 0
	v_mov_b32_e32 v3, 0
	;; [unrolled: 1-line block ×3, first 2 shown]
	s_and_b32 s8, s37, 3
	s_cmp_eq_u32 s8, 0
	s_cbranch_scc1 .LBB7_1126
.LBB7_1124:
	s_lshl_b32 s2, s36, 3
	s_add_u32 s2, s34, s2
	s_addc_u32 s3, s35, 0
	s_add_u32 s2, s2, 0xc4
	s_addc_u32 s3, s3, 0
	s_mul_i32 s6, s36, 12
	s_add_u32 s6, s34, s6
	s_addc_u32 s7, s35, 0
.LBB7_1125:                             ; =>This Inner Loop Header: Depth=1
	s_load_dwordx2 s[10:11], s[6:7], 0x4
	s_load_dword s9, s[6:7], 0xc
	s_load_dwordx2 s[12:13], s[2:3], 0x0
	s_add_u32 s6, s6, 12
	s_addc_u32 s7, s7, 0
	s_waitcnt lgkmcnt(0)
	v_mul_hi_u32 v5, s11, v4
	s_add_u32 s2, s2, 8
	s_addc_u32 s3, s3, 0
	s_add_i32 s8, s8, -1
	v_add_u32_e32 v5, v4, v5
	v_lshrrev_b32_e32 v5, s9, v5
	v_mul_lo_u32 v7, v5, s10
	s_cmp_lg_u32 s8, 0
	v_sub_u32_e32 v4, v4, v7
	v_mad_u64_u32 v[6:7], s[10:11], v4, s12, v[6:7]
	v_mad_u64_u32 v[3:4], s[10:11], v4, s13, v[3:4]
	v_mov_b32_e32 v4, v5
	s_cbranch_scc1 .LBB7_1125
.LBB7_1126:
	s_cbranch_execnz .LBB7_1129
.LBB7_1127:
	s_load_dwordx4 s[8:11], s[34:35], 0x4
	s_load_dwordx2 s[2:3], s[34:35], 0xc4
	s_cmp_lt_u32 s33, 2
	s_waitcnt vmcnt(0) lgkmcnt(0)
	v_mul_hi_u32 v3, s9, v1
	v_add_u32_e32 v3, v1, v3
	v_lshrrev_b32_e32 v4, s10, v3
	v_mul_lo_u32 v3, v4, s8
	v_sub_u32_e32 v1, v1, v3
	v_mul_lo_u32 v6, v1, s2
	v_mul_lo_u32 v3, v1, s3
	s_cbranch_scc1 .LBB7_1129
; %bb.1128:
	s_load_dwordx4 s[8:11], s[34:35], 0x10
	s_load_dwordx2 s[2:3], s[34:35], 0xcc
	s_waitcnt lgkmcnt(0)
	v_mul_hi_u32 v1, s9, v4
	v_add_u32_e32 v1, v4, v1
	v_lshrrev_b32_e32 v1, s10, v1
	v_mul_lo_u32 v1, v1, s8
	v_sub_u32_e32 v1, v4, v1
	v_mad_u64_u32 v[6:7], s[6:7], v1, s2, v[6:7]
	v_mad_u64_u32 v[3:4], s[2:3], v1, s3, v[3:4]
.LBB7_1129:
	s_and_b64 vcc, exec, s[0:1]
	s_cbranch_vccnz .LBB7_1135
; %bb.1130:
	s_cmp_lg_u32 s33, 0
	s_mov_b32 s26, 0
	s_cbranch_scc0 .LBB7_1136
; %bb.1131:
	s_min_u32 s27, s74, 15
	s_add_i32 s27, s27, 1
	s_cmp_eq_u32 s74, 2
	s_cbranch_scc1 .LBB7_1137
; %bb.1132:
	s_and_b32 s26, s27, 28
	s_add_u32 s6, s34, 0xc4
	s_addc_u32 s7, s35, 0
	v_mov_b32_e32 v9, 0
	s_mov_b32 s36, 0
	s_mov_b64 s[24:25], s[34:35]
	s_waitcnt vmcnt(0)
	v_mov_b32_e32 v4, 0
	v_mov_b32_e32 v1, v13
.LBB7_1133:                             ; =>This Inner Loop Header: Depth=1
	s_load_dwordx8 s[16:23], s[24:25], 0x4
	s_load_dwordx4 s[0:3], s[24:25], 0x24
	s_load_dwordx8 s[8:15], s[6:7], 0x0
	s_add_u32 s24, s24, 48
	s_addc_u32 s25, s25, 0
	s_waitcnt lgkmcnt(0)
	v_mul_hi_u32 v5, s17, v1
	s_add_i32 s36, s36, 4
	s_add_u32 s6, s6, 32
	s_addc_u32 s7, s7, 0
	v_add_u32_e32 v5, v1, v5
	v_lshrrev_b32_e32 v5, s18, v5
	v_mul_lo_u32 v7, v5, s16
	v_mul_hi_u32 v10, s20, v5
	s_cmp_lg_u32 s26, s36
	v_sub_u32_e32 v1, v1, v7
	v_add_u32_e32 v7, v5, v10
	v_mul_lo_u32 v10, v1, s8
	v_mul_lo_u32 v12, v1, s9
	v_lshrrev_b32_e32 v1, s21, v7
	v_mul_lo_u32 v7, v1, s19
	v_mul_hi_u32 v14, s23, v1
	v_sub_u32_e32 v5, v5, v7
	v_add_u32_e32 v7, v1, v14
	v_lshrrev_b32_e32 v7, s0, v7
	v_mul_hi_u32 v15, s2, v7
	v_mul_lo_u32 v16, v7, s22
	v_mul_lo_u32 v14, v5, s10
	;; [unrolled: 1-line block ×3, first 2 shown]
	v_sub_u32_e32 v16, v1, v16
	v_add_u32_e32 v1, v7, v15
	v_lshrrev_b32_e32 v1, s3, v1
	v_mul_lo_u32 v15, v1, s1
	v_mul_lo_u32 v17, v16, s12
	;; [unrolled: 1-line block ×3, first 2 shown]
	v_add3_u32 v4, v10, v4, v14
	v_sub_u32_e32 v7, v7, v15
	v_mul_lo_u32 v15, v7, s14
	v_mul_lo_u32 v7, v7, s15
	v_add3_u32 v5, v12, v9, v5
	v_add3_u32 v4, v17, v4, v15
	;; [unrolled: 1-line block ×3, first 2 shown]
	s_cbranch_scc1 .LBB7_1133
; %bb.1134:
	s_and_b32 s6, s27, 3
	s_cmp_eq_u32 s6, 0
	s_cbranch_scc0 .LBB7_1138
	s_branch .LBB7_1140
.LBB7_1135:
                                        ; implicit-def: $vgpr4
                                        ; implicit-def: $vgpr9
	s_branch .LBB7_1141
.LBB7_1136:
	s_waitcnt vmcnt(0)
	v_mov_b32_e32 v4, 0
	v_mov_b32_e32 v9, 0
	s_branch .LBB7_1140
.LBB7_1137:
	s_waitcnt vmcnt(0)
	v_mov_b32_e32 v4, 0
	v_mov_b32_e32 v9, 0
	;; [unrolled: 1-line block ×3, first 2 shown]
	s_and_b32 s6, s27, 3
	s_cmp_eq_u32 s6, 0
	s_cbranch_scc1 .LBB7_1140
.LBB7_1138:
	s_lshl_b32 s0, s26, 3
	s_add_u32 s0, s34, s0
	s_addc_u32 s1, s35, 0
	s_add_u32 s0, s0, 0xc4
	s_addc_u32 s1, s1, 0
	s_mul_i32 s2, s26, 12
	s_add_u32 s2, s34, s2
	s_addc_u32 s3, s35, 0
.LBB7_1139:                             ; =>This Inner Loop Header: Depth=1
	s_load_dwordx2 s[8:9], s[2:3], 0x4
	s_load_dword s7, s[2:3], 0xc
	s_load_dwordx2 s[10:11], s[0:1], 0x0
	s_add_u32 s2, s2, 12
	s_addc_u32 s3, s3, 0
	s_waitcnt lgkmcnt(0)
	v_mul_hi_u32 v5, s9, v1
	s_add_u32 s0, s0, 8
	s_addc_u32 s1, s1, 0
	s_add_i32 s6, s6, -1
	v_add_u32_e32 v5, v1, v5
	v_lshrrev_b32_e32 v7, s7, v5
	v_mul_lo_u32 v5, v7, s8
	s_cmp_lg_u32 s6, 0
	v_sub_u32_e32 v1, v1, v5
	v_mad_u64_u32 v[4:5], s[8:9], v1, s10, v[4:5]
	v_mad_u64_u32 v[9:10], s[8:9], v1, s11, v[9:10]
	v_mov_b32_e32 v1, v7
	s_cbranch_scc1 .LBB7_1139
.LBB7_1140:
	s_cbranch_execnz .LBB7_1143
.LBB7_1141:
	s_load_dwordx4 s[0:3], s[34:35], 0x4
	s_load_dwordx2 s[6:7], s[34:35], 0xc4
	s_cmp_lt_u32 s33, 2
	s_waitcnt lgkmcnt(0)
	v_mul_hi_u32 v1, s1, v13
	v_add_u32_e32 v1, v13, v1
	v_lshrrev_b32_e32 v1, s2, v1
	s_waitcnt vmcnt(0)
	v_mul_lo_u32 v4, v1, s0
	v_sub_u32_e32 v5, v13, v4
	v_mul_lo_u32 v4, v5, s6
	v_mul_lo_u32 v9, v5, s7
	s_cbranch_scc1 .LBB7_1143
; %bb.1142:
	s_load_dwordx4 s[0:3], s[34:35], 0x10
	s_load_dwordx2 s[6:7], s[34:35], 0xcc
	s_waitcnt lgkmcnt(0)
	v_mul_hi_u32 v5, s1, v1
	v_add_u32_e32 v5, v1, v5
	v_lshrrev_b32_e32 v5, s2, v5
	v_mul_lo_u32 v5, v5, s0
	v_sub_u32_e32 v1, v1, v5
	v_mad_u64_u32 v[4:5], s[0:1], v1, s6, v[4:5]
	v_mad_u64_u32 v[9:10], s[0:1], v1, s7, v[9:10]
.LBB7_1143:
	s_load_dwordx4 s[8:11], s[34:35], 0x148
	s_load_dword s14, s[4:5], 0x168
	s_waitcnt lgkmcnt(0)
	v_mov_b32_e32 v1, s11
	s_bfe_u32 s15, s14, 0x80008
	v_add_co_u32_e32 v12, vcc, s10, v0
	s_cmp_lt_i32 s15, 11
	v_addc_co_u32_e32 v13, vcc, 0, v1, vcc
	s_cbranch_scc1 .LBB7_1150
; %bb.1144:
	s_and_b32 s16, 0xffff, s15
	s_cmp_gt_i32 s16, 25
	s_mov_b64 s[4:5], 0
	s_cbranch_scc0 .LBB7_1152
; %bb.1145:
	s_cmp_gt_i32 s16, 28
	s_cbranch_scc0 .LBB7_1153
; %bb.1146:
	s_cmp_gt_i32 s16, 43
	;; [unrolled: 3-line block ×3, first 2 shown]
	s_cbranch_scc0 .LBB7_1155
; %bb.1148:
	s_cmp_eq_u32 s16, 46
	s_mov_b64 s[2:3], 0
	s_cbranch_scc0 .LBB7_1158
; %bb.1149:
	global_load_dword v0, v[12:13], off
	s_mov_b64 s[0:1], 0
	s_mov_b64 s[6:7], -1
	s_waitcnt vmcnt(0)
	v_lshlrev_b32_e32 v0, 16, v0
	v_cvt_f64_f32_e32 v[0:1], v0
	s_branch .LBB7_1159
.LBB7_1150:
	s_mov_b64 s[6:7], 0
                                        ; implicit-def: $vgpr0_vgpr1
	s_mov_b64 s[2:3], s[28:29]
	s_cbranch_execnz .LBB7_1222
.LBB7_1151:
	s_andn2_b64 vcc, exec, s[6:7]
	s_cbranch_vccz .LBB7_1267
	s_branch .LBB7_2088
.LBB7_1152:
	s_mov_b64 s[6:7], 0
	s_mov_b64 s[0:1], 0
                                        ; implicit-def: $vgpr0_vgpr1
	s_cbranch_execnz .LBB7_1189
	s_branch .LBB7_1218
.LBB7_1153:
	s_mov_b64 s[2:3], -1
	s_mov_b64 s[6:7], 0
	s_mov_b64 s[0:1], 0
                                        ; implicit-def: $vgpr0_vgpr1
	s_branch .LBB7_1168
.LBB7_1154:
	s_mov_b64 s[6:7], 0
	s_mov_b64 s[0:1], 0
                                        ; implicit-def: $vgpr0_vgpr1
	s_cbranch_execnz .LBB7_1164
	s_branch .LBB7_1167
.LBB7_1155:
	s_mov_b64 s[2:3], -1
	s_mov_b64 s[6:7], 0
	s_mov_b64 s[0:1], 0
                                        ; implicit-def: $vgpr0_vgpr1
	s_branch .LBB7_1159
.LBB7_1156:
	s_andn2_saveexec_b64 s[14:15], s[14:15]
	s_cbranch_execz .LBB7_999
.LBB7_1157:
	s_mov_b32 s16, 0x46000000
	v_add_f32_e64 v3, |v2|, s16
	v_and_b32_e32 v3, 0xff, v3
	v_cmp_ne_u32_e32 vcc, 0, v3
	s_andn2_b64 s[12:13], s[12:13], exec
	s_and_b64 s[16:17], vcc, exec
	s_or_b64 s[12:13], s[12:13], s[16:17]
	s_or_b64 exec, exec, s[14:15]
	v_mov_b32_e32 v6, 0
	s_and_saveexec_b64 s[14:15], s[12:13]
	s_cbranch_execnz .LBB7_1000
	s_branch .LBB7_1001
.LBB7_1158:
	s_mov_b64 s[0:1], -1
                                        ; implicit-def: $vgpr0_vgpr1
	s_mov_b64 s[6:7], 0
.LBB7_1159:
	s_and_b64 vcc, exec, s[2:3]
	s_cbranch_vccz .LBB7_1162
; %bb.1160:
	s_cmp_eq_u32 s16, 44
	s_cbranch_scc0 .LBB7_1163
; %bb.1161:
	global_load_ubyte v5, v[12:13], off
	s_movk_i32 s2, 0xff
	s_waitcnt vmcnt(1)
	v_bfrev_b32_e32 v7, 4
	v_mov_b32_e32 v10, 0x7ff80000
	v_bfrev_b32_e32 v14, 28
	s_mov_b64 s[0:1], 0
	s_mov_b64 s[6:7], -1
	s_waitcnt vmcnt(0)
	v_lshlrev_b32_e32 v0, 23, v5
	v_cvt_f64_f32_e32 v[0:1], v0
	v_cmp_ne_u32_e32 vcc, s2, v5
	v_cndmask_b32_e32 v0, v7, v0, vcc
	v_cndmask_b32_e32 v1, v10, v1, vcc
	v_cmp_ne_u32_e32 vcc, 0, v5
	v_cndmask_b32_e32 v1, v14, v1, vcc
	v_cndmask_b32_e32 v0, 0, v0, vcc
.LBB7_1162:
	s_branch .LBB7_1167
.LBB7_1163:
	s_mov_b64 s[0:1], -1
                                        ; implicit-def: $vgpr0_vgpr1
	s_branch .LBB7_1167
.LBB7_1164:
	s_cmp_eq_u32 s16, 29
	s_cbranch_scc0 .LBB7_1166
; %bb.1165:
	global_load_dwordx2 v[0:1], v[12:13], off
	s_mov_b64 s[0:1], 0
	s_mov_b64 s[6:7], -1
	s_mov_b64 s[2:3], 0
	s_waitcnt vmcnt(0)
	v_cvt_f64_u32_e32 v[14:15], v1
	v_cvt_f64_u32_e32 v[0:1], v0
	v_ldexp_f64 v[14:15], v[14:15], 32
	v_add_f64 v[0:1], v[14:15], v[0:1]
	s_branch .LBB7_1168
.LBB7_1166:
	s_mov_b64 s[0:1], -1
                                        ; implicit-def: $vgpr0_vgpr1
.LBB7_1167:
	s_mov_b64 s[2:3], 0
.LBB7_1168:
	s_and_b64 vcc, exec, s[2:3]
	s_cbranch_vccz .LBB7_1188
; %bb.1169:
	s_cmp_lt_i32 s16, 27
	s_cbranch_scc1 .LBB7_1172
; %bb.1170:
	s_cmp_gt_i32 s16, 27
	s_cbranch_scc0 .LBB7_1173
; %bb.1171:
	global_load_dword v0, v[12:13], off
	s_mov_b64 s[2:3], 0
	s_waitcnt vmcnt(0)
	v_cvt_f64_u32_e32 v[0:1], v0
	s_branch .LBB7_1174
.LBB7_1172:
	s_mov_b64 s[2:3], -1
                                        ; implicit-def: $vgpr0_vgpr1
	s_branch .LBB7_1177
.LBB7_1173:
	s_mov_b64 s[2:3], -1
                                        ; implicit-def: $vgpr0_vgpr1
.LBB7_1174:
	s_andn2_b64 vcc, exec, s[2:3]
	s_cbranch_vccnz .LBB7_1176
; %bb.1175:
	global_load_ushort v0, v[12:13], off
	s_waitcnt vmcnt(0)
	v_cvt_f64_u32_e32 v[0:1], v0
.LBB7_1176:
	s_mov_b64 s[2:3], 0
.LBB7_1177:
	s_andn2_b64 vcc, exec, s[2:3]
	s_cbranch_vccnz .LBB7_1187
; %bb.1178:
	global_load_ubyte v5, v[12:13], off
	s_movk_i32 s2, 0x7f
	s_waitcnt vmcnt(0)
	v_cmp_lt_i16_e32 vcc, s2, v5
	s_mov_b64 s[2:3], 0
	s_and_saveexec_b64 s[6:7], vcc
	s_xor_b64 s[6:7], exec, s[6:7]
	s_cbranch_execz .LBB7_1182
; %bb.1179:
	s_movk_i32 s2, 0x80
	v_cmp_eq_u16_e32 vcc, s2, v5
	s_mov_b64 s[2:3], -1
	s_and_saveexec_b64 s[12:13], vcc
; %bb.1180:
	s_xor_b64 s[2:3], exec, -1
; %bb.1181:
	s_or_b64 exec, exec, s[12:13]
	s_and_b64 s[2:3], s[2:3], exec
.LBB7_1182:
	s_or_saveexec_b64 s[6:7], s[6:7]
	v_bfrev_b32_e32 v0, 4
	v_mov_b32_e32 v1, 0x7ff80000
	s_xor_b64 exec, exec, s[6:7]
; %bb.1183:
	v_cmp_ne_u16_e32 vcc, 0, v5
	v_mov_b32_e32 v0, 0
	s_andn2_b64 s[2:3], s[2:3], exec
	s_and_b64 s[12:13], vcc, exec
	v_mov_b32_e32 v1, 0
	s_or_b64 s[2:3], s[2:3], s[12:13]
; %bb.1184:
	s_or_b64 exec, exec, s[6:7]
	s_and_saveexec_b64 s[6:7], s[2:3]
	s_cbranch_execz .LBB7_1186
; %bb.1185:
	v_and_b32_e32 v1, 0xffff, v5
	v_lshlrev_b32_e32 v0, 24, v5
	v_and_b32_e32 v5, 7, v1
	v_ffbh_u32_e32 v10, v5
	v_min_u32_e32 v10, 32, v10
	v_subrev_u32_e32 v14, 28, v10
	v_bfe_u32 v7, v1, 3, 4
	v_lshlrev_b32_e32 v1, v14, v1
	v_sub_u32_e32 v10, 29, v10
	v_and_b32_e32 v1, 7, v1
	v_cmp_eq_u32_e32 vcc, 0, v7
	v_cndmask_b32_e32 v7, v7, v10, vcc
	v_cndmask_b32_e32 v1, v5, v1, vcc
	v_mov_b32_e32 v5, 0x3b800000
	v_lshlrev_b32_e32 v1, 20, v1
	v_and_b32_e32 v0, 0x80000000, v0
	v_lshl_add_u32 v5, v7, 23, v5
	v_or3_b32 v0, v0, v5, v1
	v_cvt_f64_f32_e32 v[0:1], v0
.LBB7_1186:
	s_or_b64 exec, exec, s[6:7]
.LBB7_1187:
	s_mov_b64 s[6:7], -1
.LBB7_1188:
	s_branch .LBB7_1218
.LBB7_1189:
	s_cmp_gt_i32 s16, 22
	s_cbranch_scc0 .LBB7_1201
; %bb.1190:
	s_cmp_lt_i32 s16, 24
	s_cbranch_scc1 .LBB7_1202
; %bb.1191:
	s_cmp_gt_i32 s16, 24
	s_cbranch_scc0 .LBB7_1203
; %bb.1192:
	global_load_ubyte v5, v[12:13], off
	s_movk_i32 s2, 0x7f
	s_waitcnt vmcnt(0)
	v_cmp_lt_i16_e32 vcc, s2, v5
	s_mov_b64 s[2:3], 0
	s_and_saveexec_b64 s[4:5], vcc
	s_xor_b64 s[4:5], exec, s[4:5]
	s_cbranch_execz .LBB7_1196
; %bb.1193:
	s_movk_i32 s2, 0x80
	v_cmp_eq_u16_e32 vcc, s2, v5
	s_mov_b64 s[2:3], -1
	s_and_saveexec_b64 s[6:7], vcc
; %bb.1194:
	s_xor_b64 s[2:3], exec, -1
; %bb.1195:
	s_or_b64 exec, exec, s[6:7]
	s_and_b64 s[2:3], s[2:3], exec
.LBB7_1196:
	s_or_saveexec_b64 s[4:5], s[4:5]
	v_bfrev_b32_e32 v0, 4
	v_mov_b32_e32 v1, 0x7ff80000
	s_xor_b64 exec, exec, s[4:5]
; %bb.1197:
	v_cmp_ne_u16_e32 vcc, 0, v5
	v_mov_b32_e32 v0, 0
	s_andn2_b64 s[2:3], s[2:3], exec
	s_and_b64 s[6:7], vcc, exec
	v_mov_b32_e32 v1, 0
	s_or_b64 s[2:3], s[2:3], s[6:7]
; %bb.1198:
	s_or_b64 exec, exec, s[4:5]
	s_and_saveexec_b64 s[4:5], s[2:3]
	s_cbranch_execz .LBB7_1200
; %bb.1199:
	v_and_b32_e32 v1, 0xffff, v5
	v_lshlrev_b32_e32 v0, 24, v5
	v_and_b32_e32 v5, 3, v1
	v_ffbh_u32_e32 v10, v5
	v_min_u32_e32 v10, 32, v10
	v_subrev_u32_e32 v14, 29, v10
	v_bfe_u32 v7, v1, 2, 5
	v_lshlrev_b32_e32 v1, v14, v1
	v_sub_u32_e32 v10, 30, v10
	v_and_b32_e32 v1, 3, v1
	v_cmp_eq_u32_e32 vcc, 0, v7
	v_cndmask_b32_e32 v7, v7, v10, vcc
	v_cndmask_b32_e32 v1, v5, v1, vcc
	v_mov_b32_e32 v5, 0x37800000
	v_lshlrev_b32_e32 v1, 21, v1
	v_and_b32_e32 v0, 0x80000000, v0
	v_lshl_add_u32 v5, v7, 23, v5
	v_or3_b32 v0, v0, v5, v1
	v_cvt_f64_f32_e32 v[0:1], v0
.LBB7_1200:
	s_or_b64 exec, exec, s[4:5]
	s_mov_b64 s[2:3], 0
	s_branch .LBB7_1204
.LBB7_1201:
                                        ; implicit-def: $vgpr0_vgpr1
	s_mov_b64 s[4:5], 0
	s_branch .LBB7_1210
.LBB7_1202:
	s_mov_b64 s[2:3], -1
                                        ; implicit-def: $vgpr0_vgpr1
	s_branch .LBB7_1207
.LBB7_1203:
	s_mov_b64 s[2:3], -1
                                        ; implicit-def: $vgpr0_vgpr1
.LBB7_1204:
	s_and_b64 vcc, exec, s[2:3]
	s_cbranch_vccz .LBB7_1206
; %bb.1205:
	global_load_ubyte v0, v[12:13], off
	s_mov_b32 s2, 0x7f800000
	s_waitcnt vmcnt(0)
	v_lshlrev_b32_e32 v0, 24, v0
	v_and_b32_e32 v1, 0x7f000000, v0
	v_ffbh_u32_e32 v5, v1
	v_min_u32_e32 v5, 32, v5
	v_sub_u32_e64 v5, v5, 4 clamp
	v_lshlrev_b32_e32 v10, v5, v1
	v_lshlrev_b32_e32 v5, 23, v5
	v_lshrrev_b32_e32 v10, 4, v10
	v_add_u32_e32 v7, 0x1000000, v1
	v_sub_u32_e32 v5, v10, v5
	v_ashrrev_i32_e32 v7, 8, v7
	v_add_u32_e32 v5, 0x3c000000, v5
	v_and_or_b32 v5, v7, s2, v5
	v_cmp_ne_u32_e32 vcc, 0, v1
	v_cndmask_b32_e32 v1, 0, v5, vcc
	s_brev_b32 s2, 1
	v_and_or_b32 v0, v0, s2, v1
	v_cvt_f64_f32_e32 v[0:1], v0
.LBB7_1206:
	s_mov_b64 s[2:3], 0
.LBB7_1207:
	s_andn2_b64 vcc, exec, s[2:3]
	s_cbranch_vccnz .LBB7_1209
; %bb.1208:
	global_load_ubyte v0, v[12:13], off
	s_movk_i32 s2, 0x7f00
	s_brev_b32 s3, 16
	s_waitcnt vmcnt(0)
	v_lshlrev_b16_e32 v1, 8, v0
	v_lshlrev_b32_e32 v0, 25, v0
	v_lshrrev_b32_e32 v5, 4, v0
	v_and_or_b32 v7, v1, s2, 0.5
	v_or_b32_e32 v5, 0x70000000, v5
	v_add_f32_e32 v7, -0.5, v7
	v_mul_f32_e32 v5, 0x7800000, v5
	v_cmp_gt_u32_e32 vcc, s3, v0
	v_bfe_i32 v1, v1, 0, 16
	v_cndmask_b32_e32 v0, v5, v7, vcc
	s_brev_b32 s2, 1
	v_and_or_b32 v0, v1, s2, v0
	v_cvt_f64_f32_e32 v[0:1], v0
.LBB7_1209:
	s_mov_b64 s[6:7], -1
	s_mov_b64 s[4:5], 0
	s_cbranch_execnz .LBB7_1218
.LBB7_1210:
	s_cmp_gt_i32 s16, 14
	s_cbranch_scc0 .LBB7_1213
; %bb.1211:
	s_cmp_eq_u32 s16, 15
	s_cbranch_scc0 .LBB7_1214
; %bb.1212:
	global_load_ushort v0, v[12:13], off
	s_mov_b64 s[0:1], 0
	s_mov_b64 s[6:7], -1
	s_waitcnt vmcnt(0)
	v_lshlrev_b32_e32 v0, 16, v0
	v_cvt_f64_f32_e32 v[0:1], v0
	s_branch .LBB7_1215
.LBB7_1213:
	s_mov_b64 s[2:3], -1
                                        ; implicit-def: $vgpr0_vgpr1
	s_branch .LBB7_1216
.LBB7_1214:
	s_mov_b64 s[0:1], -1
                                        ; implicit-def: $vgpr0_vgpr1
.LBB7_1215:
	s_mov_b64 s[2:3], 0
.LBB7_1216:
	s_and_b64 vcc, exec, s[2:3]
	s_cbranch_vccz .LBB7_1218
; %bb.1217:
	s_cmp_lg_u32 s16, 11
	s_mov_b64 s[4:5], -1
	s_cselect_b64 s[0:1], -1, 0
.LBB7_1218:
	s_and_b64 vcc, exec, s[0:1]
	s_mov_b64 s[2:3], s[28:29]
	s_cbranch_vccnz .LBB7_1279
; %bb.1219:
	s_andn2_b64 vcc, exec, s[4:5]
	s_cbranch_vccnz .LBB7_1221
.LBB7_1220:
	global_load_ubyte v1, v[12:13], off
	v_mov_b32_e32 v5, 0x3ff00000
	v_mov_b32_e32 v0, 0
	s_mov_b64 s[6:7], -1
	s_waitcnt vmcnt(0)
	v_cmp_ne_u16_e32 vcc, 0, v1
	v_cndmask_b32_e32 v1, 0, v5, vcc
.LBB7_1221:
	s_branch .LBB7_1151
.LBB7_1222:
	s_and_b32 s4, 0xffff, s15
	s_cmp_lt_i32 s4, 5
	s_cbranch_scc1 .LBB7_1227
; %bb.1223:
	s_cmp_lt_i32 s4, 8
	s_cbranch_scc1 .LBB7_1228
; %bb.1224:
	;; [unrolled: 3-line block ×3, first 2 shown]
	s_cmp_gt_i32 s4, 9
	s_cbranch_scc0 .LBB7_1230
; %bb.1226:
	global_load_dwordx2 v[0:1], v[12:13], off
	s_mov_b64 s[0:1], 0
	s_branch .LBB7_1231
.LBB7_1227:
                                        ; implicit-def: $vgpr0_vgpr1
	s_branch .LBB7_1248
.LBB7_1228:
                                        ; implicit-def: $vgpr0_vgpr1
	s_branch .LBB7_1237
.LBB7_1229:
	s_mov_b64 s[0:1], -1
                                        ; implicit-def: $vgpr0_vgpr1
	s_branch .LBB7_1234
.LBB7_1230:
	s_mov_b64 s[0:1], -1
                                        ; implicit-def: $vgpr0_vgpr1
.LBB7_1231:
	s_andn2_b64 vcc, exec, s[0:1]
	s_cbranch_vccnz .LBB7_1233
; %bb.1232:
	global_load_dword v0, v[12:13], off
	s_waitcnt vmcnt(0)
	v_cvt_f64_f32_e32 v[0:1], v0
.LBB7_1233:
	s_mov_b64 s[0:1], 0
.LBB7_1234:
	s_andn2_b64 vcc, exec, s[0:1]
	s_cbranch_vccnz .LBB7_1236
; %bb.1235:
	global_load_dword v0, v[12:13], off
	s_waitcnt vmcnt(0)
	v_cvt_f32_f16_e32 v0, v0
	v_cvt_f64_f32_e32 v[0:1], v0
.LBB7_1236:
	s_cbranch_execnz .LBB7_1247
.LBB7_1237:
	s_cmp_lt_i32 s4, 6
	s_cbranch_scc1 .LBB7_1240
; %bb.1238:
	s_cmp_gt_i32 s4, 6
	s_cbranch_scc0 .LBB7_1241
; %bb.1239:
	global_load_dwordx2 v[0:1], v[12:13], off
	s_mov_b64 s[0:1], 0
	s_branch .LBB7_1242
.LBB7_1240:
	s_mov_b64 s[0:1], -1
                                        ; implicit-def: $vgpr0_vgpr1
	s_branch .LBB7_1245
.LBB7_1241:
	s_mov_b64 s[0:1], -1
                                        ; implicit-def: $vgpr0_vgpr1
.LBB7_1242:
	s_andn2_b64 vcc, exec, s[0:1]
	s_cbranch_vccnz .LBB7_1244
; %bb.1243:
	global_load_dword v0, v[12:13], off
	s_waitcnt vmcnt(0)
	v_cvt_f64_f32_e32 v[0:1], v0
.LBB7_1244:
	s_mov_b64 s[0:1], 0
.LBB7_1245:
	s_andn2_b64 vcc, exec, s[0:1]
	s_cbranch_vccnz .LBB7_1247
; %bb.1246:
	global_load_ushort v0, v[12:13], off
	s_waitcnt vmcnt(0)
	v_cvt_f32_f16_e32 v0, v0
	v_cvt_f64_f32_e32 v[0:1], v0
.LBB7_1247:
	s_cbranch_execnz .LBB7_1266
.LBB7_1248:
	s_cmp_lt_i32 s4, 2
	s_cbranch_scc1 .LBB7_1252
; %bb.1249:
	s_cmp_lt_i32 s4, 3
	s_cbranch_scc1 .LBB7_1253
; %bb.1250:
	s_cmp_gt_i32 s4, 3
	s_cbranch_scc0 .LBB7_1254
; %bb.1251:
	global_load_dwordx2 v[0:1], v[12:13], off
	s_mov_b64 s[0:1], 0
	s_waitcnt vmcnt(0)
	v_cvt_f64_i32_e32 v[14:15], v1
	v_cvt_f64_u32_e32 v[0:1], v0
	v_ldexp_f64 v[14:15], v[14:15], 32
	v_add_f64 v[0:1], v[14:15], v[0:1]
	s_branch .LBB7_1255
.LBB7_1252:
                                        ; implicit-def: $vgpr0_vgpr1
	s_branch .LBB7_1261
.LBB7_1253:
	s_mov_b64 s[0:1], -1
                                        ; implicit-def: $vgpr0_vgpr1
	s_branch .LBB7_1258
.LBB7_1254:
	s_mov_b64 s[0:1], -1
                                        ; implicit-def: $vgpr0_vgpr1
.LBB7_1255:
	s_andn2_b64 vcc, exec, s[0:1]
	s_cbranch_vccnz .LBB7_1257
; %bb.1256:
	global_load_dword v0, v[12:13], off
	s_waitcnt vmcnt(0)
	v_cvt_f64_i32_e32 v[0:1], v0
.LBB7_1257:
	s_mov_b64 s[0:1], 0
.LBB7_1258:
	s_andn2_b64 vcc, exec, s[0:1]
	s_cbranch_vccnz .LBB7_1260
; %bb.1259:
	global_load_sshort v0, v[12:13], off
	s_waitcnt vmcnt(0)
	v_cvt_f64_i32_e32 v[0:1], v0
.LBB7_1260:
	s_cbranch_execnz .LBB7_1266
.LBB7_1261:
	s_cmp_gt_i32 s4, 0
	s_cbranch_scc0 .LBB7_1263
; %bb.1262:
	global_load_sbyte v0, v[12:13], off
	s_mov_b64 s[0:1], 0
	s_waitcnt vmcnt(0)
	v_cvt_f64_i32_e32 v[0:1], v0
	s_branch .LBB7_1264
.LBB7_1263:
	s_mov_b64 s[0:1], -1
                                        ; implicit-def: $vgpr0_vgpr1
.LBB7_1264:
	s_andn2_b64 vcc, exec, s[0:1]
	s_cbranch_vccnz .LBB7_1266
; %bb.1265:
	global_load_ubyte v0, v[12:13], off
	s_waitcnt vmcnt(0)
	v_cvt_f64_u32_e32 v[0:1], v0
.LBB7_1266:
.LBB7_1267:
	s_lshr_b32 s0, s14, 8
	v_mov_b32_e32 v5, s11
	s_and_b32 s16, s0, 0xff
	v_add_co_u32_e32 v10, vcc, s10, v11
	s_cmp_lt_i32 s16, 11
	v_addc_co_u32_e32 v11, vcc, 0, v5, vcc
	s_cbranch_scc1 .LBB7_1274
; %bb.1268:
	s_and_b32 s17, 0xffff, s16
	s_cmp_gt_i32 s17, 25
	s_mov_b64 s[4:5], 0
	s_cbranch_scc0 .LBB7_1276
; %bb.1269:
	s_cmp_gt_i32 s17, 28
	s_cbranch_scc0 .LBB7_1277
; %bb.1270:
	s_cmp_gt_i32 s17, 43
	;; [unrolled: 3-line block ×3, first 2 shown]
	s_cbranch_scc0 .LBB7_1280
; %bb.1272:
	s_cmp_eq_u32 s17, 46
	s_mov_b64 s[12:13], 0
	s_cbranch_scc0 .LBB7_1283
; %bb.1273:
	global_load_dword v5, v[10:11], off
	s_mov_b64 s[0:1], 0
	s_mov_b64 s[6:7], -1
	s_waitcnt vmcnt(0)
	v_lshlrev_b32_e32 v5, 16, v5
	v_cvt_f64_f32_e32 v[13:14], v5
	s_branch .LBB7_1284
.LBB7_1274:
	s_mov_b64 s[6:7], 0
                                        ; implicit-def: $vgpr13_vgpr14
	s_cbranch_execnz .LBB7_1349
.LBB7_1275:
	s_andn2_b64 vcc, exec, s[6:7]
	s_cbranch_vccnz .LBB7_2088
	s_branch .LBB7_1396
.LBB7_1276:
	s_mov_b64 s[6:7], 0
	s_mov_b64 s[0:1], 0
                                        ; implicit-def: $vgpr13_vgpr14
	s_cbranch_execnz .LBB7_1315
	s_branch .LBB7_1345
.LBB7_1277:
	s_mov_b64 s[12:13], -1
	s_mov_b64 s[6:7], 0
	s_mov_b64 s[0:1], 0
                                        ; implicit-def: $vgpr13_vgpr14
	s_branch .LBB7_1294
.LBB7_1278:
	s_mov_b64 s[12:13], -1
	s_mov_b64 s[6:7], 0
	s_mov_b64 s[0:1], 0
                                        ; implicit-def: $vgpr13_vgpr14
	s_branch .LBB7_1289
.LBB7_1279:
	s_or_b64 s[2:3], s[28:29], exec
	s_trap 2
	s_cbranch_execz .LBB7_1220
	s_branch .LBB7_1221
.LBB7_1280:
	s_mov_b64 s[12:13], -1
	s_mov_b64 s[6:7], 0
	s_mov_b64 s[0:1], 0
                                        ; implicit-def: $vgpr13_vgpr14
	s_branch .LBB7_1284
.LBB7_1281:
	s_andn2_saveexec_b64 s[16:17], s[16:17]
	s_cbranch_execz .LBB7_1011
.LBB7_1282:
	s_mov_b32 s20, 0x42800000
	v_add_f32_e64 v3, |v2|, s20
	v_and_b32_e32 v3, 0xff, v3
	v_cmp_ne_u32_e32 vcc, 0, v3
	s_andn2_b64 s[14:15], s[14:15], exec
	s_and_b64 s[20:21], vcc, exec
	s_or_b64 s[14:15], s[14:15], s[20:21]
	s_or_b64 exec, exec, s[16:17]
	v_mov_b32_e32 v6, 0
	s_and_saveexec_b64 s[16:17], s[14:15]
	s_cbranch_execnz .LBB7_1012
	s_branch .LBB7_1013
.LBB7_1283:
	s_mov_b64 s[0:1], -1
                                        ; implicit-def: $vgpr13_vgpr14
	s_mov_b64 s[6:7], 0
.LBB7_1284:
	s_and_b64 vcc, exec, s[12:13]
	s_cbranch_vccz .LBB7_1288
; %bb.1285:
	s_cmp_eq_u32 s17, 44
	s_cbranch_scc0 .LBB7_1287
; %bb.1286:
	global_load_ubyte v5, v[10:11], off
	s_movk_i32 s6, 0xff
	s_waitcnt vmcnt(1)
	v_bfrev_b32_e32 v7, 4
	v_mov_b32_e32 v14, 0x7ff80000
	v_bfrev_b32_e32 v15, 28
	s_mov_b64 s[0:1], 0
	s_waitcnt vmcnt(0)
	v_lshlrev_b32_e32 v12, 23, v5
	v_cvt_f64_f32_e32 v[12:13], v12
	v_cmp_ne_u32_e32 vcc, s6, v5
	s_mov_b64 s[6:7], -1
	v_cndmask_b32_e32 v7, v7, v12, vcc
	v_cndmask_b32_e32 v12, v14, v13, vcc
	v_cmp_ne_u32_e32 vcc, 0, v5
	v_cndmask_b32_e32 v14, v15, v12, vcc
	v_cndmask_b32_e32 v13, 0, v7, vcc
	s_branch .LBB7_1288
.LBB7_1287:
	s_mov_b64 s[0:1], -1
                                        ; implicit-def: $vgpr13_vgpr14
.LBB7_1288:
	s_mov_b64 s[12:13], 0
.LBB7_1289:
	s_and_b64 vcc, exec, s[12:13]
	s_cbranch_vccz .LBB7_1293
; %bb.1290:
	s_cmp_eq_u32 s17, 29
	s_cbranch_scc0 .LBB7_1292
; %bb.1291:
	global_load_dwordx2 v[12:13], v[10:11], off
	s_mov_b64 s[0:1], 0
	s_mov_b64 s[6:7], -1
	s_mov_b64 s[12:13], 0
	s_waitcnt vmcnt(0)
	v_cvt_f64_u32_e32 v[13:14], v13
	v_cvt_f64_u32_e32 v[15:16], v12
	v_ldexp_f64 v[13:14], v[13:14], 32
	v_add_f64 v[13:14], v[13:14], v[15:16]
	s_branch .LBB7_1294
.LBB7_1292:
	s_mov_b64 s[0:1], -1
                                        ; implicit-def: $vgpr13_vgpr14
.LBB7_1293:
	s_mov_b64 s[12:13], 0
.LBB7_1294:
	s_and_b64 vcc, exec, s[12:13]
	s_cbranch_vccz .LBB7_1314
; %bb.1295:
	s_cmp_lt_i32 s17, 27
	s_cbranch_scc1 .LBB7_1298
; %bb.1296:
	s_cmp_gt_i32 s17, 27
	s_cbranch_scc0 .LBB7_1299
; %bb.1297:
	global_load_dword v5, v[10:11], off
	s_mov_b64 s[6:7], 0
	s_waitcnt vmcnt(0)
	v_cvt_f64_u32_e32 v[13:14], v5
	s_branch .LBB7_1300
.LBB7_1298:
	s_mov_b64 s[6:7], -1
                                        ; implicit-def: $vgpr13_vgpr14
	s_branch .LBB7_1303
.LBB7_1299:
	s_mov_b64 s[6:7], -1
                                        ; implicit-def: $vgpr13_vgpr14
.LBB7_1300:
	s_andn2_b64 vcc, exec, s[6:7]
	s_cbranch_vccnz .LBB7_1302
; %bb.1301:
	global_load_ushort v5, v[10:11], off
	s_waitcnt vmcnt(0)
	v_cvt_f64_u32_e32 v[13:14], v5
.LBB7_1302:
	s_mov_b64 s[6:7], 0
.LBB7_1303:
	s_andn2_b64 vcc, exec, s[6:7]
	s_cbranch_vccnz .LBB7_1313
; %bb.1304:
	global_load_ubyte v5, v[10:11], off
	s_movk_i32 s6, 0x7f
	s_waitcnt vmcnt(0)
	v_cmp_lt_i16_e32 vcc, s6, v5
	s_mov_b64 s[6:7], 0
	s_and_saveexec_b64 s[12:13], vcc
	s_xor_b64 s[12:13], exec, s[12:13]
	s_cbranch_execz .LBB7_1308
; %bb.1305:
	s_movk_i32 s6, 0x80
	v_cmp_eq_u16_e32 vcc, s6, v5
	s_mov_b64 s[6:7], -1
	s_and_saveexec_b64 s[14:15], vcc
; %bb.1306:
	s_xor_b64 s[6:7], exec, -1
; %bb.1307:
	s_or_b64 exec, exec, s[14:15]
	s_and_b64 s[6:7], s[6:7], exec
.LBB7_1308:
	s_or_saveexec_b64 s[12:13], s[12:13]
	v_bfrev_b32_e32 v13, 4
	v_mov_b32_e32 v14, 0x7ff80000
	s_xor_b64 exec, exec, s[12:13]
; %bb.1309:
	v_cmp_ne_u16_e32 vcc, 0, v5
	v_mov_b32_e32 v13, 0
	s_andn2_b64 s[6:7], s[6:7], exec
	s_and_b64 s[14:15], vcc, exec
	v_mov_b32_e32 v14, 0
	s_or_b64 s[6:7], s[6:7], s[14:15]
; %bb.1310:
	s_or_b64 exec, exec, s[12:13]
	s_and_saveexec_b64 s[12:13], s[6:7]
	s_cbranch_execz .LBB7_1312
; %bb.1311:
	v_lshlrev_b32_e32 v7, 24, v5
	v_and_b32_e32 v5, 0xffff, v5
	v_and_b32_e32 v12, 7, v5
	v_ffbh_u32_e32 v14, v12
	v_min_u32_e32 v14, 32, v14
	v_subrev_u32_e32 v15, 28, v14
	v_bfe_u32 v13, v5, 3, 4
	v_lshlrev_b32_e32 v5, v15, v5
	v_sub_u32_e32 v14, 29, v14
	v_and_b32_e32 v5, 7, v5
	v_cmp_eq_u32_e32 vcc, 0, v13
	v_cndmask_b32_e32 v13, v13, v14, vcc
	v_cndmask_b32_e32 v5, v12, v5, vcc
	v_mov_b32_e32 v12, 0x3b800000
	v_lshlrev_b32_e32 v5, 20, v5
	v_and_b32_e32 v7, 0x80000000, v7
	v_lshl_add_u32 v12, v13, 23, v12
	v_or3_b32 v5, v7, v12, v5
	v_cvt_f64_f32_e32 v[13:14], v5
.LBB7_1312:
	s_or_b64 exec, exec, s[12:13]
.LBB7_1313:
	s_mov_b64 s[6:7], -1
.LBB7_1314:
	s_branch .LBB7_1345
.LBB7_1315:
	s_cmp_gt_i32 s17, 22
	s_cbranch_scc0 .LBB7_1327
; %bb.1316:
	s_cmp_lt_i32 s17, 24
	s_cbranch_scc1 .LBB7_1328
; %bb.1317:
	s_cmp_gt_i32 s17, 24
	s_cbranch_scc0 .LBB7_1329
; %bb.1318:
	global_load_ubyte v5, v[10:11], off
	s_movk_i32 s4, 0x7f
	s_waitcnt vmcnt(0)
	v_cmp_lt_i16_e32 vcc, s4, v5
	s_mov_b64 s[4:5], 0
	s_and_saveexec_b64 s[6:7], vcc
	s_xor_b64 s[6:7], exec, s[6:7]
	s_cbranch_execz .LBB7_1322
; %bb.1319:
	s_movk_i32 s4, 0x80
	v_cmp_eq_u16_e32 vcc, s4, v5
	s_mov_b64 s[4:5], -1
	s_and_saveexec_b64 s[12:13], vcc
; %bb.1320:
	s_xor_b64 s[4:5], exec, -1
; %bb.1321:
	s_or_b64 exec, exec, s[12:13]
	s_and_b64 s[4:5], s[4:5], exec
.LBB7_1322:
	s_or_saveexec_b64 s[6:7], s[6:7]
	v_bfrev_b32_e32 v13, 4
	v_mov_b32_e32 v14, 0x7ff80000
	s_xor_b64 exec, exec, s[6:7]
; %bb.1323:
	v_cmp_ne_u16_e32 vcc, 0, v5
	v_mov_b32_e32 v13, 0
	s_andn2_b64 s[4:5], s[4:5], exec
	s_and_b64 s[12:13], vcc, exec
	v_mov_b32_e32 v14, 0
	s_or_b64 s[4:5], s[4:5], s[12:13]
; %bb.1324:
	s_or_b64 exec, exec, s[6:7]
	s_and_saveexec_b64 s[6:7], s[4:5]
	s_cbranch_execz .LBB7_1326
; %bb.1325:
	v_lshlrev_b32_e32 v7, 24, v5
	v_and_b32_e32 v5, 0xffff, v5
	v_and_b32_e32 v12, 3, v5
	v_ffbh_u32_e32 v14, v12
	v_min_u32_e32 v14, 32, v14
	v_subrev_u32_e32 v15, 29, v14
	v_bfe_u32 v13, v5, 2, 5
	v_lshlrev_b32_e32 v5, v15, v5
	v_sub_u32_e32 v14, 30, v14
	v_and_b32_e32 v5, 3, v5
	v_cmp_eq_u32_e32 vcc, 0, v13
	v_cndmask_b32_e32 v13, v13, v14, vcc
	v_cndmask_b32_e32 v5, v12, v5, vcc
	v_mov_b32_e32 v12, 0x37800000
	v_lshlrev_b32_e32 v5, 21, v5
	v_and_b32_e32 v7, 0x80000000, v7
	v_lshl_add_u32 v12, v13, 23, v12
	v_or3_b32 v5, v7, v12, v5
	v_cvt_f64_f32_e32 v[13:14], v5
.LBB7_1326:
	s_or_b64 exec, exec, s[6:7]
	s_mov_b64 s[4:5], 0
	s_branch .LBB7_1330
.LBB7_1327:
	s_mov_b64 s[4:5], -1
                                        ; implicit-def: $vgpr13_vgpr14
	s_branch .LBB7_1336
.LBB7_1328:
	s_mov_b64 s[4:5], -1
                                        ; implicit-def: $vgpr13_vgpr14
	s_branch .LBB7_1333
.LBB7_1329:
	s_mov_b64 s[4:5], -1
                                        ; implicit-def: $vgpr13_vgpr14
.LBB7_1330:
	s_and_b64 vcc, exec, s[4:5]
	s_cbranch_vccz .LBB7_1332
; %bb.1331:
	global_load_ubyte v5, v[10:11], off
	s_mov_b32 s4, 0x7f800000
	s_waitcnt vmcnt(0)
	v_lshlrev_b32_e32 v5, 24, v5
	v_and_b32_e32 v7, 0x7f000000, v5
	v_ffbh_u32_e32 v12, v7
	v_min_u32_e32 v12, 32, v12
	v_sub_u32_e64 v12, v12, 4 clamp
	v_lshlrev_b32_e32 v14, v12, v7
	v_lshlrev_b32_e32 v12, 23, v12
	v_lshrrev_b32_e32 v14, 4, v14
	v_add_u32_e32 v13, 0x1000000, v7
	v_sub_u32_e32 v12, v14, v12
	v_ashrrev_i32_e32 v13, 8, v13
	v_add_u32_e32 v12, 0x3c000000, v12
	v_and_or_b32 v12, v13, s4, v12
	v_cmp_ne_u32_e32 vcc, 0, v7
	v_cndmask_b32_e32 v7, 0, v12, vcc
	s_brev_b32 s4, 1
	v_and_or_b32 v5, v5, s4, v7
	v_cvt_f64_f32_e32 v[13:14], v5
.LBB7_1332:
	s_mov_b64 s[4:5], 0
.LBB7_1333:
	s_andn2_b64 vcc, exec, s[4:5]
	s_cbranch_vccnz .LBB7_1335
; %bb.1334:
	global_load_ubyte v5, v[10:11], off
	s_movk_i32 s4, 0x7f00
	s_brev_b32 s5, 16
	s_waitcnt vmcnt(0)
	v_lshlrev_b16_e32 v7, 8, v5
	v_lshlrev_b32_e32 v5, 25, v5
	v_lshrrev_b32_e32 v12, 4, v5
	v_and_or_b32 v13, v7, s4, 0.5
	v_or_b32_e32 v12, 0x70000000, v12
	v_add_f32_e32 v13, -0.5, v13
	v_mul_f32_e32 v12, 0x7800000, v12
	v_cmp_gt_u32_e32 vcc, s5, v5
	v_bfe_i32 v7, v7, 0, 16
	v_cndmask_b32_e32 v5, v12, v13, vcc
	s_brev_b32 s4, 1
	v_and_or_b32 v5, v7, s4, v5
	v_cvt_f64_f32_e32 v[13:14], v5
.LBB7_1335:
	s_mov_b64 s[4:5], 0
	s_mov_b64 s[6:7], -1
.LBB7_1336:
	s_andn2_b64 vcc, exec, s[4:5]
	s_mov_b64 s[4:5], 0
	s_cbranch_vccnz .LBB7_1345
; %bb.1337:
	s_cmp_gt_i32 s17, 14
	s_cbranch_scc0 .LBB7_1340
; %bb.1338:
	s_cmp_eq_u32 s17, 15
	s_cbranch_scc0 .LBB7_1341
; %bb.1339:
	global_load_ushort v5, v[10:11], off
	s_mov_b64 s[0:1], 0
	s_mov_b64 s[6:7], -1
	s_waitcnt vmcnt(0)
	v_lshlrev_b32_e32 v5, 16, v5
	v_cvt_f64_f32_e32 v[13:14], v5
	s_branch .LBB7_1342
.LBB7_1340:
	s_mov_b64 s[12:13], -1
                                        ; implicit-def: $vgpr13_vgpr14
	s_branch .LBB7_1343
.LBB7_1341:
	s_mov_b64 s[0:1], -1
                                        ; implicit-def: $vgpr13_vgpr14
.LBB7_1342:
	s_mov_b64 s[12:13], 0
.LBB7_1343:
	s_and_b64 vcc, exec, s[12:13]
	s_cbranch_vccz .LBB7_1345
; %bb.1344:
	s_cmp_lg_u32 s17, 11
	s_mov_b64 s[4:5], -1
	s_cselect_b64 s[0:1], -1, 0
.LBB7_1345:
	s_and_b64 vcc, exec, s[0:1]
	s_cbranch_vccnz .LBB7_1408
; %bb.1346:
	s_andn2_b64 vcc, exec, s[4:5]
	s_cbranch_vccnz .LBB7_1348
.LBB7_1347:
	global_load_ubyte v5, v[10:11], off
	s_waitcnt vmcnt(1)
	v_mov_b32_e32 v7, 0x3ff00000
	v_mov_b32_e32 v13, 0
	s_mov_b64 s[6:7], -1
	s_waitcnt vmcnt(0)
	v_cmp_ne_u16_e32 vcc, 0, v5
	v_cndmask_b32_e32 v14, 0, v7, vcc
.LBB7_1348:
	s_branch .LBB7_1275
.LBB7_1349:
	s_and_b32 s4, 0xffff, s16
	s_cmp_lt_i32 s4, 5
	s_cbranch_scc1 .LBB7_1354
; %bb.1350:
	s_cmp_lt_i32 s4, 8
	s_cbranch_scc1 .LBB7_1355
; %bb.1351:
	;; [unrolled: 3-line block ×3, first 2 shown]
	s_cmp_gt_i32 s4, 9
	s_cbranch_scc0 .LBB7_1357
; %bb.1353:
	global_load_dwordx2 v[13:14], v[10:11], off
	s_mov_b64 s[0:1], 0
	s_branch .LBB7_1358
.LBB7_1354:
                                        ; implicit-def: $vgpr13_vgpr14
	s_branch .LBB7_1376
.LBB7_1355:
	s_mov_b64 s[0:1], -1
                                        ; implicit-def: $vgpr13_vgpr14
	s_branch .LBB7_1364
.LBB7_1356:
	s_mov_b64 s[0:1], -1
                                        ; implicit-def: $vgpr13_vgpr14
	s_branch .LBB7_1361
.LBB7_1357:
	s_mov_b64 s[0:1], -1
                                        ; implicit-def: $vgpr13_vgpr14
.LBB7_1358:
	s_andn2_b64 vcc, exec, s[0:1]
	s_cbranch_vccnz .LBB7_1360
; %bb.1359:
	global_load_dword v5, v[10:11], off
	s_waitcnt vmcnt(0)
	v_cvt_f64_f32_e32 v[13:14], v5
.LBB7_1360:
	s_mov_b64 s[0:1], 0
.LBB7_1361:
	s_andn2_b64 vcc, exec, s[0:1]
	s_cbranch_vccnz .LBB7_1363
; %bb.1362:
	global_load_dword v5, v[10:11], off
	s_waitcnt vmcnt(0)
	v_cvt_f32_f16_e32 v5, v5
	v_cvt_f64_f32_e32 v[13:14], v5
.LBB7_1363:
	s_mov_b64 s[0:1], 0
.LBB7_1364:
	s_andn2_b64 vcc, exec, s[0:1]
	s_cbranch_vccnz .LBB7_1375
; %bb.1365:
	s_cmp_lt_i32 s4, 6
	s_cbranch_scc1 .LBB7_1368
; %bb.1366:
	s_cmp_gt_i32 s4, 6
	s_cbranch_scc0 .LBB7_1369
; %bb.1367:
	global_load_dwordx2 v[13:14], v[10:11], off
	s_mov_b64 s[0:1], 0
	s_branch .LBB7_1370
.LBB7_1368:
	s_mov_b64 s[0:1], -1
                                        ; implicit-def: $vgpr13_vgpr14
	s_branch .LBB7_1373
.LBB7_1369:
	s_mov_b64 s[0:1], -1
                                        ; implicit-def: $vgpr13_vgpr14
.LBB7_1370:
	s_andn2_b64 vcc, exec, s[0:1]
	s_cbranch_vccnz .LBB7_1372
; %bb.1371:
	global_load_dword v5, v[10:11], off
	s_waitcnt vmcnt(0)
	v_cvt_f64_f32_e32 v[13:14], v5
.LBB7_1372:
	s_mov_b64 s[0:1], 0
.LBB7_1373:
	s_andn2_b64 vcc, exec, s[0:1]
	s_cbranch_vccnz .LBB7_1375
; %bb.1374:
	global_load_ushort v5, v[10:11], off
	s_waitcnt vmcnt(0)
	v_cvt_f32_f16_e32 v5, v5
	v_cvt_f64_f32_e32 v[13:14], v5
.LBB7_1375:
	s_cbranch_execnz .LBB7_1395
.LBB7_1376:
	s_cmp_lt_i32 s4, 2
	s_cbranch_scc1 .LBB7_1380
; %bb.1377:
	s_cmp_lt_i32 s4, 3
	s_cbranch_scc1 .LBB7_1381
; %bb.1378:
	s_cmp_gt_i32 s4, 3
	s_cbranch_scc0 .LBB7_1382
; %bb.1379:
	global_load_dwordx2 v[12:13], v[10:11], off
	s_mov_b64 s[0:1], 0
	s_waitcnt vmcnt(0)
	v_cvt_f64_i32_e32 v[13:14], v13
	v_cvt_f64_u32_e32 v[15:16], v12
	v_ldexp_f64 v[13:14], v[13:14], 32
	v_add_f64 v[13:14], v[13:14], v[15:16]
	s_branch .LBB7_1383
.LBB7_1380:
	s_mov_b64 s[0:1], -1
                                        ; implicit-def: $vgpr13_vgpr14
	s_branch .LBB7_1389
.LBB7_1381:
	s_mov_b64 s[0:1], -1
                                        ; implicit-def: $vgpr13_vgpr14
	s_branch .LBB7_1386
.LBB7_1382:
	s_mov_b64 s[0:1], -1
                                        ; implicit-def: $vgpr13_vgpr14
.LBB7_1383:
	s_andn2_b64 vcc, exec, s[0:1]
	s_cbranch_vccnz .LBB7_1385
; %bb.1384:
	global_load_dword v5, v[10:11], off
	s_waitcnt vmcnt(0)
	v_cvt_f64_i32_e32 v[13:14], v5
.LBB7_1385:
	s_mov_b64 s[0:1], 0
.LBB7_1386:
	s_andn2_b64 vcc, exec, s[0:1]
	s_cbranch_vccnz .LBB7_1388
; %bb.1387:
	global_load_sshort v5, v[10:11], off
	s_waitcnt vmcnt(0)
	v_cvt_f64_i32_e32 v[13:14], v5
.LBB7_1388:
	s_mov_b64 s[0:1], 0
.LBB7_1389:
	s_andn2_b64 vcc, exec, s[0:1]
	s_cbranch_vccnz .LBB7_1395
; %bb.1390:
	s_cmp_gt_i32 s4, 0
	s_cbranch_scc0 .LBB7_1392
; %bb.1391:
	global_load_sbyte v5, v[10:11], off
	s_mov_b64 s[0:1], 0
	s_waitcnt vmcnt(0)
	v_cvt_f64_i32_e32 v[13:14], v5
	s_branch .LBB7_1393
.LBB7_1392:
	s_mov_b64 s[0:1], -1
                                        ; implicit-def: $vgpr13_vgpr14
.LBB7_1393:
	s_andn2_b64 vcc, exec, s[0:1]
	s_cbranch_vccnz .LBB7_1395
; %bb.1394:
	global_load_ubyte v5, v[10:11], off
	s_waitcnt vmcnt(0)
	v_cvt_f64_u32_e32 v[13:14], v5
.LBB7_1395:
.LBB7_1396:
	v_mov_b32_e32 v5, s11
	s_waitcnt vmcnt(0)
	v_add_co_u32_e32 v15, vcc, s10, v3
	s_cmp_lt_i32 s16, 11
	v_addc_co_u32_e32 v16, vcc, 0, v5, vcc
	s_cbranch_scc1 .LBB7_1403
; %bb.1397:
	s_and_b32 s17, 0xffff, s16
	s_cmp_gt_i32 s17, 25
	s_mov_b64 s[4:5], 0
	s_cbranch_scc0 .LBB7_1405
; %bb.1398:
	s_cmp_gt_i32 s17, 28
	s_cbranch_scc0 .LBB7_1406
; %bb.1399:
	s_cmp_gt_i32 s17, 43
	;; [unrolled: 3-line block ×3, first 2 shown]
	s_cbranch_scc0 .LBB7_1409
; %bb.1401:
	s_cmp_eq_u32 s17, 46
	s_mov_b64 s[12:13], 0
	s_cbranch_scc0 .LBB7_1410
; %bb.1402:
	global_load_dword v3, v[15:16], off
	s_mov_b64 s[0:1], 0
	s_mov_b64 s[6:7], -1
	s_waitcnt vmcnt(0)
	v_lshlrev_b32_e32 v3, 16, v3
	v_cvt_f64_f32_e32 v[11:12], v3
	s_branch .LBB7_1411
.LBB7_1403:
	s_mov_b64 s[6:7], 0
                                        ; implicit-def: $vgpr11_vgpr12
	s_cbranch_execnz .LBB7_1477
.LBB7_1404:
	s_andn2_b64 vcc, exec, s[6:7]
	s_cbranch_vccnz .LBB7_2088
	s_branch .LBB7_1525
.LBB7_1405:
	s_mov_b64 s[12:13], -1
	s_mov_b64 s[6:7], 0
	s_mov_b64 s[0:1], 0
                                        ; implicit-def: $vgpr11_vgpr12
	s_branch .LBB7_1442
.LBB7_1406:
	s_mov_b64 s[12:13], -1
	s_mov_b64 s[6:7], 0
	s_mov_b64 s[0:1], 0
                                        ; implicit-def: $vgpr11_vgpr12
	s_branch .LBB7_1421
.LBB7_1407:
	s_mov_b64 s[12:13], -1
	s_mov_b64 s[6:7], 0
	s_mov_b64 s[0:1], 0
                                        ; implicit-def: $vgpr11_vgpr12
	s_branch .LBB7_1416
.LBB7_1408:
	s_trap 2
	s_or_b64 s[2:3], s[2:3], exec
	s_cbranch_execz .LBB7_1347
	s_branch .LBB7_1348
.LBB7_1409:
	s_mov_b64 s[12:13], -1
	s_mov_b64 s[6:7], 0
	s_mov_b64 s[0:1], 0
                                        ; implicit-def: $vgpr11_vgpr12
	s_branch .LBB7_1411
.LBB7_1410:
	s_mov_b64 s[0:1], -1
                                        ; implicit-def: $vgpr11_vgpr12
	s_mov_b64 s[6:7], 0
.LBB7_1411:
	s_and_b64 vcc, exec, s[12:13]
	s_cbranch_vccz .LBB7_1415
; %bb.1412:
	s_cmp_eq_u32 s17, 44
	s_cbranch_scc0 .LBB7_1414
; %bb.1413:
	global_load_ubyte v3, v[15:16], off
	s_movk_i32 s6, 0xff
	v_bfrev_b32_e32 v5, 4
	v_mov_b32_e32 v7, 0x7ff80000
	v_bfrev_b32_e32 v12, 28
	s_mov_b64 s[0:1], 0
	s_waitcnt vmcnt(0)
	v_lshlrev_b32_e32 v10, 23, v3
	v_cvt_f64_f32_e32 v[10:11], v10
	v_cmp_ne_u32_e32 vcc, s6, v3
	s_mov_b64 s[6:7], -1
	v_cndmask_b32_e32 v5, v5, v10, vcc
	v_cndmask_b32_e32 v7, v7, v11, vcc
	v_cmp_ne_u32_e32 vcc, 0, v3
	v_cndmask_b32_e32 v12, v12, v7, vcc
	v_cndmask_b32_e32 v11, 0, v5, vcc
	s_branch .LBB7_1415
.LBB7_1414:
	s_mov_b64 s[0:1], -1
                                        ; implicit-def: $vgpr11_vgpr12
.LBB7_1415:
	s_mov_b64 s[12:13], 0
.LBB7_1416:
	s_and_b64 vcc, exec, s[12:13]
	s_cbranch_vccz .LBB7_1420
; %bb.1417:
	s_cmp_eq_u32 s17, 29
	s_cbranch_scc0 .LBB7_1419
; %bb.1418:
	global_load_dwordx2 v[10:11], v[15:16], off
	s_mov_b64 s[0:1], 0
	s_mov_b64 s[6:7], -1
	s_mov_b64 s[12:13], 0
	s_waitcnt vmcnt(0)
	v_cvt_f64_u32_e32 v[11:12], v11
	v_cvt_f64_u32_e32 v[17:18], v10
	v_ldexp_f64 v[11:12], v[11:12], 32
	v_add_f64 v[11:12], v[11:12], v[17:18]
	s_branch .LBB7_1421
.LBB7_1419:
	s_mov_b64 s[0:1], -1
                                        ; implicit-def: $vgpr11_vgpr12
.LBB7_1420:
	s_mov_b64 s[12:13], 0
.LBB7_1421:
	s_and_b64 vcc, exec, s[12:13]
	s_cbranch_vccz .LBB7_1441
; %bb.1422:
	s_cmp_lt_i32 s17, 27
	s_cbranch_scc1 .LBB7_1425
; %bb.1423:
	s_cmp_gt_i32 s17, 27
	s_cbranch_scc0 .LBB7_1426
; %bb.1424:
	global_load_dword v3, v[15:16], off
	s_mov_b64 s[6:7], 0
	s_waitcnt vmcnt(0)
	v_cvt_f64_u32_e32 v[11:12], v3
	s_branch .LBB7_1427
.LBB7_1425:
	s_mov_b64 s[6:7], -1
                                        ; implicit-def: $vgpr11_vgpr12
	s_branch .LBB7_1430
.LBB7_1426:
	s_mov_b64 s[6:7], -1
                                        ; implicit-def: $vgpr11_vgpr12
.LBB7_1427:
	s_andn2_b64 vcc, exec, s[6:7]
	s_cbranch_vccnz .LBB7_1429
; %bb.1428:
	global_load_ushort v3, v[15:16], off
	s_waitcnt vmcnt(0)
	v_cvt_f64_u32_e32 v[11:12], v3
.LBB7_1429:
	s_mov_b64 s[6:7], 0
.LBB7_1430:
	s_andn2_b64 vcc, exec, s[6:7]
	s_cbranch_vccnz .LBB7_1440
; %bb.1431:
	global_load_ubyte v3, v[15:16], off
	s_movk_i32 s6, 0x7f
	s_waitcnt vmcnt(0)
	v_cmp_lt_i16_e32 vcc, s6, v3
	s_mov_b64 s[6:7], 0
	s_and_saveexec_b64 s[12:13], vcc
	s_xor_b64 s[12:13], exec, s[12:13]
	s_cbranch_execz .LBB7_1435
; %bb.1432:
	s_movk_i32 s6, 0x80
	v_cmp_eq_u16_e32 vcc, s6, v3
	s_mov_b64 s[6:7], -1
	s_and_saveexec_b64 s[14:15], vcc
; %bb.1433:
	s_xor_b64 s[6:7], exec, -1
; %bb.1434:
	s_or_b64 exec, exec, s[14:15]
	s_and_b64 s[6:7], s[6:7], exec
.LBB7_1435:
	s_or_saveexec_b64 s[12:13], s[12:13]
	v_bfrev_b32_e32 v11, 4
	v_mov_b32_e32 v12, 0x7ff80000
	s_xor_b64 exec, exec, s[12:13]
; %bb.1436:
	v_cmp_ne_u16_e32 vcc, 0, v3
	v_mov_b32_e32 v11, 0
	s_andn2_b64 s[6:7], s[6:7], exec
	s_and_b64 s[14:15], vcc, exec
	v_mov_b32_e32 v12, 0
	s_or_b64 s[6:7], s[6:7], s[14:15]
; %bb.1437:
	s_or_b64 exec, exec, s[12:13]
	s_and_saveexec_b64 s[12:13], s[6:7]
	s_cbranch_execz .LBB7_1439
; %bb.1438:
	v_lshlrev_b32_e32 v5, 24, v3
	v_and_b32_e32 v3, 0xffff, v3
	v_and_b32_e32 v7, 7, v3
	v_ffbh_u32_e32 v11, v7
	v_min_u32_e32 v11, 32, v11
	v_subrev_u32_e32 v12, 28, v11
	v_bfe_u32 v10, v3, 3, 4
	v_lshlrev_b32_e32 v3, v12, v3
	v_sub_u32_e32 v11, 29, v11
	v_and_b32_e32 v3, 7, v3
	v_cmp_eq_u32_e32 vcc, 0, v10
	v_cndmask_b32_e32 v10, v10, v11, vcc
	v_cndmask_b32_e32 v3, v7, v3, vcc
	v_mov_b32_e32 v7, 0x3b800000
	v_lshlrev_b32_e32 v3, 20, v3
	v_and_b32_e32 v5, 0x80000000, v5
	v_lshl_add_u32 v7, v10, 23, v7
	v_or3_b32 v3, v5, v7, v3
	v_cvt_f64_f32_e32 v[11:12], v3
.LBB7_1439:
	s_or_b64 exec, exec, s[12:13]
.LBB7_1440:
	s_mov_b64 s[6:7], -1
.LBB7_1441:
	s_mov_b64 s[12:13], 0
.LBB7_1442:
	s_and_b64 vcc, exec, s[12:13]
	s_cbranch_vccz .LBB7_1473
; %bb.1443:
	s_cmp_gt_i32 s17, 22
	s_cbranch_scc0 .LBB7_1455
; %bb.1444:
	s_cmp_lt_i32 s17, 24
	s_cbranch_scc1 .LBB7_1456
; %bb.1445:
	s_cmp_gt_i32 s17, 24
	s_cbranch_scc0 .LBB7_1457
; %bb.1446:
	global_load_ubyte v3, v[15:16], off
	s_movk_i32 s4, 0x7f
	s_waitcnt vmcnt(0)
	v_cmp_lt_i16_e32 vcc, s4, v3
	s_mov_b64 s[4:5], 0
	s_and_saveexec_b64 s[6:7], vcc
	s_xor_b64 s[6:7], exec, s[6:7]
	s_cbranch_execz .LBB7_1450
; %bb.1447:
	s_movk_i32 s4, 0x80
	v_cmp_eq_u16_e32 vcc, s4, v3
	s_mov_b64 s[4:5], -1
	s_and_saveexec_b64 s[12:13], vcc
; %bb.1448:
	s_xor_b64 s[4:5], exec, -1
; %bb.1449:
	s_or_b64 exec, exec, s[12:13]
	s_and_b64 s[4:5], s[4:5], exec
.LBB7_1450:
	s_or_saveexec_b64 s[6:7], s[6:7]
	v_bfrev_b32_e32 v11, 4
	v_mov_b32_e32 v12, 0x7ff80000
	s_xor_b64 exec, exec, s[6:7]
; %bb.1451:
	v_cmp_ne_u16_e32 vcc, 0, v3
	v_mov_b32_e32 v11, 0
	s_andn2_b64 s[4:5], s[4:5], exec
	s_and_b64 s[12:13], vcc, exec
	v_mov_b32_e32 v12, 0
	s_or_b64 s[4:5], s[4:5], s[12:13]
; %bb.1452:
	s_or_b64 exec, exec, s[6:7]
	s_and_saveexec_b64 s[6:7], s[4:5]
	s_cbranch_execz .LBB7_1454
; %bb.1453:
	v_lshlrev_b32_e32 v5, 24, v3
	v_and_b32_e32 v3, 0xffff, v3
	v_and_b32_e32 v7, 3, v3
	v_ffbh_u32_e32 v11, v7
	v_min_u32_e32 v11, 32, v11
	v_subrev_u32_e32 v12, 29, v11
	v_bfe_u32 v10, v3, 2, 5
	v_lshlrev_b32_e32 v3, v12, v3
	v_sub_u32_e32 v11, 30, v11
	v_and_b32_e32 v3, 3, v3
	v_cmp_eq_u32_e32 vcc, 0, v10
	v_cndmask_b32_e32 v10, v10, v11, vcc
	v_cndmask_b32_e32 v3, v7, v3, vcc
	v_mov_b32_e32 v7, 0x37800000
	v_lshlrev_b32_e32 v3, 21, v3
	v_and_b32_e32 v5, 0x80000000, v5
	v_lshl_add_u32 v7, v10, 23, v7
	v_or3_b32 v3, v5, v7, v3
	v_cvt_f64_f32_e32 v[11:12], v3
.LBB7_1454:
	s_or_b64 exec, exec, s[6:7]
	s_mov_b64 s[4:5], 0
	s_branch .LBB7_1458
.LBB7_1455:
	s_mov_b64 s[4:5], -1
                                        ; implicit-def: $vgpr11_vgpr12
	s_branch .LBB7_1464
.LBB7_1456:
	s_mov_b64 s[4:5], -1
                                        ; implicit-def: $vgpr11_vgpr12
	s_branch .LBB7_1461
.LBB7_1457:
	s_mov_b64 s[4:5], -1
                                        ; implicit-def: $vgpr11_vgpr12
.LBB7_1458:
	s_and_b64 vcc, exec, s[4:5]
	s_cbranch_vccz .LBB7_1460
; %bb.1459:
	global_load_ubyte v3, v[15:16], off
	s_mov_b32 s4, 0x7f800000
	s_waitcnt vmcnt(0)
	v_lshlrev_b32_e32 v3, 24, v3
	v_and_b32_e32 v5, 0x7f000000, v3
	v_ffbh_u32_e32 v7, v5
	v_min_u32_e32 v7, 32, v7
	v_sub_u32_e64 v7, v7, 4 clamp
	v_lshlrev_b32_e32 v11, v7, v5
	v_lshlrev_b32_e32 v7, 23, v7
	v_lshrrev_b32_e32 v11, 4, v11
	v_add_u32_e32 v10, 0x1000000, v5
	v_sub_u32_e32 v7, v11, v7
	v_ashrrev_i32_e32 v10, 8, v10
	v_add_u32_e32 v7, 0x3c000000, v7
	v_and_or_b32 v7, v10, s4, v7
	v_cmp_ne_u32_e32 vcc, 0, v5
	v_cndmask_b32_e32 v5, 0, v7, vcc
	s_brev_b32 s4, 1
	v_and_or_b32 v3, v3, s4, v5
	v_cvt_f64_f32_e32 v[11:12], v3
.LBB7_1460:
	s_mov_b64 s[4:5], 0
.LBB7_1461:
	s_andn2_b64 vcc, exec, s[4:5]
	s_cbranch_vccnz .LBB7_1463
; %bb.1462:
	global_load_ubyte v3, v[15:16], off
	s_movk_i32 s4, 0x7f00
	s_brev_b32 s5, 16
	s_waitcnt vmcnt(0)
	v_lshlrev_b16_e32 v5, 8, v3
	v_lshlrev_b32_e32 v3, 25, v3
	v_lshrrev_b32_e32 v7, 4, v3
	v_and_or_b32 v10, v5, s4, 0.5
	v_or_b32_e32 v7, 0x70000000, v7
	v_add_f32_e32 v10, -0.5, v10
	v_mul_f32_e32 v7, 0x7800000, v7
	v_cmp_gt_u32_e32 vcc, s5, v3
	v_bfe_i32 v5, v5, 0, 16
	v_cndmask_b32_e32 v3, v7, v10, vcc
	s_brev_b32 s4, 1
	v_and_or_b32 v3, v5, s4, v3
	v_cvt_f64_f32_e32 v[11:12], v3
.LBB7_1463:
	s_mov_b64 s[4:5], 0
	s_mov_b64 s[6:7], -1
.LBB7_1464:
	s_andn2_b64 vcc, exec, s[4:5]
	s_mov_b64 s[4:5], 0
	s_cbranch_vccnz .LBB7_1473
; %bb.1465:
	s_cmp_gt_i32 s17, 14
	s_cbranch_scc0 .LBB7_1468
; %bb.1466:
	s_cmp_eq_u32 s17, 15
	s_cbranch_scc0 .LBB7_1469
; %bb.1467:
	global_load_ushort v3, v[15:16], off
	s_mov_b64 s[0:1], 0
	s_mov_b64 s[6:7], -1
	s_waitcnt vmcnt(0)
	v_lshlrev_b32_e32 v3, 16, v3
	v_cvt_f64_f32_e32 v[11:12], v3
	s_branch .LBB7_1470
.LBB7_1468:
	s_mov_b64 s[12:13], -1
                                        ; implicit-def: $vgpr11_vgpr12
	s_branch .LBB7_1471
.LBB7_1469:
	s_mov_b64 s[0:1], -1
                                        ; implicit-def: $vgpr11_vgpr12
.LBB7_1470:
	s_mov_b64 s[12:13], 0
.LBB7_1471:
	s_and_b64 vcc, exec, s[12:13]
	s_cbranch_vccz .LBB7_1473
; %bb.1472:
	s_cmp_lg_u32 s17, 11
	s_mov_b64 s[4:5], -1
	s_cselect_b64 s[0:1], -1, 0
.LBB7_1473:
	s_and_b64 vcc, exec, s[0:1]
	s_cbranch_vccnz .LBB7_1536
; %bb.1474:
	s_andn2_b64 vcc, exec, s[4:5]
	s_cbranch_vccnz .LBB7_1476
.LBB7_1475:
	global_load_ubyte v3, v[15:16], off
	v_mov_b32_e32 v5, 0x3ff00000
	v_mov_b32_e32 v11, 0
	s_mov_b64 s[6:7], -1
	s_waitcnt vmcnt(0)
	v_cmp_ne_u16_e32 vcc, 0, v3
	v_cndmask_b32_e32 v12, 0, v5, vcc
.LBB7_1476:
	s_branch .LBB7_1404
.LBB7_1477:
	s_and_b32 s4, 0xffff, s16
	s_cmp_lt_i32 s4, 5
	s_cbranch_scc1 .LBB7_1482
; %bb.1478:
	s_cmp_lt_i32 s4, 8
	s_cbranch_scc1 .LBB7_1483
; %bb.1479:
	;; [unrolled: 3-line block ×3, first 2 shown]
	s_cmp_gt_i32 s4, 9
	s_cbranch_scc0 .LBB7_1485
; %bb.1481:
	global_load_dwordx2 v[11:12], v[15:16], off
	s_mov_b64 s[0:1], 0
	s_branch .LBB7_1486
.LBB7_1482:
	s_mov_b64 s[0:1], -1
                                        ; implicit-def: $vgpr11_vgpr12
	s_branch .LBB7_1504
.LBB7_1483:
	s_mov_b64 s[0:1], -1
                                        ; implicit-def: $vgpr11_vgpr12
	s_branch .LBB7_1492
.LBB7_1484:
	s_mov_b64 s[0:1], -1
                                        ; implicit-def: $vgpr11_vgpr12
	s_branch .LBB7_1489
.LBB7_1485:
	s_mov_b64 s[0:1], -1
                                        ; implicit-def: $vgpr11_vgpr12
.LBB7_1486:
	s_andn2_b64 vcc, exec, s[0:1]
	s_cbranch_vccnz .LBB7_1488
; %bb.1487:
	global_load_dword v3, v[15:16], off
	s_waitcnt vmcnt(0)
	v_cvt_f64_f32_e32 v[11:12], v3
.LBB7_1488:
	s_mov_b64 s[0:1], 0
.LBB7_1489:
	s_andn2_b64 vcc, exec, s[0:1]
	s_cbranch_vccnz .LBB7_1491
; %bb.1490:
	global_load_dword v3, v[15:16], off
	s_waitcnt vmcnt(0)
	v_cvt_f32_f16_e32 v3, v3
	v_cvt_f64_f32_e32 v[11:12], v3
.LBB7_1491:
	s_mov_b64 s[0:1], 0
.LBB7_1492:
	s_andn2_b64 vcc, exec, s[0:1]
	s_cbranch_vccnz .LBB7_1503
; %bb.1493:
	s_cmp_lt_i32 s4, 6
	s_cbranch_scc1 .LBB7_1496
; %bb.1494:
	s_cmp_gt_i32 s4, 6
	s_cbranch_scc0 .LBB7_1497
; %bb.1495:
	global_load_dwordx2 v[11:12], v[15:16], off
	s_mov_b64 s[0:1], 0
	s_branch .LBB7_1498
.LBB7_1496:
	s_mov_b64 s[0:1], -1
                                        ; implicit-def: $vgpr11_vgpr12
	s_branch .LBB7_1501
.LBB7_1497:
	s_mov_b64 s[0:1], -1
                                        ; implicit-def: $vgpr11_vgpr12
.LBB7_1498:
	s_andn2_b64 vcc, exec, s[0:1]
	s_cbranch_vccnz .LBB7_1500
; %bb.1499:
	global_load_dword v3, v[15:16], off
	s_waitcnt vmcnt(0)
	v_cvt_f64_f32_e32 v[11:12], v3
.LBB7_1500:
	s_mov_b64 s[0:1], 0
.LBB7_1501:
	s_andn2_b64 vcc, exec, s[0:1]
	s_cbranch_vccnz .LBB7_1503
; %bb.1502:
	global_load_ushort v3, v[15:16], off
	s_waitcnt vmcnt(0)
	v_cvt_f32_f16_e32 v3, v3
	v_cvt_f64_f32_e32 v[11:12], v3
.LBB7_1503:
	s_mov_b64 s[0:1], 0
.LBB7_1504:
	s_andn2_b64 vcc, exec, s[0:1]
	s_cbranch_vccnz .LBB7_1524
; %bb.1505:
	s_cmp_lt_i32 s4, 2
	s_cbranch_scc1 .LBB7_1509
; %bb.1506:
	s_cmp_lt_i32 s4, 3
	s_cbranch_scc1 .LBB7_1510
; %bb.1507:
	s_cmp_gt_i32 s4, 3
	s_cbranch_scc0 .LBB7_1511
; %bb.1508:
	global_load_dwordx2 v[10:11], v[15:16], off
	s_mov_b64 s[0:1], 0
	s_waitcnt vmcnt(0)
	v_cvt_f64_i32_e32 v[11:12], v11
	v_cvt_f64_u32_e32 v[17:18], v10
	v_ldexp_f64 v[11:12], v[11:12], 32
	v_add_f64 v[11:12], v[11:12], v[17:18]
	s_branch .LBB7_1512
.LBB7_1509:
	s_mov_b64 s[0:1], -1
                                        ; implicit-def: $vgpr11_vgpr12
	s_branch .LBB7_1518
.LBB7_1510:
	s_mov_b64 s[0:1], -1
                                        ; implicit-def: $vgpr11_vgpr12
	s_branch .LBB7_1515
.LBB7_1511:
	s_mov_b64 s[0:1], -1
                                        ; implicit-def: $vgpr11_vgpr12
.LBB7_1512:
	s_andn2_b64 vcc, exec, s[0:1]
	s_cbranch_vccnz .LBB7_1514
; %bb.1513:
	global_load_dword v3, v[15:16], off
	s_waitcnt vmcnt(0)
	v_cvt_f64_i32_e32 v[11:12], v3
.LBB7_1514:
	s_mov_b64 s[0:1], 0
.LBB7_1515:
	s_andn2_b64 vcc, exec, s[0:1]
	s_cbranch_vccnz .LBB7_1517
; %bb.1516:
	global_load_sshort v3, v[15:16], off
	s_waitcnt vmcnt(0)
	v_cvt_f64_i32_e32 v[11:12], v3
.LBB7_1517:
	s_mov_b64 s[0:1], 0
.LBB7_1518:
	s_andn2_b64 vcc, exec, s[0:1]
	s_cbranch_vccnz .LBB7_1524
; %bb.1519:
	s_cmp_gt_i32 s4, 0
	s_cbranch_scc0 .LBB7_1521
; %bb.1520:
	global_load_sbyte v3, v[15:16], off
	s_mov_b64 s[0:1], 0
	s_waitcnt vmcnt(0)
	v_cvt_f64_i32_e32 v[11:12], v3
	s_branch .LBB7_1522
.LBB7_1521:
	s_mov_b64 s[0:1], -1
                                        ; implicit-def: $vgpr11_vgpr12
.LBB7_1522:
	s_andn2_b64 vcc, exec, s[0:1]
	s_cbranch_vccnz .LBB7_1524
; %bb.1523:
	global_load_ubyte v3, v[15:16], off
	s_waitcnt vmcnt(0)
	v_cvt_f64_u32_e32 v[11:12], v3
.LBB7_1524:
.LBB7_1525:
	v_mov_b32_e32 v3, s11
	v_add_co_u32_e32 v15, vcc, s10, v9
	s_cmp_lt_i32 s16, 11
	v_addc_co_u32_e32 v16, vcc, 0, v3, vcc
	s_cbranch_scc1 .LBB7_1532
; %bb.1526:
	s_and_b32 s14, 0xffff, s16
	s_cmp_gt_i32 s14, 25
	s_mov_b64 s[4:5], 0
	s_cbranch_scc0 .LBB7_1533
; %bb.1527:
	s_cmp_gt_i32 s14, 28
	s_cbranch_scc0 .LBB7_1534
; %bb.1528:
	s_cmp_gt_i32 s14, 43
	;; [unrolled: 3-line block ×3, first 2 shown]
	s_cbranch_scc0 .LBB7_1537
; %bb.1530:
	s_cmp_eq_u32 s14, 46
	s_mov_b64 s[10:11], 0
	s_cbranch_scc0 .LBB7_1538
; %bb.1531:
	global_load_dword v3, v[15:16], off
	s_mov_b64 s[0:1], 0
	s_mov_b64 s[6:7], -1
	s_waitcnt vmcnt(0)
	v_lshlrev_b32_e32 v3, 16, v3
	v_cvt_f64_f32_e32 v[9:10], v3
	s_branch .LBB7_1539
.LBB7_1532:
	s_mov_b64 s[0:1], -1
	s_mov_b64 s[6:7], 0
                                        ; implicit-def: $vgpr9_vgpr10
	s_branch .LBB7_1605
.LBB7_1533:
	s_mov_b64 s[10:11], -1
	s_mov_b64 s[6:7], 0
	s_mov_b64 s[0:1], 0
                                        ; implicit-def: $vgpr9_vgpr10
	s_branch .LBB7_1570
.LBB7_1534:
	s_mov_b64 s[10:11], -1
	s_mov_b64 s[6:7], 0
	s_mov_b64 s[0:1], 0
                                        ; implicit-def: $vgpr9_vgpr10
	s_branch .LBB7_1549
.LBB7_1535:
	s_mov_b64 s[10:11], -1
	s_mov_b64 s[6:7], 0
	s_mov_b64 s[0:1], 0
                                        ; implicit-def: $vgpr9_vgpr10
	s_branch .LBB7_1544
.LBB7_1536:
	s_trap 2
	s_or_b64 s[2:3], s[2:3], exec
	s_cbranch_execz .LBB7_1475
	s_branch .LBB7_1476
.LBB7_1537:
	s_mov_b64 s[10:11], -1
	s_mov_b64 s[6:7], 0
	s_mov_b64 s[0:1], 0
                                        ; implicit-def: $vgpr9_vgpr10
	s_branch .LBB7_1539
.LBB7_1538:
	s_mov_b64 s[0:1], -1
                                        ; implicit-def: $vgpr9_vgpr10
	s_mov_b64 s[6:7], 0
.LBB7_1539:
	s_and_b64 vcc, exec, s[10:11]
	s_cbranch_vccz .LBB7_1543
; %bb.1540:
	s_cmp_eq_u32 s14, 44
	s_cbranch_scc0 .LBB7_1542
; %bb.1541:
	global_load_ubyte v3, v[15:16], off
	s_movk_i32 s6, 0xff
	v_bfrev_b32_e32 v5, 4
	v_mov_b32_e32 v7, 0x7ff80000
	v_bfrev_b32_e32 v17, 28
	s_mov_b64 s[0:1], 0
	s_waitcnt vmcnt(0)
	v_lshlrev_b32_e32 v9, 23, v3
	v_cvt_f64_f32_e32 v[9:10], v9
	v_cmp_ne_u32_e32 vcc, s6, v3
	s_mov_b64 s[6:7], -1
	v_cndmask_b32_e32 v5, v5, v9, vcc
	v_cndmask_b32_e32 v7, v7, v10, vcc
	v_cmp_ne_u32_e32 vcc, 0, v3
	v_cndmask_b32_e32 v10, v17, v7, vcc
	v_cndmask_b32_e32 v9, 0, v5, vcc
	s_branch .LBB7_1543
.LBB7_1542:
	s_mov_b64 s[0:1], -1
                                        ; implicit-def: $vgpr9_vgpr10
.LBB7_1543:
	s_mov_b64 s[10:11], 0
.LBB7_1544:
	s_and_b64 vcc, exec, s[10:11]
	s_cbranch_vccz .LBB7_1548
; %bb.1545:
	s_cmp_eq_u32 s14, 29
	s_cbranch_scc0 .LBB7_1547
; %bb.1546:
	global_load_dwordx2 v[9:10], v[15:16], off
	s_mov_b64 s[0:1], 0
	s_mov_b64 s[6:7], -1
	s_mov_b64 s[10:11], 0
	s_waitcnt vmcnt(0)
	v_cvt_f64_u32_e32 v[17:18], v10
	v_cvt_f64_u32_e32 v[9:10], v9
	v_ldexp_f64 v[17:18], v[17:18], 32
	v_add_f64 v[9:10], v[17:18], v[9:10]
	s_branch .LBB7_1549
.LBB7_1547:
	s_mov_b64 s[0:1], -1
                                        ; implicit-def: $vgpr9_vgpr10
.LBB7_1548:
	s_mov_b64 s[10:11], 0
.LBB7_1549:
	s_and_b64 vcc, exec, s[10:11]
	s_cbranch_vccz .LBB7_1569
; %bb.1550:
	s_cmp_lt_i32 s14, 27
	s_cbranch_scc1 .LBB7_1553
; %bb.1551:
	s_cmp_gt_i32 s14, 27
	s_cbranch_scc0 .LBB7_1554
; %bb.1552:
	global_load_dword v3, v[15:16], off
	s_mov_b64 s[6:7], 0
	s_waitcnt vmcnt(0)
	v_cvt_f64_u32_e32 v[9:10], v3
	s_branch .LBB7_1555
.LBB7_1553:
	s_mov_b64 s[6:7], -1
                                        ; implicit-def: $vgpr9_vgpr10
	s_branch .LBB7_1558
.LBB7_1554:
	s_mov_b64 s[6:7], -1
                                        ; implicit-def: $vgpr9_vgpr10
.LBB7_1555:
	s_andn2_b64 vcc, exec, s[6:7]
	s_cbranch_vccnz .LBB7_1557
; %bb.1556:
	global_load_ushort v3, v[15:16], off
	s_waitcnt vmcnt(0)
	v_cvt_f64_u32_e32 v[9:10], v3
.LBB7_1557:
	s_mov_b64 s[6:7], 0
.LBB7_1558:
	s_andn2_b64 vcc, exec, s[6:7]
	s_cbranch_vccnz .LBB7_1568
; %bb.1559:
	global_load_ubyte v3, v[15:16], off
	s_movk_i32 s6, 0x7f
	s_waitcnt vmcnt(0)
	v_cmp_lt_i16_e32 vcc, s6, v3
	s_mov_b64 s[6:7], 0
	s_and_saveexec_b64 s[10:11], vcc
	s_xor_b64 s[10:11], exec, s[10:11]
	s_cbranch_execz .LBB7_1563
; %bb.1560:
	s_movk_i32 s6, 0x80
	v_cmp_eq_u16_e32 vcc, s6, v3
	s_mov_b64 s[6:7], -1
	s_and_saveexec_b64 s[12:13], vcc
; %bb.1561:
	s_xor_b64 s[6:7], exec, -1
; %bb.1562:
	s_or_b64 exec, exec, s[12:13]
	s_and_b64 s[6:7], s[6:7], exec
.LBB7_1563:
	s_or_saveexec_b64 s[10:11], s[10:11]
	v_bfrev_b32_e32 v9, 4
	v_mov_b32_e32 v10, 0x7ff80000
	s_xor_b64 exec, exec, s[10:11]
; %bb.1564:
	v_cmp_ne_u16_e32 vcc, 0, v3
	v_mov_b32_e32 v9, 0
	s_andn2_b64 s[6:7], s[6:7], exec
	s_and_b64 s[12:13], vcc, exec
	v_mov_b32_e32 v10, 0
	s_or_b64 s[6:7], s[6:7], s[12:13]
; %bb.1565:
	s_or_b64 exec, exec, s[10:11]
	s_and_saveexec_b64 s[10:11], s[6:7]
	s_cbranch_execz .LBB7_1567
; %bb.1566:
	v_lshlrev_b32_e32 v5, 24, v3
	v_and_b32_e32 v3, 0xffff, v3
	v_and_b32_e32 v7, 7, v3
	v_ffbh_u32_e32 v10, v7
	v_min_u32_e32 v10, 32, v10
	v_subrev_u32_e32 v17, 28, v10
	v_bfe_u32 v9, v3, 3, 4
	v_lshlrev_b32_e32 v3, v17, v3
	v_sub_u32_e32 v10, 29, v10
	v_and_b32_e32 v3, 7, v3
	v_cmp_eq_u32_e32 vcc, 0, v9
	v_cndmask_b32_e32 v9, v9, v10, vcc
	v_cndmask_b32_e32 v3, v7, v3, vcc
	v_mov_b32_e32 v7, 0x3b800000
	v_lshlrev_b32_e32 v3, 20, v3
	v_and_b32_e32 v5, 0x80000000, v5
	v_lshl_add_u32 v7, v9, 23, v7
	v_or3_b32 v3, v5, v7, v3
	v_cvt_f64_f32_e32 v[9:10], v3
.LBB7_1567:
	s_or_b64 exec, exec, s[10:11]
.LBB7_1568:
	s_mov_b64 s[6:7], -1
.LBB7_1569:
	s_mov_b64 s[10:11], 0
.LBB7_1570:
	s_and_b64 vcc, exec, s[10:11]
	s_cbranch_vccz .LBB7_1601
; %bb.1571:
	s_cmp_gt_i32 s14, 22
	s_cbranch_scc0 .LBB7_1583
; %bb.1572:
	s_cmp_lt_i32 s14, 24
	s_cbranch_scc1 .LBB7_1584
; %bb.1573:
	s_cmp_gt_i32 s14, 24
	s_cbranch_scc0 .LBB7_1585
; %bb.1574:
	global_load_ubyte v3, v[15:16], off
	s_movk_i32 s4, 0x7f
	s_waitcnt vmcnt(0)
	v_cmp_lt_i16_e32 vcc, s4, v3
	s_mov_b64 s[4:5], 0
	s_and_saveexec_b64 s[6:7], vcc
	s_xor_b64 s[6:7], exec, s[6:7]
	s_cbranch_execz .LBB7_1578
; %bb.1575:
	s_movk_i32 s4, 0x80
	v_cmp_eq_u16_e32 vcc, s4, v3
	s_mov_b64 s[4:5], -1
	s_and_saveexec_b64 s[10:11], vcc
; %bb.1576:
	s_xor_b64 s[4:5], exec, -1
; %bb.1577:
	s_or_b64 exec, exec, s[10:11]
	s_and_b64 s[4:5], s[4:5], exec
.LBB7_1578:
	s_or_saveexec_b64 s[6:7], s[6:7]
	v_bfrev_b32_e32 v9, 4
	v_mov_b32_e32 v10, 0x7ff80000
	s_xor_b64 exec, exec, s[6:7]
; %bb.1579:
	v_cmp_ne_u16_e32 vcc, 0, v3
	v_mov_b32_e32 v9, 0
	s_andn2_b64 s[4:5], s[4:5], exec
	s_and_b64 s[10:11], vcc, exec
	v_mov_b32_e32 v10, 0
	s_or_b64 s[4:5], s[4:5], s[10:11]
; %bb.1580:
	s_or_b64 exec, exec, s[6:7]
	s_and_saveexec_b64 s[6:7], s[4:5]
	s_cbranch_execz .LBB7_1582
; %bb.1581:
	v_lshlrev_b32_e32 v5, 24, v3
	v_and_b32_e32 v3, 0xffff, v3
	v_and_b32_e32 v7, 3, v3
	v_ffbh_u32_e32 v10, v7
	v_min_u32_e32 v10, 32, v10
	v_subrev_u32_e32 v17, 29, v10
	v_bfe_u32 v9, v3, 2, 5
	v_lshlrev_b32_e32 v3, v17, v3
	v_sub_u32_e32 v10, 30, v10
	v_and_b32_e32 v3, 3, v3
	v_cmp_eq_u32_e32 vcc, 0, v9
	v_cndmask_b32_e32 v9, v9, v10, vcc
	v_cndmask_b32_e32 v3, v7, v3, vcc
	v_mov_b32_e32 v7, 0x37800000
	v_lshlrev_b32_e32 v3, 21, v3
	v_and_b32_e32 v5, 0x80000000, v5
	v_lshl_add_u32 v7, v9, 23, v7
	v_or3_b32 v3, v5, v7, v3
	v_cvt_f64_f32_e32 v[9:10], v3
.LBB7_1582:
	s_or_b64 exec, exec, s[6:7]
	s_mov_b64 s[4:5], 0
	s_branch .LBB7_1586
.LBB7_1583:
	s_mov_b64 s[4:5], -1
                                        ; implicit-def: $vgpr9_vgpr10
	s_branch .LBB7_1592
.LBB7_1584:
	s_mov_b64 s[4:5], -1
                                        ; implicit-def: $vgpr9_vgpr10
	s_branch .LBB7_1589
.LBB7_1585:
	s_mov_b64 s[4:5], -1
                                        ; implicit-def: $vgpr9_vgpr10
.LBB7_1586:
	s_and_b64 vcc, exec, s[4:5]
	s_cbranch_vccz .LBB7_1588
; %bb.1587:
	global_load_ubyte v3, v[15:16], off
	s_mov_b32 s4, 0x7f800000
	s_waitcnt vmcnt(0)
	v_lshlrev_b32_e32 v3, 24, v3
	v_and_b32_e32 v5, 0x7f000000, v3
	v_ffbh_u32_e32 v7, v5
	v_min_u32_e32 v7, 32, v7
	v_sub_u32_e64 v7, v7, 4 clamp
	v_lshlrev_b32_e32 v10, v7, v5
	v_lshlrev_b32_e32 v7, 23, v7
	v_lshrrev_b32_e32 v10, 4, v10
	v_add_u32_e32 v9, 0x1000000, v5
	v_sub_u32_e32 v7, v10, v7
	v_ashrrev_i32_e32 v9, 8, v9
	v_add_u32_e32 v7, 0x3c000000, v7
	v_and_or_b32 v7, v9, s4, v7
	v_cmp_ne_u32_e32 vcc, 0, v5
	v_cndmask_b32_e32 v5, 0, v7, vcc
	s_brev_b32 s4, 1
	v_and_or_b32 v3, v3, s4, v5
	v_cvt_f64_f32_e32 v[9:10], v3
.LBB7_1588:
	s_mov_b64 s[4:5], 0
.LBB7_1589:
	s_andn2_b64 vcc, exec, s[4:5]
	s_cbranch_vccnz .LBB7_1591
; %bb.1590:
	global_load_ubyte v3, v[15:16], off
	s_movk_i32 s4, 0x7f00
	s_brev_b32 s5, 16
	s_waitcnt vmcnt(0)
	v_lshlrev_b16_e32 v5, 8, v3
	v_lshlrev_b32_e32 v3, 25, v3
	v_lshrrev_b32_e32 v7, 4, v3
	v_and_or_b32 v9, v5, s4, 0.5
	v_or_b32_e32 v7, 0x70000000, v7
	v_add_f32_e32 v9, -0.5, v9
	v_mul_f32_e32 v7, 0x7800000, v7
	v_cmp_gt_u32_e32 vcc, s5, v3
	v_bfe_i32 v5, v5, 0, 16
	v_cndmask_b32_e32 v3, v7, v9, vcc
	s_brev_b32 s4, 1
	v_and_or_b32 v3, v5, s4, v3
	v_cvt_f64_f32_e32 v[9:10], v3
.LBB7_1591:
	s_mov_b64 s[4:5], 0
	s_mov_b64 s[6:7], -1
.LBB7_1592:
	s_andn2_b64 vcc, exec, s[4:5]
	s_mov_b64 s[4:5], 0
	s_cbranch_vccnz .LBB7_1601
; %bb.1593:
	s_cmp_gt_i32 s14, 14
	s_cbranch_scc0 .LBB7_1596
; %bb.1594:
	s_cmp_eq_u32 s14, 15
	s_cbranch_scc0 .LBB7_1597
; %bb.1595:
	global_load_ushort v3, v[15:16], off
	s_mov_b64 s[0:1], 0
	s_mov_b64 s[6:7], -1
	s_waitcnt vmcnt(0)
	v_lshlrev_b32_e32 v3, 16, v3
	v_cvt_f64_f32_e32 v[9:10], v3
	s_branch .LBB7_1598
.LBB7_1596:
	s_mov_b64 s[10:11], -1
                                        ; implicit-def: $vgpr9_vgpr10
	s_branch .LBB7_1599
.LBB7_1597:
	s_mov_b64 s[0:1], -1
                                        ; implicit-def: $vgpr9_vgpr10
.LBB7_1598:
	s_mov_b64 s[10:11], 0
.LBB7_1599:
	s_and_b64 vcc, exec, s[10:11]
	s_cbranch_vccz .LBB7_1601
; %bb.1600:
	s_cmp_lg_u32 s14, 11
	s_mov_b64 s[4:5], -1
	s_cselect_b64 s[0:1], -1, 0
.LBB7_1601:
	s_and_b64 vcc, exec, s[0:1]
	s_cbranch_vccnz .LBB7_2134
; %bb.1602:
	s_andn2_b64 vcc, exec, s[4:5]
	s_cbranch_vccnz .LBB7_1604
.LBB7_1603:
	global_load_ubyte v3, v[15:16], off
	v_mov_b32_e32 v5, 0x3ff00000
	v_mov_b32_e32 v9, 0
	s_mov_b64 s[6:7], -1
	s_waitcnt vmcnt(0)
	v_cmp_ne_u16_e32 vcc, 0, v3
	v_cndmask_b32_e32 v10, 0, v5, vcc
.LBB7_1604:
	s_mov_b64 s[0:1], 0
.LBB7_1605:
	s_and_b64 vcc, exec, s[0:1]
	s_cbranch_vccz .LBB7_1654
; %bb.1606:
	s_and_b32 s4, 0xffff, s16
	s_cmp_lt_i32 s4, 5
	s_cbranch_scc1 .LBB7_1611
; %bb.1607:
	s_cmp_lt_i32 s4, 8
	s_cbranch_scc1 .LBB7_1612
; %bb.1608:
	s_cmp_lt_i32 s4, 9
	s_cbranch_scc1 .LBB7_1613
; %bb.1609:
	s_cmp_gt_i32 s4, 9
	s_cbranch_scc0 .LBB7_1614
; %bb.1610:
	global_load_dwordx2 v[9:10], v[15:16], off
	s_mov_b64 s[0:1], 0
	s_branch .LBB7_1615
.LBB7_1611:
	s_mov_b64 s[0:1], -1
                                        ; implicit-def: $vgpr9_vgpr10
	s_branch .LBB7_1633
.LBB7_1612:
	s_mov_b64 s[0:1], -1
                                        ; implicit-def: $vgpr9_vgpr10
	s_branch .LBB7_1621
.LBB7_1613:
	s_mov_b64 s[0:1], -1
                                        ; implicit-def: $vgpr9_vgpr10
	s_branch .LBB7_1618
.LBB7_1614:
	s_mov_b64 s[0:1], -1
                                        ; implicit-def: $vgpr9_vgpr10
.LBB7_1615:
	s_andn2_b64 vcc, exec, s[0:1]
	s_cbranch_vccnz .LBB7_1617
; %bb.1616:
	global_load_dword v3, v[15:16], off
	s_waitcnt vmcnt(0)
	v_cvt_f64_f32_e32 v[9:10], v3
.LBB7_1617:
	s_mov_b64 s[0:1], 0
.LBB7_1618:
	s_andn2_b64 vcc, exec, s[0:1]
	s_cbranch_vccnz .LBB7_1620
; %bb.1619:
	global_load_dword v3, v[15:16], off
	s_waitcnt vmcnt(0)
	v_cvt_f32_f16_e32 v3, v3
	v_cvt_f64_f32_e32 v[9:10], v3
.LBB7_1620:
	s_mov_b64 s[0:1], 0
.LBB7_1621:
	s_andn2_b64 vcc, exec, s[0:1]
	s_cbranch_vccnz .LBB7_1632
; %bb.1622:
	s_cmp_lt_i32 s4, 6
	s_cbranch_scc1 .LBB7_1625
; %bb.1623:
	s_cmp_gt_i32 s4, 6
	s_cbranch_scc0 .LBB7_1626
; %bb.1624:
	global_load_dwordx2 v[9:10], v[15:16], off
	s_mov_b64 s[0:1], 0
	s_branch .LBB7_1627
.LBB7_1625:
	s_mov_b64 s[0:1], -1
                                        ; implicit-def: $vgpr9_vgpr10
	s_branch .LBB7_1630
.LBB7_1626:
	s_mov_b64 s[0:1], -1
                                        ; implicit-def: $vgpr9_vgpr10
.LBB7_1627:
	s_andn2_b64 vcc, exec, s[0:1]
	s_cbranch_vccnz .LBB7_1629
; %bb.1628:
	global_load_dword v3, v[15:16], off
	s_waitcnt vmcnt(0)
	v_cvt_f64_f32_e32 v[9:10], v3
.LBB7_1629:
	s_mov_b64 s[0:1], 0
.LBB7_1630:
	s_andn2_b64 vcc, exec, s[0:1]
	s_cbranch_vccnz .LBB7_1632
; %bb.1631:
	global_load_ushort v3, v[15:16], off
	s_waitcnt vmcnt(0)
	v_cvt_f32_f16_e32 v3, v3
	v_cvt_f64_f32_e32 v[9:10], v3
.LBB7_1632:
	s_mov_b64 s[0:1], 0
.LBB7_1633:
	s_andn2_b64 vcc, exec, s[0:1]
	s_cbranch_vccnz .LBB7_1653
; %bb.1634:
	s_cmp_lt_i32 s4, 2
	s_cbranch_scc1 .LBB7_1638
; %bb.1635:
	s_cmp_lt_i32 s4, 3
	s_cbranch_scc1 .LBB7_1639
; %bb.1636:
	s_cmp_gt_i32 s4, 3
	s_cbranch_scc0 .LBB7_1640
; %bb.1637:
	global_load_dwordx2 v[9:10], v[15:16], off
	s_mov_b64 s[0:1], 0
	s_waitcnt vmcnt(0)
	v_cvt_f64_i32_e32 v[17:18], v10
	v_cvt_f64_u32_e32 v[9:10], v9
	v_ldexp_f64 v[17:18], v[17:18], 32
	v_add_f64 v[9:10], v[17:18], v[9:10]
	s_branch .LBB7_1641
.LBB7_1638:
	s_mov_b64 s[0:1], -1
                                        ; implicit-def: $vgpr9_vgpr10
	s_branch .LBB7_1647
.LBB7_1639:
	s_mov_b64 s[0:1], -1
                                        ; implicit-def: $vgpr9_vgpr10
	s_branch .LBB7_1644
.LBB7_1640:
	s_mov_b64 s[0:1], -1
                                        ; implicit-def: $vgpr9_vgpr10
.LBB7_1641:
	s_andn2_b64 vcc, exec, s[0:1]
	s_cbranch_vccnz .LBB7_1643
; %bb.1642:
	global_load_dword v3, v[15:16], off
	s_waitcnt vmcnt(0)
	v_cvt_f64_i32_e32 v[9:10], v3
.LBB7_1643:
	s_mov_b64 s[0:1], 0
.LBB7_1644:
	s_andn2_b64 vcc, exec, s[0:1]
	s_cbranch_vccnz .LBB7_1646
; %bb.1645:
	global_load_sshort v3, v[15:16], off
	s_waitcnt vmcnt(0)
	v_cvt_f64_i32_e32 v[9:10], v3
.LBB7_1646:
	s_mov_b64 s[0:1], 0
.LBB7_1647:
	s_andn2_b64 vcc, exec, s[0:1]
	s_cbranch_vccnz .LBB7_1653
; %bb.1648:
	s_cmp_gt_i32 s4, 0
	s_cbranch_scc0 .LBB7_1650
; %bb.1649:
	global_load_sbyte v3, v[15:16], off
	s_mov_b64 s[0:1], 0
	s_waitcnt vmcnt(0)
	v_cvt_f64_i32_e32 v[9:10], v3
	s_branch .LBB7_1651
.LBB7_1650:
	s_mov_b64 s[0:1], -1
                                        ; implicit-def: $vgpr9_vgpr10
.LBB7_1651:
	s_andn2_b64 vcc, exec, s[0:1]
	s_cbranch_vccnz .LBB7_1653
; %bb.1652:
	global_load_ubyte v3, v[15:16], off
	s_waitcnt vmcnt(0)
	v_cvt_f64_u32_e32 v[9:10], v3
.LBB7_1653:
	s_mov_b64 s[6:7], -1
.LBB7_1654:
	s_andn2_b64 vcc, exec, s[6:7]
	s_cbranch_vccnz .LBB7_2088
; %bb.1655:
	s_load_dwordx2 s[4:5], s[34:35], 0x158
	s_load_dword s6, s[34:35], 0x160
	v_mov_b32_e32 v3, s9
	s_waitcnt lgkmcnt(0)
	v_cmp_nge_f64_e64 s[0:1], v[0:1], -s[4:5]
	v_cmp_nge_f64_e32 vcc, s[4:5], v[0:1]
	s_and_b32 s16, s6, 0xff
	s_or_b64 vcc, s[0:1], vcc
	v_cndmask_b32_e32 v1, 0, v1, vcc
	v_cndmask_b32_e32 v0, 0, v0, vcc
	v_add_co_u32_e32 v15, vcc, s8, v2
	s_cmp_lt_i32 s16, 11
	v_addc_co_u32_e32 v16, vcc, 0, v3, vcc
	s_cbranch_scc1 .LBB7_1733
; %bb.1656:
	s_and_b32 s17, 0xffff, s16
	s_mov_b64 s[12:13], -1
	s_mov_b64 s[6:7], 0
	s_cmp_gt_i32 s17, 25
	s_mov_b64 s[10:11], 0
	s_mov_b64 s[0:1], 0
	s_cbranch_scc0 .LBB7_1689
; %bb.1657:
	s_cmp_gt_i32 s17, 28
	s_cbranch_scc0 .LBB7_1672
; %bb.1658:
	s_cmp_gt_i32 s17, 43
	;; [unrolled: 3-line block ×3, first 2 shown]
	s_cbranch_scc0 .LBB7_1662
; %bb.1660:
	s_mov_b64 s[0:1], -1
	s_mov_b64 s[12:13], 0
	s_cmp_eq_u32 s17, 46
	s_cbranch_scc0 .LBB7_1662
; %bb.1661:
	v_cvt_f32_f64_e32 v2, v[0:1]
	s_movk_i32 s0, 0x7fff
	v_mov_b32_e32 v3, 0x7fc0
	s_mov_b64 s[10:11], -1
	v_bfe_u32 v5, v2, 16, 1
	v_cmp_o_f32_e32 vcc, v2, v2
	v_add3_u32 v2, v2, v5, s0
	v_cndmask_b32_sdwa v2, v3, v2, vcc dst_sel:DWORD dst_unused:UNUSED_PAD src0_sel:DWORD src1_sel:WORD_1
	global_store_dword v[15:16], v2, off
	s_mov_b64 s[0:1], 0
.LBB7_1662:
	s_and_b64 vcc, exec, s[12:13]
	s_cbranch_vccz .LBB7_1667
; %bb.1663:
	s_cmp_eq_u32 s17, 44
	s_mov_b64 s[0:1], -1
	s_cbranch_scc0 .LBB7_1667
; %bb.1664:
	v_cvt_f32_f64_e32 v2, v[0:1]
	s_movk_i32 s0, 0xff
	v_mov_b32_e32 v5, 0xff
	v_bfe_u32 v3, v2, 23, 8
	v_cmp_ne_u32_e32 vcc, s0, v3
	s_and_saveexec_b64 s[10:11], vcc
; %bb.1665:
	s_mov_b32 s0, 0x3fffff
	v_lshrrev_b32_e32 v5, 23, v2
	v_and_b32_e32 v7, 0x400000, v2
	v_and_or_b32 v2, v2, s0, v3
	v_cmp_ne_u32_e32 vcc, 0, v7
	v_cmp_ne_u32_e64 s[0:1], 0, v2
	s_and_b64 s[0:1], vcc, s[0:1]
	v_cndmask_b32_e64 v2, 0, 1, s[0:1]
	v_add_u32_e32 v5, v5, v2
; %bb.1666:
	s_or_b64 exec, exec, s[10:11]
	s_mov_b64 s[0:1], 0
	s_mov_b64 s[10:11], -1
	global_store_byte v[15:16], v5, off
.LBB7_1667:
	s_mov_b64 s[12:13], 0
.LBB7_1668:
	s_and_b64 vcc, exec, s[12:13]
	s_cbranch_vccz .LBB7_1671
; %bb.1669:
	s_cmp_eq_u32 s17, 29
	s_mov_b64 s[0:1], -1
	s_cbranch_scc0 .LBB7_1671
; %bb.1670:
	v_trunc_f64_e32 v[2:3], v[0:1]
	s_movk_i32 s0, 0xffe0
	s_mov_b64 s[10:11], -1
	v_ldexp_f64 v[17:18], v[2:3], s0
	s_mov_b32 s0, 0
	s_mov_b32 s1, 0xc1f00000
	v_floor_f64_e32 v[17:18], v[17:18]
	v_fma_f64 v[2:3], v[17:18], s[0:1], v[2:3]
	v_cvt_u32_f64_e32 v18, v[17:18]
	s_mov_b64 s[0:1], 0
	v_cvt_u32_f64_e32 v17, v[2:3]
	global_store_dwordx2 v[15:16], v[17:18], off
.LBB7_1671:
	s_mov_b64 s[12:13], 0
.LBB7_1672:
	s_and_b64 vcc, exec, s[12:13]
	s_cbranch_vccz .LBB7_1688
; %bb.1673:
	s_cmp_lt_i32 s17, 27
	s_mov_b64 s[10:11], -1
	s_cbranch_scc1 .LBB7_1679
; %bb.1674:
	v_cvt_u32_f64_e32 v2, v[0:1]
	s_cmp_gt_i32 s17, 27
	s_cbranch_scc0 .LBB7_1676
; %bb.1675:
	s_mov_b64 s[10:11], 0
	global_store_dword v[15:16], v2, off
.LBB7_1676:
	s_andn2_b64 vcc, exec, s[10:11]
	s_cbranch_vccnz .LBB7_1678
; %bb.1677:
	global_store_short v[15:16], v2, off
.LBB7_1678:
	s_mov_b64 s[10:11], 0
.LBB7_1679:
	s_andn2_b64 vcc, exec, s[10:11]
	s_cbranch_vccnz .LBB7_1687
; %bb.1680:
	v_cvt_f32_f64_e32 v2, v[0:1]
	s_mov_b32 s10, 0x43800000
	v_mov_b32_e32 v5, 0x80
	v_and_b32_e32 v3, 0x7fffffff, v2
	v_cmp_gt_u32_e32 vcc, s10, v3
	s_and_saveexec_b64 s[10:11], vcc
	s_cbranch_execz .LBB7_1686
; %bb.1681:
	s_mov_b32 s12, 0x3bffffff
	v_cmp_lt_u32_e32 vcc, s12, v3
	s_mov_b64 s[12:13], 0
                                        ; implicit-def: $vgpr3
	s_and_saveexec_b64 s[14:15], vcc
	s_xor_b64 s[14:15], exec, s[14:15]
	s_cbranch_execz .LBB7_2135
; %bb.1682:
	v_bfe_u32 v3, v2, 20, 1
	s_mov_b32 s18, 0x487ffff
	v_add3_u32 v3, v2, v3, s18
	s_mov_b64 s[12:13], exec
	v_lshrrev_b32_e32 v3, 20, v3
	s_andn2_saveexec_b64 s[14:15], s[14:15]
	s_cbranch_execnz .LBB7_2136
.LBB7_1683:
	s_or_b64 exec, exec, s[14:15]
	v_mov_b32_e32 v5, 0
	s_and_saveexec_b64 s[14:15], s[12:13]
.LBB7_1684:
	v_lshrrev_b32_e32 v2, 24, v2
	s_movk_i32 s12, 0x80
	v_and_or_b32 v5, v2, s12, v3
.LBB7_1685:
	s_or_b64 exec, exec, s[14:15]
.LBB7_1686:
	s_or_b64 exec, exec, s[10:11]
	global_store_byte v[15:16], v5, off
.LBB7_1687:
	s_mov_b64 s[10:11], -1
.LBB7_1688:
	s_mov_b64 s[12:13], 0
.LBB7_1689:
	s_and_b64 vcc, exec, s[12:13]
	s_cbranch_vccz .LBB7_1729
; %bb.1690:
	s_cmp_gt_i32 s17, 22
	s_mov_b64 s[6:7], -1
	s_cbranch_scc0 .LBB7_1722
; %bb.1691:
	s_cmp_lt_i32 s17, 24
	s_cbranch_scc1 .LBB7_1711
; %bb.1692:
	s_cmp_gt_i32 s17, 24
	s_cbranch_scc0 .LBB7_1700
; %bb.1693:
	v_cvt_f32_f64_e32 v2, v[0:1]
	s_mov_b32 s6, 0x47800000
	v_mov_b32_e32 v5, 0x80
	v_and_b32_e32 v3, 0x7fffffff, v2
	v_cmp_gt_u32_e32 vcc, s6, v3
	s_and_saveexec_b64 s[6:7], vcc
	s_cbranch_execz .LBB7_1699
; %bb.1694:
	s_mov_b32 s10, 0x37ffffff
	v_cmp_lt_u32_e32 vcc, s10, v3
	s_mov_b64 s[10:11], 0
                                        ; implicit-def: $vgpr3
	s_and_saveexec_b64 s[12:13], vcc
	s_xor_b64 s[12:13], exec, s[12:13]
	s_cbranch_execz .LBB7_2138
; %bb.1695:
	v_bfe_u32 v3, v2, 21, 1
	s_mov_b32 s14, 0x88fffff
	v_add3_u32 v3, v2, v3, s14
	s_mov_b64 s[10:11], exec
	v_lshrrev_b32_e32 v3, 21, v3
	s_andn2_saveexec_b64 s[12:13], s[12:13]
	s_cbranch_execnz .LBB7_2139
.LBB7_1696:
	s_or_b64 exec, exec, s[12:13]
	v_mov_b32_e32 v5, 0
	s_and_saveexec_b64 s[12:13], s[10:11]
.LBB7_1697:
	v_lshrrev_b32_e32 v2, 24, v2
	s_movk_i32 s10, 0x80
	v_and_or_b32 v5, v2, s10, v3
.LBB7_1698:
	s_or_b64 exec, exec, s[12:13]
.LBB7_1699:
	s_or_b64 exec, exec, s[6:7]
	s_mov_b64 s[6:7], 0
	global_store_byte v[15:16], v5, off
.LBB7_1700:
	s_and_b64 vcc, exec, s[6:7]
	s_cbranch_vccz .LBB7_1710
; %bb.1701:
	v_cvt_f32_f64_e32 v2, v[0:1]
	s_mov_b32 s6, 0x43f00000
                                        ; implicit-def: $vgpr3
	v_and_b32_e32 v5, 0x7fffffff, v2
	v_cmp_gt_u32_e32 vcc, s6, v5
	s_and_saveexec_b64 s[6:7], vcc
	s_xor_b64 s[6:7], exec, s[6:7]
	s_cbranch_execz .LBB7_1707
; %bb.1702:
	s_mov_b32 s10, 0x3c7fffff
	v_cmp_lt_u32_e32 vcc, s10, v5
                                        ; implicit-def: $vgpr3
	s_and_saveexec_b64 s[10:11], vcc
	s_xor_b64 s[10:11], exec, s[10:11]
; %bb.1703:
	v_bfe_u32 v3, v2, 20, 1
	s_mov_b32 s12, 0x407ffff
	v_add3_u32 v3, v2, v3, s12
	v_lshrrev_b32_e32 v5, 20, v3
	v_and_b32_e32 v3, 0xff00000, v3
	s_mov_b32 s12, 0x7f00000
	v_mov_b32_e32 v7, 0x7e
	v_cmp_ne_u32_e32 vcc, s12, v3
	v_cndmask_b32_e32 v3, v7, v5, vcc
; %bb.1704:
	s_andn2_saveexec_b64 s[10:11], s[10:11]
; %bb.1705:
	s_mov_b32 s12, 0x46800000
	v_add_f32_e64 v3, |v2|, s12
; %bb.1706:
	s_or_b64 exec, exec, s[10:11]
                                        ; implicit-def: $vgpr5
.LBB7_1707:
	s_andn2_saveexec_b64 s[6:7], s[6:7]
; %bb.1708:
	s_mov_b32 s10, 0x7f800000
	v_mov_b32_e32 v3, 0x7e
	v_mov_b32_e32 v7, 0x7f
	v_cmp_lt_u32_e32 vcc, s10, v5
	v_cndmask_b32_e32 v3, v3, v7, vcc
; %bb.1709:
	s_or_b64 exec, exec, s[6:7]
	v_lshrrev_b32_e32 v2, 24, v2
	s_movk_i32 s6, 0x80
	v_and_or_b32 v2, v2, s6, v3
	global_store_byte v[15:16], v2, off
.LBB7_1710:
	s_mov_b64 s[6:7], 0
.LBB7_1711:
	s_andn2_b64 vcc, exec, s[6:7]
	s_cbranch_vccnz .LBB7_1721
; %bb.1712:
	v_cvt_f32_f64_e32 v2, v[0:1]
	s_mov_b32 s6, 0x47800000
                                        ; implicit-def: $vgpr3
	v_and_b32_e32 v5, 0x7fffffff, v2
	v_cmp_gt_u32_e32 vcc, s6, v5
	s_and_saveexec_b64 s[6:7], vcc
	s_xor_b64 s[6:7], exec, s[6:7]
	s_cbranch_execz .LBB7_1718
; %bb.1713:
	s_mov_b32 s10, 0x387fffff
	v_cmp_lt_u32_e32 vcc, s10, v5
                                        ; implicit-def: $vgpr3
	s_and_saveexec_b64 s[10:11], vcc
	s_xor_b64 s[10:11], exec, s[10:11]
; %bb.1714:
	v_bfe_u32 v3, v2, 21, 1
	s_mov_b32 s12, 0x80fffff
	v_add3_u32 v3, v2, v3, s12
	v_lshrrev_b32_e32 v3, 21, v3
; %bb.1715:
	s_andn2_saveexec_b64 s[10:11], s[10:11]
; %bb.1716:
	s_mov_b32 s12, 0x43000000
	v_add_f32_e64 v3, |v2|, s12
; %bb.1717:
	s_or_b64 exec, exec, s[10:11]
                                        ; implicit-def: $vgpr5
.LBB7_1718:
	s_andn2_saveexec_b64 s[6:7], s[6:7]
; %bb.1719:
	s_mov_b32 s10, 0x7f800000
	v_mov_b32_e32 v3, 0x7c
	v_mov_b32_e32 v7, 0x7f
	v_cmp_lt_u32_e32 vcc, s10, v5
	v_cndmask_b32_e32 v3, v3, v7, vcc
; %bb.1720:
	s_or_b64 exec, exec, s[6:7]
	v_lshrrev_b32_e32 v2, 24, v2
	s_movk_i32 s6, 0x80
	v_and_or_b32 v2, v2, s6, v3
	global_store_byte v[15:16], v2, off
.LBB7_1721:
	s_mov_b64 s[6:7], 0
	s_mov_b64 s[10:11], -1
.LBB7_1722:
	s_andn2_b64 vcc, exec, s[6:7]
	s_mov_b64 s[6:7], 0
	s_cbranch_vccnz .LBB7_1729
; %bb.1723:
	s_cmp_gt_i32 s17, 14
	s_mov_b64 s[12:13], -1
	s_cbranch_scc0 .LBB7_1727
; %bb.1724:
	s_cmp_eq_u32 s17, 15
	s_mov_b64 s[0:1], -1
	s_cbranch_scc0 .LBB7_1726
; %bb.1725:
	v_cvt_f32_f64_e32 v2, v[0:1]
	s_movk_i32 s0, 0x7fff
	v_mov_b32_e32 v3, 0x7fc0
	s_mov_b64 s[10:11], -1
	v_bfe_u32 v5, v2, 16, 1
	v_cmp_o_f32_e32 vcc, v2, v2
	v_add3_u32 v2, v2, v5, s0
	v_cndmask_b32_sdwa v2, v3, v2, vcc dst_sel:DWORD dst_unused:UNUSED_PAD src0_sel:DWORD src1_sel:WORD_1
	global_store_short v[15:16], v2, off
	s_mov_b64 s[0:1], 0
.LBB7_1726:
	s_mov_b64 s[12:13], 0
.LBB7_1727:
	s_and_b64 vcc, exec, s[12:13]
	s_cbranch_vccz .LBB7_1729
; %bb.1728:
	s_cmp_lg_u32 s17, 11
	s_mov_b64 s[6:7], -1
	s_cselect_b64 s[0:1], -1, 0
.LBB7_1729:
	s_and_b64 vcc, exec, s[0:1]
	s_cbranch_vccnz .LBB7_2137
; %bb.1730:
	s_andn2_b64 vcc, exec, s[6:7]
	s_cbranch_vccnz .LBB7_1732
.LBB7_1731:
	v_cmp_neq_f64_e32 vcc, 0, v[0:1]
	s_mov_b64 s[10:11], -1
	v_cndmask_b32_e64 v2, 0, 1, vcc
	global_store_byte v[15:16], v2, off
.LBB7_1732:
	s_mov_b64 s[0:1], 0
	s_branch .LBB7_1734
.LBB7_1733:
	s_mov_b64 s[0:1], -1
	s_mov_b64 s[10:11], 0
.LBB7_1734:
	s_and_b64 vcc, exec, s[0:1]
	s_cbranch_vccz .LBB7_1773
; %bb.1735:
	s_and_b32 s6, 0xffff, s16
	s_cmp_lt_i32 s6, 5
	s_mov_b64 s[0:1], -1
	s_cbranch_scc1 .LBB7_1756
; %bb.1736:
	s_cmp_lt_i32 s6, 8
	s_cbranch_scc1 .LBB7_1746
; %bb.1737:
	s_cmp_lt_i32 s6, 9
	s_cbranch_scc1 .LBB7_1743
; %bb.1738:
	s_cmp_gt_i32 s6, 9
	s_cbranch_scc0 .LBB7_1740
; %bb.1739:
	v_mov_b32_e32 v2, 0
	v_mov_b32_e32 v3, v2
	global_store_dwordx4 v[15:16], v[0:3], off
	s_mov_b64 s[0:1], 0
.LBB7_1740:
	s_andn2_b64 vcc, exec, s[0:1]
	s_cbranch_vccnz .LBB7_1742
; %bb.1741:
	v_cvt_f32_f64_e32 v2, v[0:1]
	v_mov_b32_e32 v3, 0
	global_store_dwordx2 v[15:16], v[2:3], off
.LBB7_1742:
	s_mov_b64 s[0:1], 0
.LBB7_1743:
	s_andn2_b64 vcc, exec, s[0:1]
	s_cbranch_vccnz .LBB7_1745
; %bb.1744:
	s_movk_i32 s0, 0x1ff
	v_and_or_b32 v2, v1, s0, v0
	v_cmp_ne_u32_e32 vcc, 0, v2
	v_cndmask_b32_e64 v2, 0, 1, vcc
	v_lshrrev_b32_e32 v3, 8, v1
	s_movk_i32 s0, 0xffe
	v_bfe_u32 v5, v1, 20, 11
	v_and_or_b32 v2, v3, s0, v2
	v_sub_u32_e32 v7, 0x3f1, v5
	v_or_b32_e32 v3, 0x1000, v2
	v_med3_i32 v7, v7, 0, 13
	v_lshrrev_b32_e32 v17, v7, v3
	v_lshlrev_b32_e32 v7, v7, v17
	v_cmp_ne_u32_e32 vcc, v7, v3
	v_cndmask_b32_e64 v3, 0, 1, vcc
	v_add_u32_e32 v5, 0xfffffc10, v5
	v_or_b32_e32 v3, v17, v3
	v_lshl_or_b32 v7, v5, 12, v2
	v_cmp_gt_i32_e32 vcc, 1, v5
	v_cndmask_b32_e32 v3, v7, v3, vcc
	v_and_b32_e32 v7, 7, v3
	v_cmp_lt_i32_e32 vcc, 5, v7
	v_cndmask_b32_e64 v17, 0, 1, vcc
	v_cmp_eq_u32_e32 vcc, 3, v7
	v_cndmask_b32_e64 v7, 0, 1, vcc
	v_or_b32_e32 v7, v7, v17
	v_lshrrev_b32_e32 v3, 2, v3
	v_add_u32_e32 v3, v3, v7
	v_mov_b32_e32 v7, 0x7c00
	v_cmp_gt_i32_e32 vcc, 31, v5
	v_cndmask_b32_e32 v3, v7, v3, vcc
	v_mov_b32_e32 v17, 0x7e00
	v_cmp_ne_u32_e32 vcc, 0, v2
	s_movk_i32 s0, 0x40f
	v_cndmask_b32_e32 v2, v7, v17, vcc
	v_cmp_eq_u32_e32 vcc, s0, v5
	v_cndmask_b32_e32 v2, v3, v2, vcc
	v_lshrrev_b32_e32 v3, 16, v1
	s_mov_b32 s0, 0x8000
	v_and_or_b32 v2, v3, s0, v2
	v_and_b32_e32 v2, 0xffff, v2
	global_store_dword v[15:16], v2, off
.LBB7_1745:
	s_mov_b64 s[0:1], 0
.LBB7_1746:
	s_andn2_b64 vcc, exec, s[0:1]
	s_cbranch_vccnz .LBB7_1755
; %bb.1747:
	s_cmp_lt_i32 s6, 6
	s_mov_b64 s[0:1], -1
	s_cbranch_scc1 .LBB7_1753
; %bb.1748:
	s_cmp_gt_i32 s6, 6
	s_cbranch_scc0 .LBB7_1750
; %bb.1749:
	global_store_dwordx2 v[15:16], v[0:1], off
	s_mov_b64 s[0:1], 0
.LBB7_1750:
	s_andn2_b64 vcc, exec, s[0:1]
	s_cbranch_vccnz .LBB7_1752
; %bb.1751:
	v_cvt_f32_f64_e32 v2, v[0:1]
	global_store_dword v[15:16], v2, off
.LBB7_1752:
	s_mov_b64 s[0:1], 0
.LBB7_1753:
	s_andn2_b64 vcc, exec, s[0:1]
	s_cbranch_vccnz .LBB7_1755
; %bb.1754:
	s_movk_i32 s0, 0x1ff
	v_and_or_b32 v2, v1, s0, v0
	v_cmp_ne_u32_e32 vcc, 0, v2
	v_cndmask_b32_e64 v2, 0, 1, vcc
	v_lshrrev_b32_e32 v3, 8, v1
	s_movk_i32 s0, 0xffe
	v_bfe_u32 v5, v1, 20, 11
	v_and_or_b32 v2, v3, s0, v2
	v_sub_u32_e32 v7, 0x3f1, v5
	v_or_b32_e32 v3, 0x1000, v2
	v_med3_i32 v7, v7, 0, 13
	v_lshrrev_b32_e32 v17, v7, v3
	v_lshlrev_b32_e32 v7, v7, v17
	v_cmp_ne_u32_e32 vcc, v7, v3
	v_cndmask_b32_e64 v3, 0, 1, vcc
	v_add_u32_e32 v5, 0xfffffc10, v5
	v_or_b32_e32 v3, v17, v3
	v_lshl_or_b32 v7, v5, 12, v2
	v_cmp_gt_i32_e32 vcc, 1, v5
	v_cndmask_b32_e32 v3, v7, v3, vcc
	v_and_b32_e32 v7, 7, v3
	v_cmp_lt_i32_e32 vcc, 5, v7
	v_cndmask_b32_e64 v17, 0, 1, vcc
	v_cmp_eq_u32_e32 vcc, 3, v7
	v_cndmask_b32_e64 v7, 0, 1, vcc
	v_or_b32_e32 v7, v7, v17
	v_lshrrev_b32_e32 v3, 2, v3
	v_add_u32_e32 v3, v3, v7
	v_mov_b32_e32 v7, 0x7c00
	v_cmp_gt_i32_e32 vcc, 31, v5
	v_cndmask_b32_e32 v3, v7, v3, vcc
	v_mov_b32_e32 v17, 0x7e00
	v_cmp_ne_u32_e32 vcc, 0, v2
	s_movk_i32 s0, 0x40f
	v_cndmask_b32_e32 v2, v7, v17, vcc
	v_cmp_eq_u32_e32 vcc, s0, v5
	v_cndmask_b32_e32 v2, v3, v2, vcc
	v_lshrrev_b32_e32 v3, 16, v1
	s_mov_b32 s0, 0x8000
	v_and_or_b32 v2, v3, s0, v2
	global_store_short v[15:16], v2, off
.LBB7_1755:
	s_mov_b64 s[0:1], 0
.LBB7_1756:
	s_andn2_b64 vcc, exec, s[0:1]
	s_cbranch_vccnz .LBB7_1772
; %bb.1757:
	s_cmp_lt_i32 s6, 2
	s_mov_b64 s[0:1], -1
	s_cbranch_scc1 .LBB7_1767
; %bb.1758:
	s_cmp_lt_i32 s6, 3
	s_cbranch_scc1 .LBB7_1764
; %bb.1759:
	s_cmp_gt_i32 s6, 3
	s_cbranch_scc0 .LBB7_1761
; %bb.1760:
	v_trunc_f64_e32 v[2:3], v[0:1]
	s_movk_i32 s0, 0xffe0
	v_ldexp_f64 v[17:18], v[2:3], s0
	s_mov_b32 s0, 0
	s_mov_b32 s1, 0xc1f00000
	v_floor_f64_e32 v[17:18], v[17:18]
	v_fma_f64 v[2:3], v[17:18], s[0:1], v[2:3]
	v_cvt_i32_f64_e32 v18, v[17:18]
	s_mov_b64 s[0:1], 0
	v_cvt_u32_f64_e32 v17, v[2:3]
	global_store_dwordx2 v[15:16], v[17:18], off
.LBB7_1761:
	s_andn2_b64 vcc, exec, s[0:1]
	s_cbranch_vccnz .LBB7_1763
; %bb.1762:
	v_cvt_i32_f64_e32 v2, v[0:1]
	global_store_dword v[15:16], v2, off
.LBB7_1763:
	s_mov_b64 s[0:1], 0
.LBB7_1764:
	s_andn2_b64 vcc, exec, s[0:1]
	s_cbranch_vccnz .LBB7_1766
; %bb.1765:
	v_cvt_i32_f64_e32 v2, v[0:1]
	global_store_short v[15:16], v2, off
.LBB7_1766:
	s_mov_b64 s[0:1], 0
.LBB7_1767:
	s_andn2_b64 vcc, exec, s[0:1]
	s_cbranch_vccnz .LBB7_1772
; %bb.1768:
	s_cmp_gt_i32 s6, 0
	s_mov_b64 s[0:1], -1
	s_cbranch_scc0 .LBB7_1770
; %bb.1769:
	v_cvt_i32_f64_e32 v2, v[0:1]
	s_mov_b64 s[0:1], 0
	global_store_byte v[15:16], v2, off
.LBB7_1770:
	s_andn2_b64 vcc, exec, s[0:1]
	s_cbranch_vccnz .LBB7_1772
; %bb.1771:
	v_trunc_f64_e32 v[0:1], v[0:1]
	s_movk_i32 s0, 0xffe0
	v_ldexp_f64 v[2:3], v[0:1], s0
	s_mov_b32 s0, 0
	s_mov_b32 s1, 0xc1f00000
	v_floor_f64_e32 v[2:3], v[2:3]
	v_fma_f64 v[0:1], v[2:3], s[0:1], v[0:1]
	v_cvt_u32_f64_e32 v0, v[0:1]
	global_store_byte v[15:16], v0, off
.LBB7_1772:
	s_mov_b64 s[10:11], -1
.LBB7_1773:
	s_andn2_b64 vcc, exec, s[10:11]
	s_cbranch_vccnz .LBB7_2088
; %bb.1774:
	v_cmp_nge_f64_e64 s[0:1], v[13:14], -s[4:5]
	v_cmp_nge_f64_e32 vcc, s[4:5], v[13:14]
	v_mov_b32_e32 v2, s9
	s_and_b32 s17, 0xffff, s16
	s_or_b64 vcc, s[0:1], vcc
	v_cndmask_b32_e32 v1, 0, v14, vcc
	v_cndmask_b32_e32 v0, 0, v13, vcc
	v_add_co_u32_e32 v7, vcc, s8, v8
	s_cmp_lt_i32 s17, 11
	v_addc_co_u32_e32 v8, vcc, 0, v2, vcc
	s_cbranch_scc1 .LBB7_1852
; %bb.1775:
	s_mov_b64 s[12:13], -1
	s_mov_b64 s[6:7], 0
	s_cmp_gt_i32 s17, 25
	s_mov_b64 s[10:11], 0
	s_mov_b64 s[0:1], 0
	s_cbranch_scc0 .LBB7_1808
; %bb.1776:
	s_cmp_gt_i32 s17, 28
	s_cbranch_scc0 .LBB7_1791
; %bb.1777:
	s_cmp_gt_i32 s17, 43
	s_cbranch_scc0 .LBB7_1787
; %bb.1778:
	s_cmp_gt_i32 s17, 45
	s_cbranch_scc0 .LBB7_1781
; %bb.1779:
	s_mov_b64 s[0:1], -1
	s_mov_b64 s[12:13], 0
	s_cmp_eq_u32 s17, 46
	s_cbranch_scc0 .LBB7_1781
; %bb.1780:
	v_cvt_f32_f64_e32 v2, v[0:1]
	s_movk_i32 s0, 0x7fff
	v_mov_b32_e32 v3, 0x7fc0
	s_mov_b64 s[10:11], -1
	v_bfe_u32 v5, v2, 16, 1
	v_cmp_o_f32_e32 vcc, v2, v2
	v_add3_u32 v2, v2, v5, s0
	v_cndmask_b32_sdwa v2, v3, v2, vcc dst_sel:DWORD dst_unused:UNUSED_PAD src0_sel:DWORD src1_sel:WORD_1
	global_store_dword v[7:8], v2, off
	s_mov_b64 s[0:1], 0
.LBB7_1781:
	s_and_b64 vcc, exec, s[12:13]
	s_cbranch_vccz .LBB7_1786
; %bb.1782:
	s_cmp_eq_u32 s17, 44
	s_mov_b64 s[0:1], -1
	s_cbranch_scc0 .LBB7_1786
; %bb.1783:
	v_cvt_f32_f64_e32 v2, v[0:1]
	s_movk_i32 s0, 0xff
	v_mov_b32_e32 v5, 0xff
	v_bfe_u32 v3, v2, 23, 8
	v_cmp_ne_u32_e32 vcc, s0, v3
	s_and_saveexec_b64 s[10:11], vcc
; %bb.1784:
	s_mov_b32 s0, 0x3fffff
	v_lshrrev_b32_e32 v5, 23, v2
	v_and_b32_e32 v13, 0x400000, v2
	v_and_or_b32 v2, v2, s0, v3
	v_cmp_ne_u32_e32 vcc, 0, v13
	v_cmp_ne_u32_e64 s[0:1], 0, v2
	s_and_b64 s[0:1], vcc, s[0:1]
	v_cndmask_b32_e64 v2, 0, 1, s[0:1]
	v_add_u32_e32 v5, v5, v2
; %bb.1785:
	s_or_b64 exec, exec, s[10:11]
	s_mov_b64 s[0:1], 0
	s_mov_b64 s[10:11], -1
	global_store_byte v[7:8], v5, off
.LBB7_1786:
	s_mov_b64 s[12:13], 0
.LBB7_1787:
	s_and_b64 vcc, exec, s[12:13]
	s_cbranch_vccz .LBB7_1790
; %bb.1788:
	s_cmp_eq_u32 s17, 29
	s_mov_b64 s[0:1], -1
	s_cbranch_scc0 .LBB7_1790
; %bb.1789:
	v_trunc_f64_e32 v[2:3], v[0:1]
	s_movk_i32 s0, 0xffe0
	s_mov_b64 s[10:11], -1
	v_ldexp_f64 v[13:14], v[2:3], s0
	s_mov_b32 s0, 0
	s_mov_b32 s1, 0xc1f00000
	v_floor_f64_e32 v[13:14], v[13:14]
	v_fma_f64 v[2:3], v[13:14], s[0:1], v[2:3]
	v_cvt_u32_f64_e32 v14, v[13:14]
	s_mov_b64 s[0:1], 0
	v_cvt_u32_f64_e32 v13, v[2:3]
	global_store_dwordx2 v[7:8], v[13:14], off
.LBB7_1790:
	s_mov_b64 s[12:13], 0
.LBB7_1791:
	s_and_b64 vcc, exec, s[12:13]
	s_cbranch_vccz .LBB7_1807
; %bb.1792:
	s_cmp_lt_i32 s17, 27
	s_mov_b64 s[10:11], -1
	s_cbranch_scc1 .LBB7_1798
; %bb.1793:
	s_cmp_gt_i32 s17, 27
	s_cbranch_scc0 .LBB7_1795
; %bb.1794:
	v_cvt_u32_f64_e32 v2, v[0:1]
	s_mov_b64 s[10:11], 0
	global_store_dword v[7:8], v2, off
.LBB7_1795:
	s_andn2_b64 vcc, exec, s[10:11]
	s_cbranch_vccnz .LBB7_1797
; %bb.1796:
	v_cvt_u32_f64_e32 v2, v[0:1]
	global_store_short v[7:8], v2, off
.LBB7_1797:
	s_mov_b64 s[10:11], 0
.LBB7_1798:
	s_andn2_b64 vcc, exec, s[10:11]
	s_cbranch_vccnz .LBB7_1806
; %bb.1799:
	v_cvt_f32_f64_e32 v2, v[0:1]
	s_mov_b32 s10, 0x43800000
	v_mov_b32_e32 v5, 0x80
	v_and_b32_e32 v3, 0x7fffffff, v2
	v_cmp_gt_u32_e32 vcc, s10, v3
	s_and_saveexec_b64 s[10:11], vcc
	s_cbranch_execz .LBB7_1805
; %bb.1800:
	s_mov_b32 s12, 0x3bffffff
	v_cmp_lt_u32_e32 vcc, s12, v3
	s_mov_b64 s[12:13], 0
                                        ; implicit-def: $vgpr3
	s_and_saveexec_b64 s[14:15], vcc
	s_xor_b64 s[14:15], exec, s[14:15]
	s_cbranch_execz .LBB7_2140
; %bb.1801:
	v_bfe_u32 v3, v2, 20, 1
	s_mov_b32 s18, 0x487ffff
	v_add3_u32 v3, v2, v3, s18
	s_mov_b64 s[12:13], exec
	v_lshrrev_b32_e32 v3, 20, v3
	s_andn2_saveexec_b64 s[14:15], s[14:15]
	s_cbranch_execnz .LBB7_2141
.LBB7_1802:
	s_or_b64 exec, exec, s[14:15]
	v_mov_b32_e32 v5, 0
	s_and_saveexec_b64 s[14:15], s[12:13]
.LBB7_1803:
	v_lshrrev_b32_e32 v2, 24, v2
	s_movk_i32 s12, 0x80
	v_and_or_b32 v5, v2, s12, v3
.LBB7_1804:
	s_or_b64 exec, exec, s[14:15]
.LBB7_1805:
	s_or_b64 exec, exec, s[10:11]
	global_store_byte v[7:8], v5, off
.LBB7_1806:
	s_mov_b64 s[10:11], -1
.LBB7_1807:
	s_mov_b64 s[12:13], 0
.LBB7_1808:
	s_and_b64 vcc, exec, s[12:13]
	s_cbranch_vccz .LBB7_1848
; %bb.1809:
	s_cmp_gt_i32 s17, 22
	s_mov_b64 s[6:7], -1
	s_cbranch_scc0 .LBB7_1841
; %bb.1810:
	s_cmp_lt_i32 s17, 24
	s_cbranch_scc1 .LBB7_1830
; %bb.1811:
	s_cmp_gt_i32 s17, 24
	s_cbranch_scc0 .LBB7_1819
; %bb.1812:
	v_cvt_f32_f64_e32 v2, v[0:1]
	s_mov_b32 s6, 0x47800000
	v_mov_b32_e32 v5, 0x80
	v_and_b32_e32 v3, 0x7fffffff, v2
	v_cmp_gt_u32_e32 vcc, s6, v3
	s_and_saveexec_b64 s[6:7], vcc
	s_cbranch_execz .LBB7_1818
; %bb.1813:
	s_mov_b32 s10, 0x37ffffff
	v_cmp_lt_u32_e32 vcc, s10, v3
	s_mov_b64 s[10:11], 0
                                        ; implicit-def: $vgpr3
	s_and_saveexec_b64 s[12:13], vcc
	s_xor_b64 s[12:13], exec, s[12:13]
	s_cbranch_execz .LBB7_2143
; %bb.1814:
	v_bfe_u32 v3, v2, 21, 1
	s_mov_b32 s14, 0x88fffff
	v_add3_u32 v3, v2, v3, s14
	s_mov_b64 s[10:11], exec
	v_lshrrev_b32_e32 v3, 21, v3
	s_andn2_saveexec_b64 s[12:13], s[12:13]
	s_cbranch_execnz .LBB7_2144
.LBB7_1815:
	s_or_b64 exec, exec, s[12:13]
	v_mov_b32_e32 v5, 0
	s_and_saveexec_b64 s[12:13], s[10:11]
.LBB7_1816:
	v_lshrrev_b32_e32 v2, 24, v2
	s_movk_i32 s10, 0x80
	v_and_or_b32 v5, v2, s10, v3
.LBB7_1817:
	s_or_b64 exec, exec, s[12:13]
.LBB7_1818:
	s_or_b64 exec, exec, s[6:7]
	s_mov_b64 s[6:7], 0
	global_store_byte v[7:8], v5, off
.LBB7_1819:
	s_and_b64 vcc, exec, s[6:7]
	s_cbranch_vccz .LBB7_1829
; %bb.1820:
	v_cvt_f32_f64_e32 v2, v[0:1]
	s_mov_b32 s6, 0x43f00000
                                        ; implicit-def: $vgpr3
	v_and_b32_e32 v5, 0x7fffffff, v2
	v_cmp_gt_u32_e32 vcc, s6, v5
	s_and_saveexec_b64 s[6:7], vcc
	s_xor_b64 s[6:7], exec, s[6:7]
	s_cbranch_execz .LBB7_1826
; %bb.1821:
	s_mov_b32 s10, 0x3c7fffff
	v_cmp_lt_u32_e32 vcc, s10, v5
                                        ; implicit-def: $vgpr3
	s_and_saveexec_b64 s[10:11], vcc
	s_xor_b64 s[10:11], exec, s[10:11]
; %bb.1822:
	v_bfe_u32 v3, v2, 20, 1
	s_mov_b32 s12, 0x407ffff
	v_add3_u32 v3, v2, v3, s12
	v_lshrrev_b32_e32 v5, 20, v3
	v_and_b32_e32 v3, 0xff00000, v3
	s_mov_b32 s12, 0x7f00000
	v_mov_b32_e32 v13, 0x7e
	v_cmp_ne_u32_e32 vcc, s12, v3
	v_cndmask_b32_e32 v3, v13, v5, vcc
; %bb.1823:
	s_andn2_saveexec_b64 s[10:11], s[10:11]
; %bb.1824:
	s_mov_b32 s12, 0x46800000
	v_add_f32_e64 v3, |v2|, s12
; %bb.1825:
	s_or_b64 exec, exec, s[10:11]
                                        ; implicit-def: $vgpr5
.LBB7_1826:
	s_andn2_saveexec_b64 s[6:7], s[6:7]
; %bb.1827:
	s_mov_b32 s10, 0x7f800000
	v_mov_b32_e32 v3, 0x7e
	v_mov_b32_e32 v13, 0x7f
	v_cmp_lt_u32_e32 vcc, s10, v5
	v_cndmask_b32_e32 v3, v3, v13, vcc
; %bb.1828:
	s_or_b64 exec, exec, s[6:7]
	v_lshrrev_b32_e32 v2, 24, v2
	s_movk_i32 s6, 0x80
	v_and_or_b32 v2, v2, s6, v3
	global_store_byte v[7:8], v2, off
.LBB7_1829:
	s_mov_b64 s[6:7], 0
.LBB7_1830:
	s_andn2_b64 vcc, exec, s[6:7]
	s_cbranch_vccnz .LBB7_1840
; %bb.1831:
	v_cvt_f32_f64_e32 v2, v[0:1]
	s_mov_b32 s6, 0x47800000
                                        ; implicit-def: $vgpr3
	v_and_b32_e32 v5, 0x7fffffff, v2
	v_cmp_gt_u32_e32 vcc, s6, v5
	s_and_saveexec_b64 s[6:7], vcc
	s_xor_b64 s[6:7], exec, s[6:7]
	s_cbranch_execz .LBB7_1837
; %bb.1832:
	s_mov_b32 s10, 0x387fffff
	v_cmp_lt_u32_e32 vcc, s10, v5
                                        ; implicit-def: $vgpr3
	s_and_saveexec_b64 s[10:11], vcc
	s_xor_b64 s[10:11], exec, s[10:11]
; %bb.1833:
	v_bfe_u32 v3, v2, 21, 1
	s_mov_b32 s12, 0x80fffff
	v_add3_u32 v3, v2, v3, s12
	v_lshrrev_b32_e32 v3, 21, v3
; %bb.1834:
	s_andn2_saveexec_b64 s[10:11], s[10:11]
; %bb.1835:
	s_mov_b32 s12, 0x43000000
	v_add_f32_e64 v3, |v2|, s12
; %bb.1836:
	s_or_b64 exec, exec, s[10:11]
                                        ; implicit-def: $vgpr5
.LBB7_1837:
	s_andn2_saveexec_b64 s[6:7], s[6:7]
; %bb.1838:
	s_mov_b32 s10, 0x7f800000
	v_mov_b32_e32 v3, 0x7c
	v_mov_b32_e32 v13, 0x7f
	v_cmp_lt_u32_e32 vcc, s10, v5
	v_cndmask_b32_e32 v3, v3, v13, vcc
; %bb.1839:
	s_or_b64 exec, exec, s[6:7]
	v_lshrrev_b32_e32 v2, 24, v2
	s_movk_i32 s6, 0x80
	v_and_or_b32 v2, v2, s6, v3
	global_store_byte v[7:8], v2, off
.LBB7_1840:
	s_mov_b64 s[6:7], 0
	s_mov_b64 s[10:11], -1
.LBB7_1841:
	s_andn2_b64 vcc, exec, s[6:7]
	s_mov_b64 s[6:7], 0
	s_cbranch_vccnz .LBB7_1848
; %bb.1842:
	s_cmp_gt_i32 s17, 14
	s_mov_b64 s[12:13], -1
	s_cbranch_scc0 .LBB7_1846
; %bb.1843:
	s_cmp_eq_u32 s17, 15
	s_mov_b64 s[0:1], -1
	s_cbranch_scc0 .LBB7_1845
; %bb.1844:
	v_cvt_f32_f64_e32 v2, v[0:1]
	s_movk_i32 s0, 0x7fff
	v_mov_b32_e32 v3, 0x7fc0
	s_mov_b64 s[10:11], -1
	v_bfe_u32 v5, v2, 16, 1
	v_cmp_o_f32_e32 vcc, v2, v2
	v_add3_u32 v2, v2, v5, s0
	v_cndmask_b32_sdwa v2, v3, v2, vcc dst_sel:DWORD dst_unused:UNUSED_PAD src0_sel:DWORD src1_sel:WORD_1
	global_store_short v[7:8], v2, off
	s_mov_b64 s[0:1], 0
.LBB7_1845:
	s_mov_b64 s[12:13], 0
.LBB7_1846:
	s_and_b64 vcc, exec, s[12:13]
	s_cbranch_vccz .LBB7_1848
; %bb.1847:
	s_cmp_lg_u32 s17, 11
	s_mov_b64 s[6:7], -1
	s_cselect_b64 s[0:1], -1, 0
.LBB7_1848:
	s_and_b64 vcc, exec, s[0:1]
	s_cbranch_vccnz .LBB7_2142
; %bb.1849:
	s_andn2_b64 vcc, exec, s[6:7]
	s_cbranch_vccnz .LBB7_1851
.LBB7_1850:
	v_cmp_neq_f64_e32 vcc, 0, v[0:1]
	s_mov_b64 s[10:11], -1
	v_cndmask_b32_e64 v2, 0, 1, vcc
	global_store_byte v[7:8], v2, off
.LBB7_1851:
	s_mov_b64 s[0:1], 0
	s_branch .LBB7_1853
.LBB7_1852:
	s_mov_b64 s[0:1], -1
	s_mov_b64 s[10:11], 0
.LBB7_1853:
	s_and_b64 vcc, exec, s[0:1]
	s_cbranch_vccz .LBB7_1892
; %bb.1854:
	s_cmp_lt_i32 s17, 5
	s_mov_b64 s[0:1], -1
	s_cbranch_scc1 .LBB7_1875
; %bb.1855:
	s_cmp_lt_i32 s17, 8
	s_cbranch_scc1 .LBB7_1865
; %bb.1856:
	s_cmp_lt_i32 s17, 9
	s_cbranch_scc1 .LBB7_1862
; %bb.1857:
	s_cmp_gt_i32 s17, 9
	s_cbranch_scc0 .LBB7_1859
; %bb.1858:
	v_mov_b32_e32 v2, 0
	v_mov_b32_e32 v3, v2
	global_store_dwordx4 v[7:8], v[0:3], off
	s_mov_b64 s[0:1], 0
.LBB7_1859:
	s_andn2_b64 vcc, exec, s[0:1]
	s_cbranch_vccnz .LBB7_1861
; %bb.1860:
	v_cvt_f32_f64_e32 v2, v[0:1]
	v_mov_b32_e32 v3, 0
	global_store_dwordx2 v[7:8], v[2:3], off
.LBB7_1861:
	s_mov_b64 s[0:1], 0
.LBB7_1862:
	s_andn2_b64 vcc, exec, s[0:1]
	s_cbranch_vccnz .LBB7_1864
; %bb.1863:
	s_movk_i32 s0, 0x1ff
	v_and_or_b32 v2, v1, s0, v0
	v_cmp_ne_u32_e32 vcc, 0, v2
	v_cndmask_b32_e64 v2, 0, 1, vcc
	v_lshrrev_b32_e32 v3, 8, v1
	s_movk_i32 s0, 0xffe
	v_bfe_u32 v5, v1, 20, 11
	v_and_or_b32 v2, v3, s0, v2
	v_sub_u32_e32 v13, 0x3f1, v5
	v_or_b32_e32 v3, 0x1000, v2
	v_med3_i32 v13, v13, 0, 13
	v_lshrrev_b32_e32 v14, v13, v3
	v_lshlrev_b32_e32 v13, v13, v14
	v_cmp_ne_u32_e32 vcc, v13, v3
	v_cndmask_b32_e64 v3, 0, 1, vcc
	v_add_u32_e32 v5, 0xfffffc10, v5
	v_or_b32_e32 v3, v14, v3
	v_lshl_or_b32 v13, v5, 12, v2
	v_cmp_gt_i32_e32 vcc, 1, v5
	v_cndmask_b32_e32 v3, v13, v3, vcc
	v_and_b32_e32 v13, 7, v3
	v_cmp_lt_i32_e32 vcc, 5, v13
	v_cndmask_b32_e64 v14, 0, 1, vcc
	v_cmp_eq_u32_e32 vcc, 3, v13
	v_cndmask_b32_e64 v13, 0, 1, vcc
	v_or_b32_e32 v13, v13, v14
	v_lshrrev_b32_e32 v3, 2, v3
	v_add_u32_e32 v3, v3, v13
	v_mov_b32_e32 v13, 0x7c00
	v_cmp_gt_i32_e32 vcc, 31, v5
	v_cndmask_b32_e32 v3, v13, v3, vcc
	v_mov_b32_e32 v14, 0x7e00
	v_cmp_ne_u32_e32 vcc, 0, v2
	s_movk_i32 s0, 0x40f
	v_cndmask_b32_e32 v2, v13, v14, vcc
	v_cmp_eq_u32_e32 vcc, s0, v5
	v_cndmask_b32_e32 v2, v3, v2, vcc
	v_lshrrev_b32_e32 v3, 16, v1
	s_mov_b32 s0, 0x8000
	v_and_or_b32 v2, v3, s0, v2
	v_and_b32_e32 v2, 0xffff, v2
	global_store_dword v[7:8], v2, off
.LBB7_1864:
	s_mov_b64 s[0:1], 0
.LBB7_1865:
	s_andn2_b64 vcc, exec, s[0:1]
	s_cbranch_vccnz .LBB7_1874
; %bb.1866:
	s_cmp_lt_i32 s17, 6
	s_mov_b64 s[0:1], -1
	s_cbranch_scc1 .LBB7_1872
; %bb.1867:
	s_cmp_gt_i32 s17, 6
	s_cbranch_scc0 .LBB7_1869
; %bb.1868:
	global_store_dwordx2 v[7:8], v[0:1], off
	s_mov_b64 s[0:1], 0
.LBB7_1869:
	s_andn2_b64 vcc, exec, s[0:1]
	s_cbranch_vccnz .LBB7_1871
; %bb.1870:
	v_cvt_f32_f64_e32 v2, v[0:1]
	global_store_dword v[7:8], v2, off
.LBB7_1871:
	s_mov_b64 s[0:1], 0
.LBB7_1872:
	s_andn2_b64 vcc, exec, s[0:1]
	s_cbranch_vccnz .LBB7_1874
; %bb.1873:
	s_movk_i32 s0, 0x1ff
	v_and_or_b32 v2, v1, s0, v0
	v_cmp_ne_u32_e32 vcc, 0, v2
	v_cndmask_b32_e64 v2, 0, 1, vcc
	v_lshrrev_b32_e32 v3, 8, v1
	s_movk_i32 s0, 0xffe
	v_bfe_u32 v5, v1, 20, 11
	v_and_or_b32 v2, v3, s0, v2
	v_sub_u32_e32 v13, 0x3f1, v5
	v_or_b32_e32 v3, 0x1000, v2
	v_med3_i32 v13, v13, 0, 13
	v_lshrrev_b32_e32 v14, v13, v3
	v_lshlrev_b32_e32 v13, v13, v14
	v_cmp_ne_u32_e32 vcc, v13, v3
	v_cndmask_b32_e64 v3, 0, 1, vcc
	v_add_u32_e32 v5, 0xfffffc10, v5
	v_or_b32_e32 v3, v14, v3
	v_lshl_or_b32 v13, v5, 12, v2
	v_cmp_gt_i32_e32 vcc, 1, v5
	v_cndmask_b32_e32 v3, v13, v3, vcc
	v_and_b32_e32 v13, 7, v3
	v_cmp_lt_i32_e32 vcc, 5, v13
	v_cndmask_b32_e64 v14, 0, 1, vcc
	v_cmp_eq_u32_e32 vcc, 3, v13
	v_cndmask_b32_e64 v13, 0, 1, vcc
	v_or_b32_e32 v13, v13, v14
	v_lshrrev_b32_e32 v3, 2, v3
	v_add_u32_e32 v3, v3, v13
	v_mov_b32_e32 v13, 0x7c00
	v_cmp_gt_i32_e32 vcc, 31, v5
	v_cndmask_b32_e32 v3, v13, v3, vcc
	v_mov_b32_e32 v14, 0x7e00
	v_cmp_ne_u32_e32 vcc, 0, v2
	s_movk_i32 s0, 0x40f
	v_cndmask_b32_e32 v2, v13, v14, vcc
	v_cmp_eq_u32_e32 vcc, s0, v5
	v_cndmask_b32_e32 v2, v3, v2, vcc
	v_lshrrev_b32_e32 v3, 16, v1
	s_mov_b32 s0, 0x8000
	v_and_or_b32 v2, v3, s0, v2
	global_store_short v[7:8], v2, off
.LBB7_1874:
	s_mov_b64 s[0:1], 0
.LBB7_1875:
	s_andn2_b64 vcc, exec, s[0:1]
	s_cbranch_vccnz .LBB7_1891
; %bb.1876:
	s_cmp_lt_i32 s17, 2
	s_mov_b64 s[0:1], -1
	s_cbranch_scc1 .LBB7_1886
; %bb.1877:
	s_cmp_lt_i32 s17, 3
	s_cbranch_scc1 .LBB7_1883
; %bb.1878:
	s_cmp_gt_i32 s17, 3
	s_cbranch_scc0 .LBB7_1880
; %bb.1879:
	v_trunc_f64_e32 v[2:3], v[0:1]
	s_movk_i32 s0, 0xffe0
	v_ldexp_f64 v[13:14], v[2:3], s0
	s_mov_b32 s0, 0
	s_mov_b32 s1, 0xc1f00000
	v_floor_f64_e32 v[13:14], v[13:14]
	v_fma_f64 v[2:3], v[13:14], s[0:1], v[2:3]
	v_cvt_i32_f64_e32 v14, v[13:14]
	s_mov_b64 s[0:1], 0
	v_cvt_u32_f64_e32 v13, v[2:3]
	global_store_dwordx2 v[7:8], v[13:14], off
.LBB7_1880:
	s_andn2_b64 vcc, exec, s[0:1]
	s_cbranch_vccnz .LBB7_1882
; %bb.1881:
	v_cvt_i32_f64_e32 v2, v[0:1]
	global_store_dword v[7:8], v2, off
.LBB7_1882:
	s_mov_b64 s[0:1], 0
.LBB7_1883:
	s_andn2_b64 vcc, exec, s[0:1]
	s_cbranch_vccnz .LBB7_1885
; %bb.1884:
	v_cvt_i32_f64_e32 v2, v[0:1]
	global_store_short v[7:8], v2, off
.LBB7_1885:
	s_mov_b64 s[0:1], 0
.LBB7_1886:
	s_andn2_b64 vcc, exec, s[0:1]
	s_cbranch_vccnz .LBB7_1891
; %bb.1887:
	s_cmp_gt_i32 s17, 0
	s_mov_b64 s[0:1], -1
	s_cbranch_scc0 .LBB7_1889
; %bb.1888:
	v_cvt_i32_f64_e32 v2, v[0:1]
	s_mov_b64 s[0:1], 0
	global_store_byte v[7:8], v2, off
.LBB7_1889:
	s_andn2_b64 vcc, exec, s[0:1]
	s_cbranch_vccnz .LBB7_1891
; %bb.1890:
	v_trunc_f64_e32 v[0:1], v[0:1]
	s_movk_i32 s0, 0xffe0
	v_ldexp_f64 v[2:3], v[0:1], s0
	s_mov_b32 s0, 0
	s_mov_b32 s1, 0xc1f00000
	v_floor_f64_e32 v[2:3], v[2:3]
	v_fma_f64 v[0:1], v[2:3], s[0:1], v[0:1]
	v_cvt_u32_f64_e32 v0, v[0:1]
	global_store_byte v[7:8], v0, off
.LBB7_1891:
	s_mov_b64 s[10:11], -1
.LBB7_1892:
	s_andn2_b64 vcc, exec, s[10:11]
	s_cbranch_vccnz .LBB7_2088
; %bb.1893:
	s_waitcnt vmcnt(0)
	v_cmp_nge_f64_e64 s[0:1], v[11:12], -s[4:5]
	v_cmp_nge_f64_e32 vcc, s[4:5], v[11:12]
	v_mov_b32_e32 v2, s9
	s_or_b64 vcc, s[0:1], vcc
	v_cndmask_b32_e32 v1, 0, v12, vcc
	v_cndmask_b32_e32 v0, 0, v11, vcc
	v_add_co_u32_e32 v5, vcc, s8, v6
	s_cmp_lt_i32 s17, 11
	v_addc_co_u32_e32 v6, vcc, 0, v2, vcc
	s_cbranch_scc1 .LBB7_1971
; %bb.1894:
	s_mov_b64 s[12:13], -1
	s_mov_b64 s[6:7], 0
	s_cmp_gt_i32 s17, 25
	s_mov_b64 s[10:11], 0
	s_mov_b64 s[0:1], 0
	s_cbranch_scc0 .LBB7_1927
; %bb.1895:
	s_cmp_gt_i32 s17, 28
	s_cbranch_scc0 .LBB7_1910
; %bb.1896:
	s_cmp_gt_i32 s17, 43
	;; [unrolled: 3-line block ×3, first 2 shown]
	s_cbranch_scc0 .LBB7_1900
; %bb.1898:
	s_mov_b64 s[0:1], -1
	s_mov_b64 s[12:13], 0
	s_cmp_eq_u32 s17, 46
	s_cbranch_scc0 .LBB7_1900
; %bb.1899:
	v_cvt_f32_f64_e32 v2, v[0:1]
	s_movk_i32 s0, 0x7fff
	v_mov_b32_e32 v3, 0x7fc0
	s_mov_b64 s[10:11], -1
	v_bfe_u32 v7, v2, 16, 1
	v_cmp_o_f32_e32 vcc, v2, v2
	v_add3_u32 v2, v2, v7, s0
	v_cndmask_b32_sdwa v2, v3, v2, vcc dst_sel:DWORD dst_unused:UNUSED_PAD src0_sel:DWORD src1_sel:WORD_1
	global_store_dword v[5:6], v2, off
	s_mov_b64 s[0:1], 0
.LBB7_1900:
	s_and_b64 vcc, exec, s[12:13]
	s_cbranch_vccz .LBB7_1905
; %bb.1901:
	s_cmp_eq_u32 s17, 44
	s_mov_b64 s[0:1], -1
	s_cbranch_scc0 .LBB7_1905
; %bb.1902:
	v_cvt_f32_f64_e32 v2, v[0:1]
	s_movk_i32 s0, 0xff
	v_mov_b32_e32 v7, 0xff
	v_bfe_u32 v3, v2, 23, 8
	v_cmp_ne_u32_e32 vcc, s0, v3
	s_and_saveexec_b64 s[10:11], vcc
; %bb.1903:
	s_mov_b32 s0, 0x3fffff
	v_lshrrev_b32_e32 v7, 23, v2
	v_and_b32_e32 v8, 0x400000, v2
	v_and_or_b32 v2, v2, s0, v3
	v_cmp_ne_u32_e32 vcc, 0, v8
	v_cmp_ne_u32_e64 s[0:1], 0, v2
	s_and_b64 s[0:1], vcc, s[0:1]
	v_cndmask_b32_e64 v2, 0, 1, s[0:1]
	v_add_u32_e32 v7, v7, v2
; %bb.1904:
	s_or_b64 exec, exec, s[10:11]
	s_mov_b64 s[0:1], 0
	s_mov_b64 s[10:11], -1
	global_store_byte v[5:6], v7, off
.LBB7_1905:
	s_mov_b64 s[12:13], 0
.LBB7_1906:
	s_and_b64 vcc, exec, s[12:13]
	s_cbranch_vccz .LBB7_1909
; %bb.1907:
	s_cmp_eq_u32 s17, 29
	s_mov_b64 s[0:1], -1
	s_cbranch_scc0 .LBB7_1909
; %bb.1908:
	v_trunc_f64_e32 v[2:3], v[0:1]
	s_movk_i32 s0, 0xffe0
	s_mov_b64 s[10:11], -1
	v_ldexp_f64 v[7:8], v[2:3], s0
	s_mov_b32 s0, 0
	s_mov_b32 s1, 0xc1f00000
	v_floor_f64_e32 v[7:8], v[7:8]
	v_fma_f64 v[2:3], v[7:8], s[0:1], v[2:3]
	v_cvt_u32_f64_e32 v8, v[7:8]
	s_mov_b64 s[0:1], 0
	v_cvt_u32_f64_e32 v7, v[2:3]
	global_store_dwordx2 v[5:6], v[7:8], off
.LBB7_1909:
	s_mov_b64 s[12:13], 0
.LBB7_1910:
	s_and_b64 vcc, exec, s[12:13]
	s_cbranch_vccz .LBB7_1926
; %bb.1911:
	s_cmp_lt_i32 s17, 27
	s_mov_b64 s[10:11], -1
	s_cbranch_scc1 .LBB7_1917
; %bb.1912:
	v_cvt_u32_f64_e32 v2, v[0:1]
	s_cmp_gt_i32 s17, 27
	s_cbranch_scc0 .LBB7_1914
; %bb.1913:
	s_mov_b64 s[10:11], 0
	global_store_dword v[5:6], v2, off
.LBB7_1914:
	s_andn2_b64 vcc, exec, s[10:11]
	s_cbranch_vccnz .LBB7_1916
; %bb.1915:
	global_store_short v[5:6], v2, off
.LBB7_1916:
	s_mov_b64 s[10:11], 0
.LBB7_1917:
	s_andn2_b64 vcc, exec, s[10:11]
	s_cbranch_vccnz .LBB7_1925
; %bb.1918:
	v_cvt_f32_f64_e32 v2, v[0:1]
	s_mov_b32 s10, 0x43800000
	v_mov_b32_e32 v7, 0x80
	v_and_b32_e32 v3, 0x7fffffff, v2
	v_cmp_gt_u32_e32 vcc, s10, v3
	s_and_saveexec_b64 s[10:11], vcc
	s_cbranch_execz .LBB7_1924
; %bb.1919:
	s_mov_b32 s12, 0x3bffffff
	v_cmp_lt_u32_e32 vcc, s12, v3
	s_mov_b64 s[12:13], 0
                                        ; implicit-def: $vgpr3
	s_and_saveexec_b64 s[14:15], vcc
	s_xor_b64 s[14:15], exec, s[14:15]
	s_cbranch_execz .LBB7_2145
; %bb.1920:
	v_bfe_u32 v3, v2, 20, 1
	s_mov_b32 s18, 0x487ffff
	v_add3_u32 v3, v2, v3, s18
	s_mov_b64 s[12:13], exec
	v_lshrrev_b32_e32 v3, 20, v3
	s_andn2_saveexec_b64 s[14:15], s[14:15]
	s_cbranch_execnz .LBB7_2146
.LBB7_1921:
	s_or_b64 exec, exec, s[14:15]
	v_mov_b32_e32 v7, 0
	s_and_saveexec_b64 s[14:15], s[12:13]
.LBB7_1922:
	v_lshrrev_b32_e32 v2, 24, v2
	s_movk_i32 s12, 0x80
	v_and_or_b32 v7, v2, s12, v3
.LBB7_1923:
	s_or_b64 exec, exec, s[14:15]
.LBB7_1924:
	s_or_b64 exec, exec, s[10:11]
	global_store_byte v[5:6], v7, off
.LBB7_1925:
	s_mov_b64 s[10:11], -1
.LBB7_1926:
	s_mov_b64 s[12:13], 0
.LBB7_1927:
	s_and_b64 vcc, exec, s[12:13]
	s_cbranch_vccz .LBB7_1967
; %bb.1928:
	s_cmp_gt_i32 s17, 22
	s_mov_b64 s[6:7], -1
	s_cbranch_scc0 .LBB7_1960
; %bb.1929:
	s_cmp_lt_i32 s17, 24
	s_cbranch_scc1 .LBB7_1949
; %bb.1930:
	s_cmp_gt_i32 s17, 24
	s_cbranch_scc0 .LBB7_1938
; %bb.1931:
	v_cvt_f32_f64_e32 v2, v[0:1]
	s_mov_b32 s6, 0x47800000
	v_mov_b32_e32 v7, 0x80
	v_and_b32_e32 v3, 0x7fffffff, v2
	v_cmp_gt_u32_e32 vcc, s6, v3
	s_and_saveexec_b64 s[6:7], vcc
	s_cbranch_execz .LBB7_1937
; %bb.1932:
	s_mov_b32 s10, 0x37ffffff
	v_cmp_lt_u32_e32 vcc, s10, v3
	s_mov_b64 s[10:11], 0
                                        ; implicit-def: $vgpr3
	s_and_saveexec_b64 s[12:13], vcc
	s_xor_b64 s[12:13], exec, s[12:13]
	s_cbranch_execz .LBB7_2148
; %bb.1933:
	v_bfe_u32 v3, v2, 21, 1
	s_mov_b32 s14, 0x88fffff
	v_add3_u32 v3, v2, v3, s14
	s_mov_b64 s[10:11], exec
	v_lshrrev_b32_e32 v3, 21, v3
	s_andn2_saveexec_b64 s[12:13], s[12:13]
	s_cbranch_execnz .LBB7_2149
.LBB7_1934:
	s_or_b64 exec, exec, s[12:13]
	v_mov_b32_e32 v7, 0
	s_and_saveexec_b64 s[12:13], s[10:11]
.LBB7_1935:
	v_lshrrev_b32_e32 v2, 24, v2
	s_movk_i32 s10, 0x80
	v_and_or_b32 v7, v2, s10, v3
.LBB7_1936:
	s_or_b64 exec, exec, s[12:13]
.LBB7_1937:
	s_or_b64 exec, exec, s[6:7]
	s_mov_b64 s[6:7], 0
	global_store_byte v[5:6], v7, off
.LBB7_1938:
	s_and_b64 vcc, exec, s[6:7]
	s_cbranch_vccz .LBB7_1948
; %bb.1939:
	v_cvt_f32_f64_e32 v2, v[0:1]
	s_mov_b32 s6, 0x43f00000
                                        ; implicit-def: $vgpr3
	v_and_b32_e32 v7, 0x7fffffff, v2
	v_cmp_gt_u32_e32 vcc, s6, v7
	s_and_saveexec_b64 s[6:7], vcc
	s_xor_b64 s[6:7], exec, s[6:7]
	s_cbranch_execz .LBB7_1945
; %bb.1940:
	s_mov_b32 s10, 0x3c7fffff
	v_cmp_lt_u32_e32 vcc, s10, v7
                                        ; implicit-def: $vgpr3
	s_and_saveexec_b64 s[10:11], vcc
	s_xor_b64 s[10:11], exec, s[10:11]
; %bb.1941:
	v_bfe_u32 v3, v2, 20, 1
	s_mov_b32 s12, 0x407ffff
	v_add3_u32 v3, v2, v3, s12
	v_lshrrev_b32_e32 v7, 20, v3
	v_and_b32_e32 v3, 0xff00000, v3
	s_mov_b32 s12, 0x7f00000
	v_mov_b32_e32 v8, 0x7e
	v_cmp_ne_u32_e32 vcc, s12, v3
	v_cndmask_b32_e32 v3, v8, v7, vcc
; %bb.1942:
	s_andn2_saveexec_b64 s[10:11], s[10:11]
; %bb.1943:
	s_mov_b32 s12, 0x46800000
	v_add_f32_e64 v3, |v2|, s12
; %bb.1944:
	s_or_b64 exec, exec, s[10:11]
                                        ; implicit-def: $vgpr7
.LBB7_1945:
	s_andn2_saveexec_b64 s[6:7], s[6:7]
; %bb.1946:
	s_mov_b32 s10, 0x7f800000
	v_mov_b32_e32 v3, 0x7e
	v_mov_b32_e32 v8, 0x7f
	v_cmp_lt_u32_e32 vcc, s10, v7
	v_cndmask_b32_e32 v3, v3, v8, vcc
; %bb.1947:
	s_or_b64 exec, exec, s[6:7]
	v_lshrrev_b32_e32 v2, 24, v2
	s_movk_i32 s6, 0x80
	v_and_or_b32 v2, v2, s6, v3
	global_store_byte v[5:6], v2, off
.LBB7_1948:
	s_mov_b64 s[6:7], 0
.LBB7_1949:
	s_andn2_b64 vcc, exec, s[6:7]
	s_cbranch_vccnz .LBB7_1959
; %bb.1950:
	v_cvt_f32_f64_e32 v2, v[0:1]
	s_mov_b32 s6, 0x47800000
                                        ; implicit-def: $vgpr3
	v_and_b32_e32 v7, 0x7fffffff, v2
	v_cmp_gt_u32_e32 vcc, s6, v7
	s_and_saveexec_b64 s[6:7], vcc
	s_xor_b64 s[6:7], exec, s[6:7]
	s_cbranch_execz .LBB7_1956
; %bb.1951:
	s_mov_b32 s10, 0x387fffff
	v_cmp_lt_u32_e32 vcc, s10, v7
                                        ; implicit-def: $vgpr3
	s_and_saveexec_b64 s[10:11], vcc
	s_xor_b64 s[10:11], exec, s[10:11]
; %bb.1952:
	v_bfe_u32 v3, v2, 21, 1
	s_mov_b32 s12, 0x80fffff
	v_add3_u32 v3, v2, v3, s12
	v_lshrrev_b32_e32 v3, 21, v3
; %bb.1953:
	s_andn2_saveexec_b64 s[10:11], s[10:11]
; %bb.1954:
	s_mov_b32 s12, 0x43000000
	v_add_f32_e64 v3, |v2|, s12
; %bb.1955:
	s_or_b64 exec, exec, s[10:11]
                                        ; implicit-def: $vgpr7
.LBB7_1956:
	s_andn2_saveexec_b64 s[6:7], s[6:7]
; %bb.1957:
	s_mov_b32 s10, 0x7f800000
	v_mov_b32_e32 v3, 0x7c
	v_mov_b32_e32 v8, 0x7f
	v_cmp_lt_u32_e32 vcc, s10, v7
	v_cndmask_b32_e32 v3, v3, v8, vcc
; %bb.1958:
	s_or_b64 exec, exec, s[6:7]
	v_lshrrev_b32_e32 v2, 24, v2
	s_movk_i32 s6, 0x80
	v_and_or_b32 v2, v2, s6, v3
	global_store_byte v[5:6], v2, off
.LBB7_1959:
	s_mov_b64 s[6:7], 0
	s_mov_b64 s[10:11], -1
.LBB7_1960:
	s_andn2_b64 vcc, exec, s[6:7]
	s_mov_b64 s[6:7], 0
	s_cbranch_vccnz .LBB7_1967
; %bb.1961:
	s_cmp_gt_i32 s17, 14
	s_mov_b64 s[12:13], -1
	s_cbranch_scc0 .LBB7_1965
; %bb.1962:
	s_cmp_eq_u32 s17, 15
	s_mov_b64 s[0:1], -1
	s_cbranch_scc0 .LBB7_1964
; %bb.1963:
	v_cvt_f32_f64_e32 v2, v[0:1]
	s_movk_i32 s0, 0x7fff
	v_mov_b32_e32 v3, 0x7fc0
	s_mov_b64 s[10:11], -1
	v_bfe_u32 v7, v2, 16, 1
	v_cmp_o_f32_e32 vcc, v2, v2
	v_add3_u32 v2, v2, v7, s0
	v_cndmask_b32_sdwa v2, v3, v2, vcc dst_sel:DWORD dst_unused:UNUSED_PAD src0_sel:DWORD src1_sel:WORD_1
	global_store_short v[5:6], v2, off
	s_mov_b64 s[0:1], 0
.LBB7_1964:
	s_mov_b64 s[12:13], 0
.LBB7_1965:
	s_and_b64 vcc, exec, s[12:13]
	s_cbranch_vccz .LBB7_1967
; %bb.1966:
	s_cmp_lg_u32 s17, 11
	s_mov_b64 s[6:7], -1
	s_cselect_b64 s[0:1], -1, 0
.LBB7_1967:
	s_and_b64 vcc, exec, s[0:1]
	s_cbranch_vccnz .LBB7_2147
; %bb.1968:
	s_andn2_b64 vcc, exec, s[6:7]
	s_cbranch_vccnz .LBB7_1970
.LBB7_1969:
	v_cmp_neq_f64_e32 vcc, 0, v[0:1]
	s_mov_b64 s[10:11], -1
	v_cndmask_b32_e64 v2, 0, 1, vcc
	global_store_byte v[5:6], v2, off
.LBB7_1970:
	s_mov_b64 s[0:1], 0
	s_branch .LBB7_1972
.LBB7_1971:
	s_mov_b64 s[0:1], -1
	s_mov_b64 s[10:11], 0
.LBB7_1972:
	s_and_b64 vcc, exec, s[0:1]
	s_cbranch_vccz .LBB7_2011
; %bb.1973:
	s_cmp_lt_i32 s17, 5
	s_mov_b64 s[0:1], -1
	s_cbranch_scc1 .LBB7_1994
; %bb.1974:
	s_cmp_lt_i32 s17, 8
	s_cbranch_scc1 .LBB7_1984
; %bb.1975:
	s_cmp_lt_i32 s17, 9
	s_cbranch_scc1 .LBB7_1981
; %bb.1976:
	s_cmp_gt_i32 s17, 9
	s_cbranch_scc0 .LBB7_1978
; %bb.1977:
	v_mov_b32_e32 v2, 0
	v_mov_b32_e32 v3, v2
	global_store_dwordx4 v[5:6], v[0:3], off
	s_mov_b64 s[0:1], 0
.LBB7_1978:
	s_andn2_b64 vcc, exec, s[0:1]
	s_cbranch_vccnz .LBB7_1980
; %bb.1979:
	v_cvt_f32_f64_e32 v2, v[0:1]
	v_mov_b32_e32 v3, 0
	global_store_dwordx2 v[5:6], v[2:3], off
.LBB7_1980:
	s_mov_b64 s[0:1], 0
.LBB7_1981:
	s_andn2_b64 vcc, exec, s[0:1]
	s_cbranch_vccnz .LBB7_1983
; %bb.1982:
	s_movk_i32 s0, 0x1ff
	v_and_or_b32 v2, v1, s0, v0
	v_cmp_ne_u32_e32 vcc, 0, v2
	v_cndmask_b32_e64 v2, 0, 1, vcc
	v_lshrrev_b32_e32 v3, 8, v1
	s_movk_i32 s0, 0xffe
	v_bfe_u32 v7, v1, 20, 11
	v_and_or_b32 v2, v3, s0, v2
	v_sub_u32_e32 v8, 0x3f1, v7
	v_or_b32_e32 v3, 0x1000, v2
	v_med3_i32 v8, v8, 0, 13
	v_lshrrev_b32_e32 v11, v8, v3
	v_lshlrev_b32_e32 v8, v8, v11
	v_cmp_ne_u32_e32 vcc, v8, v3
	v_cndmask_b32_e64 v3, 0, 1, vcc
	v_add_u32_e32 v7, 0xfffffc10, v7
	v_or_b32_e32 v3, v11, v3
	v_lshl_or_b32 v8, v7, 12, v2
	v_cmp_gt_i32_e32 vcc, 1, v7
	v_cndmask_b32_e32 v3, v8, v3, vcc
	v_and_b32_e32 v8, 7, v3
	v_cmp_lt_i32_e32 vcc, 5, v8
	v_cndmask_b32_e64 v11, 0, 1, vcc
	v_cmp_eq_u32_e32 vcc, 3, v8
	v_cndmask_b32_e64 v8, 0, 1, vcc
	v_or_b32_e32 v8, v8, v11
	v_lshrrev_b32_e32 v3, 2, v3
	v_add_u32_e32 v3, v3, v8
	v_mov_b32_e32 v8, 0x7c00
	v_cmp_gt_i32_e32 vcc, 31, v7
	v_cndmask_b32_e32 v3, v8, v3, vcc
	v_mov_b32_e32 v11, 0x7e00
	v_cmp_ne_u32_e32 vcc, 0, v2
	s_movk_i32 s0, 0x40f
	v_cndmask_b32_e32 v2, v8, v11, vcc
	v_cmp_eq_u32_e32 vcc, s0, v7
	v_cndmask_b32_e32 v2, v3, v2, vcc
	v_lshrrev_b32_e32 v3, 16, v1
	s_mov_b32 s0, 0x8000
	v_and_or_b32 v2, v3, s0, v2
	v_and_b32_e32 v2, 0xffff, v2
	global_store_dword v[5:6], v2, off
.LBB7_1983:
	s_mov_b64 s[0:1], 0
.LBB7_1984:
	s_andn2_b64 vcc, exec, s[0:1]
	s_cbranch_vccnz .LBB7_1993
; %bb.1985:
	s_cmp_lt_i32 s17, 6
	s_mov_b64 s[0:1], -1
	s_cbranch_scc1 .LBB7_1991
; %bb.1986:
	s_cmp_gt_i32 s17, 6
	s_cbranch_scc0 .LBB7_1988
; %bb.1987:
	global_store_dwordx2 v[5:6], v[0:1], off
	s_mov_b64 s[0:1], 0
.LBB7_1988:
	s_andn2_b64 vcc, exec, s[0:1]
	s_cbranch_vccnz .LBB7_1990
; %bb.1989:
	v_cvt_f32_f64_e32 v2, v[0:1]
	global_store_dword v[5:6], v2, off
.LBB7_1990:
	s_mov_b64 s[0:1], 0
.LBB7_1991:
	s_andn2_b64 vcc, exec, s[0:1]
	s_cbranch_vccnz .LBB7_1993
; %bb.1992:
	s_movk_i32 s0, 0x1ff
	v_and_or_b32 v2, v1, s0, v0
	v_cmp_ne_u32_e32 vcc, 0, v2
	v_cndmask_b32_e64 v2, 0, 1, vcc
	v_lshrrev_b32_e32 v3, 8, v1
	s_movk_i32 s0, 0xffe
	v_bfe_u32 v7, v1, 20, 11
	v_and_or_b32 v2, v3, s0, v2
	v_sub_u32_e32 v8, 0x3f1, v7
	v_or_b32_e32 v3, 0x1000, v2
	v_med3_i32 v8, v8, 0, 13
	v_lshrrev_b32_e32 v11, v8, v3
	v_lshlrev_b32_e32 v8, v8, v11
	v_cmp_ne_u32_e32 vcc, v8, v3
	v_cndmask_b32_e64 v3, 0, 1, vcc
	v_add_u32_e32 v7, 0xfffffc10, v7
	v_or_b32_e32 v3, v11, v3
	v_lshl_or_b32 v8, v7, 12, v2
	v_cmp_gt_i32_e32 vcc, 1, v7
	v_cndmask_b32_e32 v3, v8, v3, vcc
	v_and_b32_e32 v8, 7, v3
	v_cmp_lt_i32_e32 vcc, 5, v8
	v_cndmask_b32_e64 v11, 0, 1, vcc
	v_cmp_eq_u32_e32 vcc, 3, v8
	v_cndmask_b32_e64 v8, 0, 1, vcc
	v_or_b32_e32 v8, v8, v11
	v_lshrrev_b32_e32 v3, 2, v3
	v_add_u32_e32 v3, v3, v8
	v_mov_b32_e32 v8, 0x7c00
	v_cmp_gt_i32_e32 vcc, 31, v7
	v_cndmask_b32_e32 v3, v8, v3, vcc
	v_mov_b32_e32 v11, 0x7e00
	v_cmp_ne_u32_e32 vcc, 0, v2
	s_movk_i32 s0, 0x40f
	v_cndmask_b32_e32 v2, v8, v11, vcc
	v_cmp_eq_u32_e32 vcc, s0, v7
	v_cndmask_b32_e32 v2, v3, v2, vcc
	v_lshrrev_b32_e32 v3, 16, v1
	s_mov_b32 s0, 0x8000
	v_and_or_b32 v2, v3, s0, v2
	global_store_short v[5:6], v2, off
.LBB7_1993:
	s_mov_b64 s[0:1], 0
.LBB7_1994:
	s_andn2_b64 vcc, exec, s[0:1]
	s_cbranch_vccnz .LBB7_2010
; %bb.1995:
	s_cmp_lt_i32 s17, 2
	s_mov_b64 s[0:1], -1
	s_cbranch_scc1 .LBB7_2005
; %bb.1996:
	s_cmp_lt_i32 s17, 3
	s_cbranch_scc1 .LBB7_2002
; %bb.1997:
	s_cmp_gt_i32 s17, 3
	s_cbranch_scc0 .LBB7_1999
; %bb.1998:
	v_trunc_f64_e32 v[2:3], v[0:1]
	s_movk_i32 s0, 0xffe0
	v_ldexp_f64 v[7:8], v[2:3], s0
	s_mov_b32 s0, 0
	s_mov_b32 s1, 0xc1f00000
	v_floor_f64_e32 v[7:8], v[7:8]
	v_fma_f64 v[2:3], v[7:8], s[0:1], v[2:3]
	v_cvt_i32_f64_e32 v8, v[7:8]
	s_mov_b64 s[0:1], 0
	v_cvt_u32_f64_e32 v7, v[2:3]
	global_store_dwordx2 v[5:6], v[7:8], off
.LBB7_1999:
	s_andn2_b64 vcc, exec, s[0:1]
	s_cbranch_vccnz .LBB7_2001
; %bb.2000:
	v_cvt_i32_f64_e32 v2, v[0:1]
	global_store_dword v[5:6], v2, off
.LBB7_2001:
	s_mov_b64 s[0:1], 0
.LBB7_2002:
	s_andn2_b64 vcc, exec, s[0:1]
	s_cbranch_vccnz .LBB7_2004
; %bb.2003:
	v_cvt_i32_f64_e32 v2, v[0:1]
	global_store_short v[5:6], v2, off
.LBB7_2004:
	s_mov_b64 s[0:1], 0
.LBB7_2005:
	s_andn2_b64 vcc, exec, s[0:1]
	s_cbranch_vccnz .LBB7_2010
; %bb.2006:
	s_cmp_gt_i32 s17, 0
	s_mov_b64 s[0:1], -1
	s_cbranch_scc0 .LBB7_2008
; %bb.2007:
	v_cvt_i32_f64_e32 v2, v[0:1]
	s_mov_b64 s[0:1], 0
	global_store_byte v[5:6], v2, off
.LBB7_2008:
	s_andn2_b64 vcc, exec, s[0:1]
	s_cbranch_vccnz .LBB7_2010
; %bb.2009:
	v_trunc_f64_e32 v[0:1], v[0:1]
	s_movk_i32 s0, 0xffe0
	v_ldexp_f64 v[2:3], v[0:1], s0
	s_mov_b32 s0, 0
	s_mov_b32 s1, 0xc1f00000
	v_floor_f64_e32 v[2:3], v[2:3]
	v_fma_f64 v[0:1], v[2:3], s[0:1], v[0:1]
	v_cvt_u32_f64_e32 v0, v[0:1]
	global_store_byte v[5:6], v0, off
.LBB7_2010:
	s_mov_b64 s[10:11], -1
.LBB7_2011:
	s_andn2_b64 vcc, exec, s[10:11]
	s_cbranch_vccnz .LBB7_2088
; %bb.2012:
	v_cmp_nge_f64_e64 s[0:1], v[9:10], -s[4:5]
	v_cmp_nge_f64_e32 vcc, s[4:5], v[9:10]
	v_mov_b32_e32 v2, s9
	s_or_b64 vcc, s[0:1], vcc
	v_cndmask_b32_e32 v1, 0, v10, vcc
	v_cndmask_b32_e32 v0, 0, v9, vcc
	v_add_co_u32_e32 v4, vcc, s8, v4
	s_cmp_lt_i32 s17, 11
	v_addc_co_u32_e32 v5, vcc, 0, v2, vcc
	s_cbranch_scc1 .LBB7_2133
; %bb.2013:
	s_mov_b64 s[6:7], -1
	s_mov_b64 s[4:5], 0
	s_cmp_gt_i32 s17, 25
	s_mov_b64 s[0:1], 0
	s_cbranch_scc0 .LBB7_2046
; %bb.2014:
	s_cmp_gt_i32 s17, 28
	s_cbranch_scc0 .LBB7_2030
; %bb.2015:
	s_cmp_gt_i32 s17, 43
	;; [unrolled: 3-line block ×3, first 2 shown]
	s_cbranch_scc0 .LBB7_2020
; %bb.2017:
	s_cmp_eq_u32 s17, 46
	s_mov_b64 s[0:1], -1
	s_cbranch_scc0 .LBB7_2019
; %bb.2018:
	v_cvt_f32_f64_e32 v2, v[0:1]
	s_movk_i32 s0, 0x7fff
	v_mov_b32_e32 v3, 0x7fc0
	v_bfe_u32 v6, v2, 16, 1
	v_cmp_o_f32_e32 vcc, v2, v2
	v_add3_u32 v2, v2, v6, s0
	v_cndmask_b32_sdwa v2, v3, v2, vcc dst_sel:DWORD dst_unused:UNUSED_PAD src0_sel:DWORD src1_sel:WORD_1
	global_store_dword v[4:5], v2, off
	s_mov_b64 s[0:1], 0
.LBB7_2019:
	s_mov_b64 s[6:7], 0
.LBB7_2020:
	s_and_b64 vcc, exec, s[6:7]
	s_cbranch_vccz .LBB7_2025
; %bb.2021:
	s_cmp_eq_u32 s17, 44
	s_mov_b64 s[0:1], -1
	s_cbranch_scc0 .LBB7_2025
; %bb.2022:
	v_cvt_f32_f64_e32 v2, v[0:1]
	s_movk_i32 s0, 0xff
	v_mov_b32_e32 v6, 0xff
	v_bfe_u32 v3, v2, 23, 8
	v_cmp_ne_u32_e32 vcc, s0, v3
	s_and_saveexec_b64 s[6:7], vcc
; %bb.2023:
	s_mov_b32 s0, 0x3fffff
	v_lshrrev_b32_e32 v6, 23, v2
	v_and_b32_e32 v7, 0x400000, v2
	v_and_or_b32 v2, v2, s0, v3
	v_cmp_ne_u32_e32 vcc, 0, v7
	v_cmp_ne_u32_e64 s[0:1], 0, v2
	s_and_b64 s[0:1], vcc, s[0:1]
	v_cndmask_b32_e64 v2, 0, 1, s[0:1]
	v_add_u32_e32 v6, v6, v2
; %bb.2024:
	s_or_b64 exec, exec, s[6:7]
	s_mov_b64 s[0:1], 0
	global_store_byte v[4:5], v6, off
.LBB7_2025:
	s_mov_b64 s[6:7], 0
.LBB7_2026:
	s_and_b64 vcc, exec, s[6:7]
	s_cbranch_vccz .LBB7_2029
; %bb.2027:
	s_cmp_eq_u32 s17, 29
	s_mov_b64 s[0:1], -1
	s_cbranch_scc0 .LBB7_2029
; %bb.2028:
	v_trunc_f64_e32 v[2:3], v[0:1]
	s_movk_i32 s0, 0xffe0
	v_ldexp_f64 v[6:7], v[2:3], s0
	s_mov_b32 s0, 0
	s_mov_b32 s1, 0xc1f00000
	v_floor_f64_e32 v[6:7], v[6:7]
	v_fma_f64 v[2:3], v[6:7], s[0:1], v[2:3]
	v_cvt_u32_f64_e32 v7, v[6:7]
	s_mov_b64 s[0:1], 0
	v_cvt_u32_f64_e32 v6, v[2:3]
	global_store_dwordx2 v[4:5], v[6:7], off
.LBB7_2029:
	s_mov_b64 s[6:7], 0
.LBB7_2030:
	s_and_b64 vcc, exec, s[6:7]
	s_cbranch_vccz .LBB7_2045
; %bb.2031:
	s_cmp_lt_i32 s17, 27
	s_mov_b64 s[6:7], -1
	s_cbranch_scc1 .LBB7_2037
; %bb.2032:
	s_cmp_gt_i32 s17, 27
	s_cbranch_scc0 .LBB7_2034
; %bb.2033:
	v_cvt_u32_f64_e32 v2, v[0:1]
	s_mov_b64 s[6:7], 0
	global_store_dword v[4:5], v2, off
.LBB7_2034:
	s_andn2_b64 vcc, exec, s[6:7]
	s_cbranch_vccnz .LBB7_2036
; %bb.2035:
	v_cvt_u32_f64_e32 v2, v[0:1]
	global_store_short v[4:5], v2, off
.LBB7_2036:
	s_mov_b64 s[6:7], 0
.LBB7_2037:
	s_andn2_b64 vcc, exec, s[6:7]
	s_cbranch_vccnz .LBB7_2045
; %bb.2038:
	v_cvt_f32_f64_e32 v2, v[0:1]
	s_mov_b32 s6, 0x43800000
	v_mov_b32_e32 v6, 0x80
	v_and_b32_e32 v3, 0x7fffffff, v2
	v_cmp_gt_u32_e32 vcc, s6, v3
	s_and_saveexec_b64 s[6:7], vcc
	s_cbranch_execz .LBB7_2044
; %bb.2039:
	s_mov_b32 s8, 0x3bffffff
	v_cmp_lt_u32_e32 vcc, s8, v3
	s_mov_b64 s[8:9], 0
                                        ; implicit-def: $vgpr3
	s_and_saveexec_b64 s[10:11], vcc
	s_xor_b64 s[10:11], exec, s[10:11]
	s_cbranch_execz .LBB7_2150
; %bb.2040:
	v_bfe_u32 v3, v2, 20, 1
	s_mov_b32 s12, 0x487ffff
	v_add3_u32 v3, v2, v3, s12
	s_mov_b64 s[8:9], exec
	v_lshrrev_b32_e32 v3, 20, v3
	s_andn2_saveexec_b64 s[10:11], s[10:11]
	s_cbranch_execnz .LBB7_2151
.LBB7_2041:
	s_or_b64 exec, exec, s[10:11]
	v_mov_b32_e32 v6, 0
	s_and_saveexec_b64 s[10:11], s[8:9]
.LBB7_2042:
	v_lshrrev_b32_e32 v2, 24, v2
	s_movk_i32 s8, 0x80
	v_and_or_b32 v6, v2, s8, v3
.LBB7_2043:
	s_or_b64 exec, exec, s[10:11]
.LBB7_2044:
	s_or_b64 exec, exec, s[6:7]
	global_store_byte v[4:5], v6, off
.LBB7_2045:
	s_mov_b64 s[6:7], 0
.LBB7_2046:
	s_and_b64 vcc, exec, s[6:7]
	s_cbranch_vccz .LBB7_2086
; %bb.2047:
	s_cmp_gt_i32 s17, 22
	s_mov_b64 s[4:5], -1
	s_cbranch_scc0 .LBB7_2079
; %bb.2048:
	s_cmp_lt_i32 s17, 24
	s_cbranch_scc1 .LBB7_2068
; %bb.2049:
	s_cmp_gt_i32 s17, 24
	s_cbranch_scc0 .LBB7_2057
; %bb.2050:
	v_cvt_f32_f64_e32 v2, v[0:1]
	s_mov_b32 s4, 0x47800000
	v_mov_b32_e32 v6, 0x80
	v_and_b32_e32 v3, 0x7fffffff, v2
	v_cmp_gt_u32_e32 vcc, s4, v3
	s_and_saveexec_b64 s[4:5], vcc
	s_cbranch_execz .LBB7_2056
; %bb.2051:
	s_mov_b32 s6, 0x37ffffff
	v_cmp_lt_u32_e32 vcc, s6, v3
	s_mov_b64 s[6:7], 0
                                        ; implicit-def: $vgpr3
	s_and_saveexec_b64 s[8:9], vcc
	s_xor_b64 s[8:9], exec, s[8:9]
	s_cbranch_execz .LBB7_2153
; %bb.2052:
	v_bfe_u32 v3, v2, 21, 1
	s_mov_b32 s10, 0x88fffff
	v_add3_u32 v3, v2, v3, s10
	s_mov_b64 s[6:7], exec
	v_lshrrev_b32_e32 v3, 21, v3
	s_andn2_saveexec_b64 s[8:9], s[8:9]
	s_cbranch_execnz .LBB7_2154
.LBB7_2053:
	s_or_b64 exec, exec, s[8:9]
	v_mov_b32_e32 v6, 0
	s_and_saveexec_b64 s[8:9], s[6:7]
.LBB7_2054:
	v_lshrrev_b32_e32 v2, 24, v2
	s_movk_i32 s6, 0x80
	v_and_or_b32 v6, v2, s6, v3
.LBB7_2055:
	s_or_b64 exec, exec, s[8:9]
.LBB7_2056:
	s_or_b64 exec, exec, s[4:5]
	s_mov_b64 s[4:5], 0
	global_store_byte v[4:5], v6, off
.LBB7_2057:
	s_and_b64 vcc, exec, s[4:5]
	s_cbranch_vccz .LBB7_2067
; %bb.2058:
	v_cvt_f32_f64_e32 v2, v[0:1]
	s_mov_b32 s4, 0x43f00000
                                        ; implicit-def: $vgpr3
	v_and_b32_e32 v6, 0x7fffffff, v2
	v_cmp_gt_u32_e32 vcc, s4, v6
	s_and_saveexec_b64 s[4:5], vcc
	s_xor_b64 s[4:5], exec, s[4:5]
	s_cbranch_execz .LBB7_2064
; %bb.2059:
	s_mov_b32 s6, 0x3c7fffff
	v_cmp_lt_u32_e32 vcc, s6, v6
                                        ; implicit-def: $vgpr3
	s_and_saveexec_b64 s[6:7], vcc
	s_xor_b64 s[6:7], exec, s[6:7]
; %bb.2060:
	v_bfe_u32 v3, v2, 20, 1
	s_mov_b32 s8, 0x407ffff
	v_add3_u32 v3, v2, v3, s8
	v_lshrrev_b32_e32 v6, 20, v3
	v_and_b32_e32 v3, 0xff00000, v3
	s_mov_b32 s8, 0x7f00000
	v_mov_b32_e32 v7, 0x7e
	v_cmp_ne_u32_e32 vcc, s8, v3
	v_cndmask_b32_e32 v3, v7, v6, vcc
; %bb.2061:
	s_andn2_saveexec_b64 s[6:7], s[6:7]
; %bb.2062:
	s_mov_b32 s8, 0x46800000
	v_add_f32_e64 v3, |v2|, s8
; %bb.2063:
	s_or_b64 exec, exec, s[6:7]
                                        ; implicit-def: $vgpr6
.LBB7_2064:
	s_andn2_saveexec_b64 s[4:5], s[4:5]
; %bb.2065:
	s_mov_b32 s6, 0x7f800000
	v_mov_b32_e32 v3, 0x7e
	v_mov_b32_e32 v7, 0x7f
	v_cmp_lt_u32_e32 vcc, s6, v6
	v_cndmask_b32_e32 v3, v3, v7, vcc
; %bb.2066:
	s_or_b64 exec, exec, s[4:5]
	v_lshrrev_b32_e32 v2, 24, v2
	s_movk_i32 s4, 0x80
	v_and_or_b32 v2, v2, s4, v3
	global_store_byte v[4:5], v2, off
.LBB7_2067:
	s_mov_b64 s[4:5], 0
.LBB7_2068:
	s_andn2_b64 vcc, exec, s[4:5]
	s_cbranch_vccnz .LBB7_2078
; %bb.2069:
	v_cvt_f32_f64_e32 v2, v[0:1]
	s_mov_b32 s4, 0x47800000
                                        ; implicit-def: $vgpr3
	v_and_b32_e32 v6, 0x7fffffff, v2
	v_cmp_gt_u32_e32 vcc, s4, v6
	s_and_saveexec_b64 s[4:5], vcc
	s_xor_b64 s[4:5], exec, s[4:5]
	s_cbranch_execz .LBB7_2075
; %bb.2070:
	s_mov_b32 s6, 0x387fffff
	v_cmp_lt_u32_e32 vcc, s6, v6
                                        ; implicit-def: $vgpr3
	s_and_saveexec_b64 s[6:7], vcc
	s_xor_b64 s[6:7], exec, s[6:7]
; %bb.2071:
	v_bfe_u32 v3, v2, 21, 1
	s_mov_b32 s8, 0x80fffff
	v_add3_u32 v3, v2, v3, s8
	v_lshrrev_b32_e32 v3, 21, v3
; %bb.2072:
	s_andn2_saveexec_b64 s[6:7], s[6:7]
; %bb.2073:
	s_mov_b32 s8, 0x43000000
	v_add_f32_e64 v3, |v2|, s8
; %bb.2074:
	s_or_b64 exec, exec, s[6:7]
                                        ; implicit-def: $vgpr6
.LBB7_2075:
	s_andn2_saveexec_b64 s[4:5], s[4:5]
; %bb.2076:
	s_mov_b32 s6, 0x7f800000
	v_mov_b32_e32 v3, 0x7c
	v_mov_b32_e32 v7, 0x7f
	v_cmp_lt_u32_e32 vcc, s6, v6
	v_cndmask_b32_e32 v3, v3, v7, vcc
; %bb.2077:
	s_or_b64 exec, exec, s[4:5]
	v_lshrrev_b32_e32 v2, 24, v2
	s_movk_i32 s4, 0x80
	v_and_or_b32 v2, v2, s4, v3
	global_store_byte v[4:5], v2, off
.LBB7_2078:
	s_mov_b64 s[4:5], 0
.LBB7_2079:
	s_andn2_b64 vcc, exec, s[4:5]
	s_mov_b64 s[4:5], 0
	s_cbranch_vccnz .LBB7_2086
; %bb.2080:
	s_cmp_gt_i32 s17, 14
	s_mov_b64 s[6:7], -1
	s_cbranch_scc0 .LBB7_2084
; %bb.2081:
	s_cmp_eq_u32 s17, 15
	s_mov_b64 s[0:1], -1
	s_cbranch_scc0 .LBB7_2083
; %bb.2082:
	v_cvt_f32_f64_e32 v2, v[0:1]
	s_movk_i32 s0, 0x7fff
	v_mov_b32_e32 v3, 0x7fc0
	v_bfe_u32 v6, v2, 16, 1
	v_cmp_o_f32_e32 vcc, v2, v2
	v_add3_u32 v2, v2, v6, s0
	v_cndmask_b32_sdwa v2, v3, v2, vcc dst_sel:DWORD dst_unused:UNUSED_PAD src0_sel:DWORD src1_sel:WORD_1
	global_store_short v[4:5], v2, off
	s_mov_b64 s[0:1], 0
.LBB7_2083:
	s_mov_b64 s[6:7], 0
.LBB7_2084:
	s_and_b64 vcc, exec, s[6:7]
	s_cbranch_vccz .LBB7_2086
; %bb.2085:
	s_cmp_lg_u32 s17, 11
	s_mov_b64 s[4:5], -1
	s_cselect_b64 s[0:1], -1, 0
.LBB7_2086:
	s_and_b64 vcc, exec, s[0:1]
	s_cbranch_vccnz .LBB7_2152
.LBB7_2087:
	s_mov_b64 s[0:1], 0
	s_branch .LBB7_2089
.LBB7_2088:
	s_mov_b64 s[0:1], 0
	s_mov_b64 s[4:5], 0
                                        ; implicit-def: $vgpr4_vgpr5
                                        ; implicit-def: $sgpr16
                                        ; implicit-def: $vgpr0_vgpr1
.LBB7_2089:
	s_and_b64 s[6:7], s[4:5], exec
	s_andn2_b64 s[4:5], s[28:29], exec
	s_and_b64 s[2:3], s[2:3], exec
	s_and_b64 s[0:1], s[0:1], exec
	s_or_b64 s[28:29], s[4:5], s[2:3]
.LBB7_2090:
	s_or_b64 exec, exec, s[30:31]
	s_and_saveexec_b64 s[2:3], s[28:29]
	s_cbranch_execz .LBB7_2093
; %bb.2091:
	; divergent unreachable
	s_or_b64 exec, exec, s[2:3]
	s_and_saveexec_b64 s[2:3], s[6:7]
	s_xor_b64 s[2:3], exec, s[2:3]
	s_cbranch_execnz .LBB7_2094
.LBB7_2092:
	s_or_b64 exec, exec, s[2:3]
	s_and_saveexec_b64 s[2:3], s[0:1]
	s_cbranch_execnz .LBB7_2095
	s_branch .LBB7_2132
.LBB7_2093:
	s_or_b64 exec, exec, s[2:3]
	s_and_saveexec_b64 s[2:3], s[6:7]
	s_xor_b64 s[2:3], exec, s[2:3]
	s_cbranch_execz .LBB7_2092
.LBB7_2094:
	s_waitcnt vmcnt(0)
	v_cmp_neq_f64_e32 vcc, 0, v[0:1]
	v_cndmask_b32_e64 v2, 0, 1, vcc
	global_store_byte v[4:5], v2, off
	s_or_b64 exec, exec, s[2:3]
	s_and_saveexec_b64 s[2:3], s[0:1]
	s_cbranch_execz .LBB7_2132
.LBB7_2095:
	s_sext_i32_i16 s2, s16
	s_cmp_lt_i32 s2, 5
	s_mov_b64 s[0:1], -1
	s_cbranch_scc1 .LBB7_2116
; %bb.2096:
	s_cmp_lt_i32 s2, 8
	s_cbranch_scc1 .LBB7_2106
; %bb.2097:
	s_cmp_lt_i32 s2, 9
	s_cbranch_scc1 .LBB7_2103
; %bb.2098:
	s_cmp_gt_i32 s2, 9
	s_cbranch_scc0 .LBB7_2100
; %bb.2099:
	v_mov_b32_e32 v2, 0
	s_waitcnt vmcnt(0)
	v_mov_b32_e32 v3, v2
	global_store_dwordx4 v[4:5], v[0:3], off
	s_mov_b64 s[0:1], 0
.LBB7_2100:
	s_andn2_b64 vcc, exec, s[0:1]
	s_cbranch_vccnz .LBB7_2102
; %bb.2101:
	s_waitcnt vmcnt(0)
	v_cvt_f32_f64_e32 v2, v[0:1]
	v_mov_b32_e32 v3, 0
	global_store_dwordx2 v[4:5], v[2:3], off
.LBB7_2102:
	s_mov_b64 s[0:1], 0
.LBB7_2103:
	s_andn2_b64 vcc, exec, s[0:1]
	s_cbranch_vccnz .LBB7_2105
; %bb.2104:
	s_movk_i32 s0, 0x1ff
	s_waitcnt vmcnt(0)
	v_and_or_b32 v2, v1, s0, v0
	v_cmp_ne_u32_e32 vcc, 0, v2
	v_cndmask_b32_e64 v2, 0, 1, vcc
	v_lshrrev_b32_e32 v3, 8, v1
	s_movk_i32 s0, 0xffe
	v_bfe_u32 v6, v1, 20, 11
	v_and_or_b32 v2, v3, s0, v2
	v_sub_u32_e32 v7, 0x3f1, v6
	v_or_b32_e32 v3, 0x1000, v2
	v_med3_i32 v7, v7, 0, 13
	v_lshrrev_b32_e32 v8, v7, v3
	v_lshlrev_b32_e32 v7, v7, v8
	v_cmp_ne_u32_e32 vcc, v7, v3
	v_cndmask_b32_e64 v3, 0, 1, vcc
	v_add_u32_e32 v6, 0xfffffc10, v6
	v_or_b32_e32 v3, v8, v3
	v_lshl_or_b32 v7, v6, 12, v2
	v_cmp_gt_i32_e32 vcc, 1, v6
	v_cndmask_b32_e32 v3, v7, v3, vcc
	v_and_b32_e32 v7, 7, v3
	v_cmp_lt_i32_e32 vcc, 5, v7
	v_cndmask_b32_e64 v8, 0, 1, vcc
	v_cmp_eq_u32_e32 vcc, 3, v7
	v_cndmask_b32_e64 v7, 0, 1, vcc
	v_or_b32_e32 v7, v7, v8
	v_lshrrev_b32_e32 v3, 2, v3
	v_add_u32_e32 v3, v3, v7
	v_mov_b32_e32 v7, 0x7c00
	v_cmp_gt_i32_e32 vcc, 31, v6
	v_cndmask_b32_e32 v3, v7, v3, vcc
	v_mov_b32_e32 v8, 0x7e00
	v_cmp_ne_u32_e32 vcc, 0, v2
	s_movk_i32 s0, 0x40f
	v_cndmask_b32_e32 v2, v7, v8, vcc
	v_cmp_eq_u32_e32 vcc, s0, v6
	v_cndmask_b32_e32 v2, v3, v2, vcc
	v_lshrrev_b32_e32 v3, 16, v1
	s_mov_b32 s0, 0x8000
	v_and_or_b32 v2, v3, s0, v2
	v_and_b32_e32 v2, 0xffff, v2
	global_store_dword v[4:5], v2, off
.LBB7_2105:
	s_mov_b64 s[0:1], 0
.LBB7_2106:
	s_andn2_b64 vcc, exec, s[0:1]
	s_cbranch_vccnz .LBB7_2115
; %bb.2107:
	s_sext_i32_i16 s2, s16
	s_cmp_lt_i32 s2, 6
	s_mov_b64 s[0:1], -1
	s_cbranch_scc1 .LBB7_2113
; %bb.2108:
	s_cmp_gt_i32 s2, 6
	s_cbranch_scc0 .LBB7_2110
; %bb.2109:
	s_waitcnt vmcnt(0)
	global_store_dwordx2 v[4:5], v[0:1], off
	s_mov_b64 s[0:1], 0
.LBB7_2110:
	s_andn2_b64 vcc, exec, s[0:1]
	s_cbranch_vccnz .LBB7_2112
; %bb.2111:
	s_waitcnt vmcnt(0)
	v_cvt_f32_f64_e32 v2, v[0:1]
	global_store_dword v[4:5], v2, off
.LBB7_2112:
	s_mov_b64 s[0:1], 0
.LBB7_2113:
	s_andn2_b64 vcc, exec, s[0:1]
	s_cbranch_vccnz .LBB7_2115
; %bb.2114:
	s_movk_i32 s0, 0x1ff
	s_waitcnt vmcnt(0)
	v_and_or_b32 v2, v1, s0, v0
	v_cmp_ne_u32_e32 vcc, 0, v2
	v_cndmask_b32_e64 v2, 0, 1, vcc
	v_lshrrev_b32_e32 v3, 8, v1
	s_movk_i32 s0, 0xffe
	v_bfe_u32 v6, v1, 20, 11
	v_and_or_b32 v2, v3, s0, v2
	v_sub_u32_e32 v7, 0x3f1, v6
	v_or_b32_e32 v3, 0x1000, v2
	v_med3_i32 v7, v7, 0, 13
	v_lshrrev_b32_e32 v8, v7, v3
	v_lshlrev_b32_e32 v7, v7, v8
	v_cmp_ne_u32_e32 vcc, v7, v3
	v_cndmask_b32_e64 v3, 0, 1, vcc
	v_add_u32_e32 v6, 0xfffffc10, v6
	v_or_b32_e32 v3, v8, v3
	v_lshl_or_b32 v7, v6, 12, v2
	v_cmp_gt_i32_e32 vcc, 1, v6
	v_cndmask_b32_e32 v3, v7, v3, vcc
	v_and_b32_e32 v7, 7, v3
	v_cmp_lt_i32_e32 vcc, 5, v7
	v_cndmask_b32_e64 v8, 0, 1, vcc
	v_cmp_eq_u32_e32 vcc, 3, v7
	v_cndmask_b32_e64 v7, 0, 1, vcc
	v_or_b32_e32 v7, v7, v8
	v_lshrrev_b32_e32 v3, 2, v3
	v_add_u32_e32 v3, v3, v7
	v_mov_b32_e32 v7, 0x7c00
	v_cmp_gt_i32_e32 vcc, 31, v6
	v_cndmask_b32_e32 v3, v7, v3, vcc
	v_mov_b32_e32 v8, 0x7e00
	v_cmp_ne_u32_e32 vcc, 0, v2
	s_movk_i32 s0, 0x40f
	v_cndmask_b32_e32 v2, v7, v8, vcc
	v_cmp_eq_u32_e32 vcc, s0, v6
	v_cndmask_b32_e32 v2, v3, v2, vcc
	v_lshrrev_b32_e32 v3, 16, v1
	s_mov_b32 s0, 0x8000
	v_and_or_b32 v2, v3, s0, v2
	global_store_short v[4:5], v2, off
.LBB7_2115:
	s_mov_b64 s[0:1], 0
.LBB7_2116:
	s_andn2_b64 vcc, exec, s[0:1]
	s_cbranch_vccnz .LBB7_2132
; %bb.2117:
	s_sext_i32_i16 s2, s16
	s_cmp_lt_i32 s2, 2
	s_mov_b64 s[0:1], -1
	s_cbranch_scc1 .LBB7_2127
; %bb.2118:
	s_cmp_lt_i32 s2, 3
	s_cbranch_scc1 .LBB7_2124
; %bb.2119:
	s_cmp_gt_i32 s2, 3
	s_cbranch_scc0 .LBB7_2121
; %bb.2120:
	s_waitcnt vmcnt(0)
	v_trunc_f64_e32 v[2:3], v[0:1]
	s_movk_i32 s0, 0xffe0
	v_ldexp_f64 v[6:7], v[2:3], s0
	s_mov_b32 s0, 0
	s_mov_b32 s1, 0xc1f00000
	v_floor_f64_e32 v[6:7], v[6:7]
	v_fma_f64 v[2:3], v[6:7], s[0:1], v[2:3]
	v_cvt_i32_f64_e32 v7, v[6:7]
	s_mov_b64 s[0:1], 0
	v_cvt_u32_f64_e32 v6, v[2:3]
	global_store_dwordx2 v[4:5], v[6:7], off
.LBB7_2121:
	s_andn2_b64 vcc, exec, s[0:1]
	s_cbranch_vccnz .LBB7_2123
; %bb.2122:
	s_waitcnt vmcnt(0)
	v_cvt_i32_f64_e32 v2, v[0:1]
	global_store_dword v[4:5], v2, off
.LBB7_2123:
	s_mov_b64 s[0:1], 0
.LBB7_2124:
	s_andn2_b64 vcc, exec, s[0:1]
	s_cbranch_vccnz .LBB7_2126
; %bb.2125:
	s_waitcnt vmcnt(0)
	v_cvt_i32_f64_e32 v2, v[0:1]
	global_store_short v[4:5], v2, off
.LBB7_2126:
	s_mov_b64 s[0:1], 0
.LBB7_2127:
	s_andn2_b64 vcc, exec, s[0:1]
	s_cbranch_vccnz .LBB7_2132
; %bb.2128:
	s_sext_i32_i16 s0, s16
	s_cmp_gt_i32 s0, 0
	s_mov_b64 s[0:1], -1
	s_cbranch_scc0 .LBB7_2130
; %bb.2129:
	s_waitcnt vmcnt(0)
	v_cvt_i32_f64_e32 v2, v[0:1]
	s_mov_b64 s[0:1], 0
	global_store_byte v[4:5], v2, off
.LBB7_2130:
	s_andn2_b64 vcc, exec, s[0:1]
	s_cbranch_vccnz .LBB7_2132
; %bb.2131:
	s_waitcnt vmcnt(0)
	v_trunc_f64_e32 v[0:1], v[0:1]
	s_movk_i32 s0, 0xffe0
	v_ldexp_f64 v[2:3], v[0:1], s0
	s_mov_b32 s0, 0
	s_mov_b32 s1, 0xc1f00000
	v_floor_f64_e32 v[2:3], v[2:3]
	v_fma_f64 v[0:1], v[2:3], s[0:1], v[0:1]
	v_cvt_u32_f64_e32 v0, v[0:1]
	global_store_byte v[4:5], v0, off
	s_endpgm
.LBB7_2132:
	s_endpgm
.LBB7_2133:
	s_mov_b64 s[4:5], 0
	s_mov_b64 s[0:1], -1
	s_branch .LBB7_2089
.LBB7_2134:
	s_trap 2
	s_or_b64 s[2:3], s[2:3], exec
	s_cbranch_execz .LBB7_1603
	s_branch .LBB7_1604
.LBB7_2135:
	s_andn2_saveexec_b64 s[14:15], s[14:15]
	s_cbranch_execz .LBB7_1683
.LBB7_2136:
	s_mov_b32 s18, 0x46000000
	v_add_f32_e64 v3, |v2|, s18
	v_and_b32_e32 v3, 0xff, v3
	v_cmp_ne_u32_e32 vcc, 0, v3
	s_andn2_b64 s[12:13], s[12:13], exec
	s_and_b64 s[18:19], vcc, exec
	s_or_b64 s[12:13], s[12:13], s[18:19]
	s_or_b64 exec, exec, s[14:15]
	v_mov_b32_e32 v5, 0
	s_and_saveexec_b64 s[14:15], s[12:13]
	s_cbranch_execnz .LBB7_1684
	s_branch .LBB7_1685
.LBB7_2137:
	s_trap 2
	s_or_b64 s[2:3], s[2:3], exec
	s_cbranch_execz .LBB7_1731
	s_branch .LBB7_1732
.LBB7_2138:
	s_andn2_saveexec_b64 s[12:13], s[12:13]
	s_cbranch_execz .LBB7_1696
.LBB7_2139:
	s_mov_b32 s14, 0x42800000
	v_add_f32_e64 v3, |v2|, s14
	v_and_b32_e32 v3, 0xff, v3
	v_cmp_ne_u32_e32 vcc, 0, v3
	s_andn2_b64 s[10:11], s[10:11], exec
	s_and_b64 s[14:15], vcc, exec
	s_or_b64 s[10:11], s[10:11], s[14:15]
	s_or_b64 exec, exec, s[12:13]
	v_mov_b32_e32 v5, 0
	s_and_saveexec_b64 s[12:13], s[10:11]
	s_cbranch_execnz .LBB7_1697
	s_branch .LBB7_1698
.LBB7_2140:
	s_andn2_saveexec_b64 s[14:15], s[14:15]
	s_cbranch_execz .LBB7_1802
.LBB7_2141:
	s_mov_b32 s18, 0x46000000
	v_add_f32_e64 v3, |v2|, s18
	v_and_b32_e32 v3, 0xff, v3
	v_cmp_ne_u32_e32 vcc, 0, v3
	s_andn2_b64 s[12:13], s[12:13], exec
	s_and_b64 s[18:19], vcc, exec
	s_or_b64 s[12:13], s[12:13], s[18:19]
	s_or_b64 exec, exec, s[14:15]
	v_mov_b32_e32 v5, 0
	s_and_saveexec_b64 s[14:15], s[12:13]
	s_cbranch_execnz .LBB7_1803
	s_branch .LBB7_1804
.LBB7_2142:
	s_trap 2
	s_or_b64 s[2:3], s[2:3], exec
	s_cbranch_execz .LBB7_1850
	s_branch .LBB7_1851
.LBB7_2143:
	s_andn2_saveexec_b64 s[12:13], s[12:13]
	s_cbranch_execz .LBB7_1815
.LBB7_2144:
	s_mov_b32 s14, 0x42800000
	v_add_f32_e64 v3, |v2|, s14
	v_and_b32_e32 v3, 0xff, v3
	v_cmp_ne_u32_e32 vcc, 0, v3
	s_andn2_b64 s[10:11], s[10:11], exec
	s_and_b64 s[14:15], vcc, exec
	s_or_b64 s[10:11], s[10:11], s[14:15]
	s_or_b64 exec, exec, s[12:13]
	v_mov_b32_e32 v5, 0
	s_and_saveexec_b64 s[12:13], s[10:11]
	s_cbranch_execnz .LBB7_1816
	s_branch .LBB7_1817
.LBB7_2145:
	s_andn2_saveexec_b64 s[14:15], s[14:15]
	s_cbranch_execz .LBB7_1921
.LBB7_2146:
	s_mov_b32 s18, 0x46000000
	v_add_f32_e64 v3, |v2|, s18
	v_and_b32_e32 v3, 0xff, v3
	v_cmp_ne_u32_e32 vcc, 0, v3
	s_andn2_b64 s[12:13], s[12:13], exec
	s_and_b64 s[18:19], vcc, exec
	s_or_b64 s[12:13], s[12:13], s[18:19]
	s_or_b64 exec, exec, s[14:15]
	v_mov_b32_e32 v7, 0
	s_and_saveexec_b64 s[14:15], s[12:13]
	s_cbranch_execnz .LBB7_1922
	s_branch .LBB7_1923
.LBB7_2147:
	s_trap 2
	s_or_b64 s[2:3], s[2:3], exec
	s_cbranch_execz .LBB7_1969
	s_branch .LBB7_1970
.LBB7_2148:
	s_andn2_saveexec_b64 s[12:13], s[12:13]
	s_cbranch_execz .LBB7_1934
.LBB7_2149:
	s_mov_b32 s14, 0x42800000
	v_add_f32_e64 v3, |v2|, s14
	v_and_b32_e32 v3, 0xff, v3
	v_cmp_ne_u32_e32 vcc, 0, v3
	s_andn2_b64 s[10:11], s[10:11], exec
	s_and_b64 s[14:15], vcc, exec
	s_or_b64 s[10:11], s[10:11], s[14:15]
	s_or_b64 exec, exec, s[12:13]
	v_mov_b32_e32 v7, 0
	s_and_saveexec_b64 s[12:13], s[10:11]
	s_cbranch_execnz .LBB7_1935
	s_branch .LBB7_1936
.LBB7_2150:
	s_andn2_saveexec_b64 s[10:11], s[10:11]
	s_cbranch_execz .LBB7_2041
.LBB7_2151:
	s_mov_b32 s12, 0x46000000
	v_add_f32_e64 v3, |v2|, s12
	v_and_b32_e32 v3, 0xff, v3
	v_cmp_ne_u32_e32 vcc, 0, v3
	s_andn2_b64 s[8:9], s[8:9], exec
	s_and_b64 s[12:13], vcc, exec
	s_or_b64 s[8:9], s[8:9], s[12:13]
	s_or_b64 exec, exec, s[10:11]
	v_mov_b32_e32 v6, 0
	s_and_saveexec_b64 s[10:11], s[8:9]
	s_cbranch_execnz .LBB7_2042
	s_branch .LBB7_2043
.LBB7_2152:
	s_mov_b64 s[4:5], 0
	s_or_b64 s[2:3], s[2:3], exec
	s_trap 2
	s_branch .LBB7_2087
.LBB7_2153:
	s_andn2_saveexec_b64 s[8:9], s[8:9]
	s_cbranch_execz .LBB7_2053
.LBB7_2154:
	s_mov_b32 s10, 0x42800000
	v_add_f32_e64 v3, |v2|, s10
	v_and_b32_e32 v3, 0xff, v3
	v_cmp_ne_u32_e32 vcc, 0, v3
	s_andn2_b64 s[6:7], s[6:7], exec
	s_and_b64 s[10:11], vcc, exec
	s_or_b64 s[6:7], s[6:7], s[10:11]
	s_or_b64 exec, exec, s[8:9]
	v_mov_b32_e32 v6, 0
	s_and_saveexec_b64 s[8:9], s[6:7]
	s_cbranch_execnz .LBB7_2054
	s_branch .LBB7_2055
	.section	.rodata,"a",@progbits
	.p2align	6, 0x0
	.amdhsa_kernel _ZN2at6native32elementwise_kernel_manual_unrollILi128ELi4EZNS0_15gpu_kernel_implIZZZNS0_12_GLOBAL__N_117hardshrink_kernelERNS_18TensorIteratorBaseERKN3c106ScalarEENKUlvE_clEvENKUlvE_clEvEUldE_EEvS5_RKT_EUlibE0_EEviT1_
		.amdhsa_group_segment_fixed_size 0
		.amdhsa_private_segment_fixed_size 0
		.amdhsa_kernarg_size 368
		.amdhsa_user_sgpr_count 6
		.amdhsa_user_sgpr_private_segment_buffer 1
		.amdhsa_user_sgpr_dispatch_ptr 0
		.amdhsa_user_sgpr_queue_ptr 0
		.amdhsa_user_sgpr_kernarg_segment_ptr 1
		.amdhsa_user_sgpr_dispatch_id 0
		.amdhsa_user_sgpr_flat_scratch_init 0
		.amdhsa_user_sgpr_private_segment_size 0
		.amdhsa_uses_dynamic_stack 0
		.amdhsa_system_sgpr_private_segment_wavefront_offset 0
		.amdhsa_system_sgpr_workgroup_id_x 1
		.amdhsa_system_sgpr_workgroup_id_y 0
		.amdhsa_system_sgpr_workgroup_id_z 0
		.amdhsa_system_sgpr_workgroup_info 0
		.amdhsa_system_vgpr_workitem_id 0
		.amdhsa_next_free_vgpr 19
		.amdhsa_next_free_sgpr 80
		.amdhsa_reserve_vcc 1
		.amdhsa_reserve_flat_scratch 0
		.amdhsa_float_round_mode_32 0
		.amdhsa_float_round_mode_16_64 0
		.amdhsa_float_denorm_mode_32 3
		.amdhsa_float_denorm_mode_16_64 3
		.amdhsa_dx10_clamp 1
		.amdhsa_ieee_mode 1
		.amdhsa_fp16_overflow 0
		.amdhsa_exception_fp_ieee_invalid_op 0
		.amdhsa_exception_fp_denorm_src 0
		.amdhsa_exception_fp_ieee_div_zero 0
		.amdhsa_exception_fp_ieee_overflow 0
		.amdhsa_exception_fp_ieee_underflow 0
		.amdhsa_exception_fp_ieee_inexact 0
		.amdhsa_exception_int_div_zero 0
	.end_amdhsa_kernel
	.section	.text._ZN2at6native32elementwise_kernel_manual_unrollILi128ELi4EZNS0_15gpu_kernel_implIZZZNS0_12_GLOBAL__N_117hardshrink_kernelERNS_18TensorIteratorBaseERKN3c106ScalarEENKUlvE_clEvENKUlvE_clEvEUldE_EEvS5_RKT_EUlibE0_EEviT1_,"axG",@progbits,_ZN2at6native32elementwise_kernel_manual_unrollILi128ELi4EZNS0_15gpu_kernel_implIZZZNS0_12_GLOBAL__N_117hardshrink_kernelERNS_18TensorIteratorBaseERKN3c106ScalarEENKUlvE_clEvENKUlvE_clEvEUldE_EEvS5_RKT_EUlibE0_EEviT1_,comdat
.Lfunc_end7:
	.size	_ZN2at6native32elementwise_kernel_manual_unrollILi128ELi4EZNS0_15gpu_kernel_implIZZZNS0_12_GLOBAL__N_117hardshrink_kernelERNS_18TensorIteratorBaseERKN3c106ScalarEENKUlvE_clEvENKUlvE_clEvEUldE_EEvS5_RKT_EUlibE0_EEviT1_, .Lfunc_end7-_ZN2at6native32elementwise_kernel_manual_unrollILi128ELi4EZNS0_15gpu_kernel_implIZZZNS0_12_GLOBAL__N_117hardshrink_kernelERNS_18TensorIteratorBaseERKN3c106ScalarEENKUlvE_clEvENKUlvE_clEvEUldE_EEvS5_RKT_EUlibE0_EEviT1_
                                        ; -- End function
	.set _ZN2at6native32elementwise_kernel_manual_unrollILi128ELi4EZNS0_15gpu_kernel_implIZZZNS0_12_GLOBAL__N_117hardshrink_kernelERNS_18TensorIteratorBaseERKN3c106ScalarEENKUlvE_clEvENKUlvE_clEvEUldE_EEvS5_RKT_EUlibE0_EEviT1_.num_vgpr, 19
	.set _ZN2at6native32elementwise_kernel_manual_unrollILi128ELi4EZNS0_15gpu_kernel_implIZZZNS0_12_GLOBAL__N_117hardshrink_kernelERNS_18TensorIteratorBaseERKN3c106ScalarEENKUlvE_clEvENKUlvE_clEvEUldE_EEvS5_RKT_EUlibE0_EEviT1_.num_agpr, 0
	.set _ZN2at6native32elementwise_kernel_manual_unrollILi128ELi4EZNS0_15gpu_kernel_implIZZZNS0_12_GLOBAL__N_117hardshrink_kernelERNS_18TensorIteratorBaseERKN3c106ScalarEENKUlvE_clEvENKUlvE_clEvEUldE_EEvS5_RKT_EUlibE0_EEviT1_.numbered_sgpr, 80
	.set _ZN2at6native32elementwise_kernel_manual_unrollILi128ELi4EZNS0_15gpu_kernel_implIZZZNS0_12_GLOBAL__N_117hardshrink_kernelERNS_18TensorIteratorBaseERKN3c106ScalarEENKUlvE_clEvENKUlvE_clEvEUldE_EEvS5_RKT_EUlibE0_EEviT1_.num_named_barrier, 0
	.set _ZN2at6native32elementwise_kernel_manual_unrollILi128ELi4EZNS0_15gpu_kernel_implIZZZNS0_12_GLOBAL__N_117hardshrink_kernelERNS_18TensorIteratorBaseERKN3c106ScalarEENKUlvE_clEvENKUlvE_clEvEUldE_EEvS5_RKT_EUlibE0_EEviT1_.private_seg_size, 0
	.set _ZN2at6native32elementwise_kernel_manual_unrollILi128ELi4EZNS0_15gpu_kernel_implIZZZNS0_12_GLOBAL__N_117hardshrink_kernelERNS_18TensorIteratorBaseERKN3c106ScalarEENKUlvE_clEvENKUlvE_clEvEUldE_EEvS5_RKT_EUlibE0_EEviT1_.uses_vcc, 1
	.set _ZN2at6native32elementwise_kernel_manual_unrollILi128ELi4EZNS0_15gpu_kernel_implIZZZNS0_12_GLOBAL__N_117hardshrink_kernelERNS_18TensorIteratorBaseERKN3c106ScalarEENKUlvE_clEvENKUlvE_clEvEUldE_EEvS5_RKT_EUlibE0_EEviT1_.uses_flat_scratch, 0
	.set _ZN2at6native32elementwise_kernel_manual_unrollILi128ELi4EZNS0_15gpu_kernel_implIZZZNS0_12_GLOBAL__N_117hardshrink_kernelERNS_18TensorIteratorBaseERKN3c106ScalarEENKUlvE_clEvENKUlvE_clEvEUldE_EEvS5_RKT_EUlibE0_EEviT1_.has_dyn_sized_stack, 0
	.set _ZN2at6native32elementwise_kernel_manual_unrollILi128ELi4EZNS0_15gpu_kernel_implIZZZNS0_12_GLOBAL__N_117hardshrink_kernelERNS_18TensorIteratorBaseERKN3c106ScalarEENKUlvE_clEvENKUlvE_clEvEUldE_EEvS5_RKT_EUlibE0_EEviT1_.has_recursion, 0
	.set _ZN2at6native32elementwise_kernel_manual_unrollILi128ELi4EZNS0_15gpu_kernel_implIZZZNS0_12_GLOBAL__N_117hardshrink_kernelERNS_18TensorIteratorBaseERKN3c106ScalarEENKUlvE_clEvENKUlvE_clEvEUldE_EEvS5_RKT_EUlibE0_EEviT1_.has_indirect_call, 0
	.section	.AMDGPU.csdata,"",@progbits
; Kernel info:
; codeLenInByte = 40908
; TotalNumSgprs: 84
; NumVgprs: 19
; ScratchSize: 0
; MemoryBound: 1
; FloatMode: 240
; IeeeMode: 1
; LDSByteSize: 0 bytes/workgroup (compile time only)
; SGPRBlocks: 10
; VGPRBlocks: 4
; NumSGPRsForWavesPerEU: 84
; NumVGPRsForWavesPerEU: 19
; Occupancy: 9
; WaveLimiterHint : 1
; COMPUTE_PGM_RSRC2:SCRATCH_EN: 0
; COMPUTE_PGM_RSRC2:USER_SGPR: 6
; COMPUTE_PGM_RSRC2:TRAP_HANDLER: 0
; COMPUTE_PGM_RSRC2:TGID_X_EN: 1
; COMPUTE_PGM_RSRC2:TGID_Y_EN: 0
; COMPUTE_PGM_RSRC2:TGID_Z_EN: 0
; COMPUTE_PGM_RSRC2:TIDIG_COMP_CNT: 0
	.section	.text._ZN2at6native29vectorized_elementwise_kernelILi16EZZZNS0_12_GLOBAL__N_117hardshrink_kernelERNS_18TensorIteratorBaseERKN3c106ScalarEENKUlvE_clEvENKUlvE0_clEvEUlfE_St5arrayIPcLm2EEEEviT0_T1_,"axG",@progbits,_ZN2at6native29vectorized_elementwise_kernelILi16EZZZNS0_12_GLOBAL__N_117hardshrink_kernelERNS_18TensorIteratorBaseERKN3c106ScalarEENKUlvE_clEvENKUlvE0_clEvEUlfE_St5arrayIPcLm2EEEEviT0_T1_,comdat
	.globl	_ZN2at6native29vectorized_elementwise_kernelILi16EZZZNS0_12_GLOBAL__N_117hardshrink_kernelERNS_18TensorIteratorBaseERKN3c106ScalarEENKUlvE_clEvENKUlvE0_clEvEUlfE_St5arrayIPcLm2EEEEviT0_T1_ ; -- Begin function _ZN2at6native29vectorized_elementwise_kernelILi16EZZZNS0_12_GLOBAL__N_117hardshrink_kernelERNS_18TensorIteratorBaseERKN3c106ScalarEENKUlvE_clEvENKUlvE0_clEvEUlfE_St5arrayIPcLm2EEEEviT0_T1_
	.p2align	8
	.type	_ZN2at6native29vectorized_elementwise_kernelILi16EZZZNS0_12_GLOBAL__N_117hardshrink_kernelERNS_18TensorIteratorBaseERKN3c106ScalarEENKUlvE_clEvENKUlvE0_clEvEUlfE_St5arrayIPcLm2EEEEviT0_T1_,@function
_ZN2at6native29vectorized_elementwise_kernelILi16EZZZNS0_12_GLOBAL__N_117hardshrink_kernelERNS_18TensorIteratorBaseERKN3c106ScalarEENKUlvE_clEvENKUlvE0_clEvEUlfE_St5arrayIPcLm2EEEEviT0_T1_: ; @_ZN2at6native29vectorized_elementwise_kernelILi16EZZZNS0_12_GLOBAL__N_117hardshrink_kernelERNS_18TensorIteratorBaseERKN3c106ScalarEENKUlvE_clEvENKUlvE0_clEvEUlfE_St5arrayIPcLm2EEEEviT0_T1_
; %bb.0:
	s_load_dwordx2 s[12:13], s[4:5], 0x0
	s_load_dwordx4 s[8:11], s[4:5], 0x8
	s_lshl_b32 s6, s6, 10
	s_mov_b64 s[0:1], -1
	s_waitcnt lgkmcnt(0)
	s_sub_i32 s12, s12, s6
	s_cmpk_gt_i32 s12, 0x3ff
	s_cbranch_scc0 .LBB8_2
; %bb.1:
	s_ashr_i32 s7, s6, 31
	s_lshl_b64 s[14:15], s[6:7], 2
	s_add_u32 s0, s10, s14
	s_addc_u32 s1, s11, s15
	v_lshlrev_b32_e32 v5, 4, v0
	global_load_dwordx4 v[1:4], v5, s[0:1]
	s_waitcnt vmcnt(0)
	v_cmp_nge_f32_e64 s[16:17], v1, -s13
	v_cmp_nge_f32_e32 vcc, s13, v1
	v_cmp_nge_f32_e64 s[18:19], v2, -s13
	v_cmp_nge_f32_e64 s[0:1], s13, v2
	s_or_b64 vcc, s[16:17], vcc
	v_cmp_nge_f32_e64 s[20:21], v3, -s13
	v_cmp_nge_f32_e64 s[2:3], s13, v3
	v_cndmask_b32_e32 v1, 0, v1, vcc
	s_or_b64 vcc, s[18:19], s[0:1]
	v_cmp_nge_f32_e64 s[22:23], v4, -s13
	v_cmp_nge_f32_e64 s[4:5], s13, v4
	v_cndmask_b32_e32 v2, 0, v2, vcc
	s_or_b64 vcc, s[20:21], s[2:3]
	v_cndmask_b32_e32 v3, 0, v3, vcc
	s_or_b64 vcc, s[22:23], s[4:5]
	s_add_u32 s0, s8, s14
	v_cndmask_b32_e32 v4, 0, v4, vcc
	s_addc_u32 s1, s9, s15
	global_store_dwordx4 v5, v[1:4], s[0:1]
	s_mov_b64 s[0:1], 0
.LBB8_2:
	s_andn2_b64 vcc, exec, s[0:1]
	s_cbranch_vccnz .LBB8_16
; %bb.3:
	v_cmp_gt_i32_e32 vcc, s12, v0
	v_mov_b32_e32 v3, 0
	v_or_b32_e32 v1, s6, v0
	v_mov_b32_e32 v2, 0
	v_mov_b32_e32 v4, v0
	s_and_saveexec_b64 s[2:3], vcc
	s_cbranch_execz .LBB8_5
; %bb.4:
	v_mov_b32_e32 v2, 0
	v_lshlrev_b64 v[4:5], 2, v[1:2]
	v_mov_b32_e32 v2, s11
	v_add_co_u32_e64 v4, s[0:1], s10, v4
	v_addc_co_u32_e64 v5, s[0:1], v2, v5, s[0:1]
	global_load_dword v2, v[4:5], off
	v_or_b32_e32 v4, 0x100, v0
.LBB8_5:
	s_or_b64 exec, exec, s[2:3]
	v_cmp_gt_i32_e64 s[0:1], s12, v4
	s_and_saveexec_b64 s[2:3], s[0:1]
	s_cbranch_execz .LBB8_7
; %bb.6:
	v_add_u32_e32 v5, s6, v4
	v_mov_b32_e32 v6, 0
	v_lshlrev_b64 v[5:6], 2, v[5:6]
	v_mov_b32_e32 v3, s11
	v_add_co_u32_e64 v5, s[0:1], s10, v5
	v_addc_co_u32_e64 v6, s[0:1], v3, v6, s[0:1]
	global_load_dword v3, v[5:6], off
	v_add_u32_e32 v4, 0x100, v4
.LBB8_7:
	s_or_b64 exec, exec, s[2:3]
	v_cmp_gt_i32_e64 s[0:1], s12, v4
	v_mov_b32_e32 v5, 0
	v_mov_b32_e32 v7, 0
	s_and_saveexec_b64 s[2:3], s[0:1]
	s_cbranch_execz .LBB8_9
; %bb.8:
	v_add_u32_e32 v6, s6, v4
	v_mov_b32_e32 v7, 0
	v_lshlrev_b64 v[6:7], 2, v[6:7]
	v_mov_b32_e32 v8, s11
	v_add_co_u32_e64 v6, s[0:1], s10, v6
	v_addc_co_u32_e64 v7, s[0:1], v8, v7, s[0:1]
	global_load_dword v7, v[6:7], off
	v_add_u32_e32 v4, 0x100, v4
.LBB8_9:
	s_or_b64 exec, exec, s[2:3]
	v_cmp_gt_i32_e64 s[0:1], s12, v4
	s_and_saveexec_b64 s[2:3], s[0:1]
	s_cbranch_execz .LBB8_11
; %bb.10:
	v_add_u32_e32 v4, s6, v4
	v_mov_b32_e32 v5, 0
	v_lshlrev_b64 v[4:5], 2, v[4:5]
	v_mov_b32_e32 v6, s11
	v_add_co_u32_e64 v4, s[0:1], s10, v4
	v_addc_co_u32_e64 v5, s[0:1], v6, v5, s[0:1]
	global_load_dword v5, v[4:5], off
.LBB8_11:
	s_or_b64 exec, exec, s[2:3]
	s_waitcnt vmcnt(0)
	v_cmp_nge_f32_e64 s[2:3], v2, -s13
	v_cmp_nge_f32_e64 s[0:1], s13, v2
	s_or_b64 s[0:1], s[2:3], s[0:1]
	v_cndmask_b32_e64 v2, 0, v2, s[0:1]
	v_cmp_nge_f32_e64 s[2:3], v3, -s13
	v_cmp_nge_f32_e64 s[0:1], s13, v3
	v_or_b32_e32 v8, 0x100, v0
	s_or_b64 s[0:1], s[2:3], s[0:1]
	v_cndmask_b32_e32 v9, 0, v2, vcc
	v_cndmask_b32_e64 v2, 0, v3, s[0:1]
	v_cmp_gt_i32_e64 s[0:1], s12, v8
	v_cndmask_b32_e64 v6, 0, v2, s[0:1]
	v_cmp_nge_f32_e64 s[2:3], v7, -s13
	v_cmp_nge_f32_e64 s[0:1], s13, v7
	v_or_b32_e32 v2, 0x200, v0
	s_or_b64 s[0:1], s[2:3], s[0:1]
	v_cndmask_b32_e64 v3, 0, v7, s[0:1]
	v_cmp_gt_i32_e64 s[0:1], s12, v2
	v_cndmask_b32_e64 v4, 0, v3, s[0:1]
	v_cmp_nge_f32_e64 s[2:3], v5, -s13
	v_cmp_nge_f32_e64 s[0:1], s13, v5
	v_or_b32_e32 v2, 0x300, v0
	s_or_b64 s[0:1], s[2:3], s[0:1]
	v_cndmask_b32_e64 v3, 0, v5, s[0:1]
	v_cmp_gt_i32_e64 s[0:1], s12, v2
	v_cndmask_b32_e64 v3, 0, v3, s[0:1]
	s_and_saveexec_b64 s[0:1], vcc
	s_cbranch_execnz .LBB8_17
; %bb.12:
	s_or_b64 exec, exec, s[0:1]
	v_cmp_gt_i32_e32 vcc, s12, v0
	s_and_saveexec_b64 s[0:1], vcc
	s_cbranch_execnz .LBB8_18
.LBB8_13:
	s_or_b64 exec, exec, s[0:1]
	v_cmp_gt_i32_e32 vcc, s12, v0
	s_and_saveexec_b64 s[0:1], vcc
	s_cbranch_execnz .LBB8_19
.LBB8_14:
	s_or_b64 exec, exec, s[0:1]
	v_cmp_gt_i32_e32 vcc, s12, v0
	s_and_saveexec_b64 s[0:1], vcc
	s_cbranch_execz .LBB8_16
.LBB8_15:
	v_add_u32_e32 v0, s6, v0
	v_mov_b32_e32 v1, 0
	v_lshlrev_b64 v[0:1], 2, v[0:1]
	v_mov_b32_e32 v2, s9
	v_add_co_u32_e32 v0, vcc, s8, v0
	v_addc_co_u32_e32 v1, vcc, v2, v1, vcc
	global_store_dword v[0:1], v3, off
.LBB8_16:
	s_endpgm
.LBB8_17:
	v_mov_b32_e32 v2, 0
	v_lshlrev_b64 v[0:1], 2, v[1:2]
	v_mov_b32_e32 v2, s9
	v_add_co_u32_e32 v0, vcc, s8, v0
	v_addc_co_u32_e32 v1, vcc, v2, v1, vcc
	global_store_dword v[0:1], v9, off
	v_mov_b32_e32 v0, v8
	s_or_b64 exec, exec, s[0:1]
	v_cmp_gt_i32_e32 vcc, s12, v0
	s_and_saveexec_b64 s[0:1], vcc
	s_cbranch_execz .LBB8_13
.LBB8_18:
	v_add_u32_e32 v1, s6, v0
	v_mov_b32_e32 v2, 0
	v_lshlrev_b64 v[1:2], 2, v[1:2]
	v_mov_b32_e32 v5, s9
	v_add_co_u32_e32 v1, vcc, s8, v1
	v_addc_co_u32_e32 v2, vcc, v5, v2, vcc
	v_add_u32_e32 v0, 0x100, v0
	global_store_dword v[1:2], v6, off
	s_or_b64 exec, exec, s[0:1]
	v_cmp_gt_i32_e32 vcc, s12, v0
	s_and_saveexec_b64 s[0:1], vcc
	s_cbranch_execz .LBB8_14
.LBB8_19:
	v_add_u32_e32 v1, s6, v0
	v_mov_b32_e32 v2, 0
	v_lshlrev_b64 v[1:2], 2, v[1:2]
	v_mov_b32_e32 v5, s9
	v_add_co_u32_e32 v1, vcc, s8, v1
	v_addc_co_u32_e32 v2, vcc, v5, v2, vcc
	v_add_u32_e32 v0, 0x100, v0
	global_store_dword v[1:2], v4, off
	s_or_b64 exec, exec, s[0:1]
	v_cmp_gt_i32_e32 vcc, s12, v0
	s_and_saveexec_b64 s[0:1], vcc
	s_cbranch_execnz .LBB8_15
	s_branch .LBB8_16
	.section	.rodata,"a",@progbits
	.p2align	6, 0x0
	.amdhsa_kernel _ZN2at6native29vectorized_elementwise_kernelILi16EZZZNS0_12_GLOBAL__N_117hardshrink_kernelERNS_18TensorIteratorBaseERKN3c106ScalarEENKUlvE_clEvENKUlvE0_clEvEUlfE_St5arrayIPcLm2EEEEviT0_T1_
		.amdhsa_group_segment_fixed_size 0
		.amdhsa_private_segment_fixed_size 0
		.amdhsa_kernarg_size 24
		.amdhsa_user_sgpr_count 6
		.amdhsa_user_sgpr_private_segment_buffer 1
		.amdhsa_user_sgpr_dispatch_ptr 0
		.amdhsa_user_sgpr_queue_ptr 0
		.amdhsa_user_sgpr_kernarg_segment_ptr 1
		.amdhsa_user_sgpr_dispatch_id 0
		.amdhsa_user_sgpr_flat_scratch_init 0
		.amdhsa_user_sgpr_private_segment_size 0
		.amdhsa_uses_dynamic_stack 0
		.amdhsa_system_sgpr_private_segment_wavefront_offset 0
		.amdhsa_system_sgpr_workgroup_id_x 1
		.amdhsa_system_sgpr_workgroup_id_y 0
		.amdhsa_system_sgpr_workgroup_id_z 0
		.amdhsa_system_sgpr_workgroup_info 0
		.amdhsa_system_vgpr_workitem_id 0
		.amdhsa_next_free_vgpr 10
		.amdhsa_next_free_sgpr 24
		.amdhsa_reserve_vcc 1
		.amdhsa_reserve_flat_scratch 0
		.amdhsa_float_round_mode_32 0
		.amdhsa_float_round_mode_16_64 0
		.amdhsa_float_denorm_mode_32 3
		.amdhsa_float_denorm_mode_16_64 3
		.amdhsa_dx10_clamp 1
		.amdhsa_ieee_mode 1
		.amdhsa_fp16_overflow 0
		.amdhsa_exception_fp_ieee_invalid_op 0
		.amdhsa_exception_fp_denorm_src 0
		.amdhsa_exception_fp_ieee_div_zero 0
		.amdhsa_exception_fp_ieee_overflow 0
		.amdhsa_exception_fp_ieee_underflow 0
		.amdhsa_exception_fp_ieee_inexact 0
		.amdhsa_exception_int_div_zero 0
	.end_amdhsa_kernel
	.section	.text._ZN2at6native29vectorized_elementwise_kernelILi16EZZZNS0_12_GLOBAL__N_117hardshrink_kernelERNS_18TensorIteratorBaseERKN3c106ScalarEENKUlvE_clEvENKUlvE0_clEvEUlfE_St5arrayIPcLm2EEEEviT0_T1_,"axG",@progbits,_ZN2at6native29vectorized_elementwise_kernelILi16EZZZNS0_12_GLOBAL__N_117hardshrink_kernelERNS_18TensorIteratorBaseERKN3c106ScalarEENKUlvE_clEvENKUlvE0_clEvEUlfE_St5arrayIPcLm2EEEEviT0_T1_,comdat
.Lfunc_end8:
	.size	_ZN2at6native29vectorized_elementwise_kernelILi16EZZZNS0_12_GLOBAL__N_117hardshrink_kernelERNS_18TensorIteratorBaseERKN3c106ScalarEENKUlvE_clEvENKUlvE0_clEvEUlfE_St5arrayIPcLm2EEEEviT0_T1_, .Lfunc_end8-_ZN2at6native29vectorized_elementwise_kernelILi16EZZZNS0_12_GLOBAL__N_117hardshrink_kernelERNS_18TensorIteratorBaseERKN3c106ScalarEENKUlvE_clEvENKUlvE0_clEvEUlfE_St5arrayIPcLm2EEEEviT0_T1_
                                        ; -- End function
	.set _ZN2at6native29vectorized_elementwise_kernelILi16EZZZNS0_12_GLOBAL__N_117hardshrink_kernelERNS_18TensorIteratorBaseERKN3c106ScalarEENKUlvE_clEvENKUlvE0_clEvEUlfE_St5arrayIPcLm2EEEEviT0_T1_.num_vgpr, 10
	.set _ZN2at6native29vectorized_elementwise_kernelILi16EZZZNS0_12_GLOBAL__N_117hardshrink_kernelERNS_18TensorIteratorBaseERKN3c106ScalarEENKUlvE_clEvENKUlvE0_clEvEUlfE_St5arrayIPcLm2EEEEviT0_T1_.num_agpr, 0
	.set _ZN2at6native29vectorized_elementwise_kernelILi16EZZZNS0_12_GLOBAL__N_117hardshrink_kernelERNS_18TensorIteratorBaseERKN3c106ScalarEENKUlvE_clEvENKUlvE0_clEvEUlfE_St5arrayIPcLm2EEEEviT0_T1_.numbered_sgpr, 24
	.set _ZN2at6native29vectorized_elementwise_kernelILi16EZZZNS0_12_GLOBAL__N_117hardshrink_kernelERNS_18TensorIteratorBaseERKN3c106ScalarEENKUlvE_clEvENKUlvE0_clEvEUlfE_St5arrayIPcLm2EEEEviT0_T1_.num_named_barrier, 0
	.set _ZN2at6native29vectorized_elementwise_kernelILi16EZZZNS0_12_GLOBAL__N_117hardshrink_kernelERNS_18TensorIteratorBaseERKN3c106ScalarEENKUlvE_clEvENKUlvE0_clEvEUlfE_St5arrayIPcLm2EEEEviT0_T1_.private_seg_size, 0
	.set _ZN2at6native29vectorized_elementwise_kernelILi16EZZZNS0_12_GLOBAL__N_117hardshrink_kernelERNS_18TensorIteratorBaseERKN3c106ScalarEENKUlvE_clEvENKUlvE0_clEvEUlfE_St5arrayIPcLm2EEEEviT0_T1_.uses_vcc, 1
	.set _ZN2at6native29vectorized_elementwise_kernelILi16EZZZNS0_12_GLOBAL__N_117hardshrink_kernelERNS_18TensorIteratorBaseERKN3c106ScalarEENKUlvE_clEvENKUlvE0_clEvEUlfE_St5arrayIPcLm2EEEEviT0_T1_.uses_flat_scratch, 0
	.set _ZN2at6native29vectorized_elementwise_kernelILi16EZZZNS0_12_GLOBAL__N_117hardshrink_kernelERNS_18TensorIteratorBaseERKN3c106ScalarEENKUlvE_clEvENKUlvE0_clEvEUlfE_St5arrayIPcLm2EEEEviT0_T1_.has_dyn_sized_stack, 0
	.set _ZN2at6native29vectorized_elementwise_kernelILi16EZZZNS0_12_GLOBAL__N_117hardshrink_kernelERNS_18TensorIteratorBaseERKN3c106ScalarEENKUlvE_clEvENKUlvE0_clEvEUlfE_St5arrayIPcLm2EEEEviT0_T1_.has_recursion, 0
	.set _ZN2at6native29vectorized_elementwise_kernelILi16EZZZNS0_12_GLOBAL__N_117hardshrink_kernelERNS_18TensorIteratorBaseERKN3c106ScalarEENKUlvE_clEvENKUlvE0_clEvEUlfE_St5arrayIPcLm2EEEEviT0_T1_.has_indirect_call, 0
	.section	.AMDGPU.csdata,"",@progbits
; Kernel info:
; codeLenInByte = 952
; TotalNumSgprs: 28
; NumVgprs: 10
; ScratchSize: 0
; MemoryBound: 0
; FloatMode: 240
; IeeeMode: 1
; LDSByteSize: 0 bytes/workgroup (compile time only)
; SGPRBlocks: 3
; VGPRBlocks: 2
; NumSGPRsForWavesPerEU: 28
; NumVGPRsForWavesPerEU: 10
; Occupancy: 10
; WaveLimiterHint : 0
; COMPUTE_PGM_RSRC2:SCRATCH_EN: 0
; COMPUTE_PGM_RSRC2:USER_SGPR: 6
; COMPUTE_PGM_RSRC2:TRAP_HANDLER: 0
; COMPUTE_PGM_RSRC2:TGID_X_EN: 1
; COMPUTE_PGM_RSRC2:TGID_Y_EN: 0
; COMPUTE_PGM_RSRC2:TGID_Z_EN: 0
; COMPUTE_PGM_RSRC2:TIDIG_COMP_CNT: 0
	.section	.text._ZN2at6native29vectorized_elementwise_kernelILi8EZZZNS0_12_GLOBAL__N_117hardshrink_kernelERNS_18TensorIteratorBaseERKN3c106ScalarEENKUlvE_clEvENKUlvE0_clEvEUlfE_St5arrayIPcLm2EEEEviT0_T1_,"axG",@progbits,_ZN2at6native29vectorized_elementwise_kernelILi8EZZZNS0_12_GLOBAL__N_117hardshrink_kernelERNS_18TensorIteratorBaseERKN3c106ScalarEENKUlvE_clEvENKUlvE0_clEvEUlfE_St5arrayIPcLm2EEEEviT0_T1_,comdat
	.globl	_ZN2at6native29vectorized_elementwise_kernelILi8EZZZNS0_12_GLOBAL__N_117hardshrink_kernelERNS_18TensorIteratorBaseERKN3c106ScalarEENKUlvE_clEvENKUlvE0_clEvEUlfE_St5arrayIPcLm2EEEEviT0_T1_ ; -- Begin function _ZN2at6native29vectorized_elementwise_kernelILi8EZZZNS0_12_GLOBAL__N_117hardshrink_kernelERNS_18TensorIteratorBaseERKN3c106ScalarEENKUlvE_clEvENKUlvE0_clEvEUlfE_St5arrayIPcLm2EEEEviT0_T1_
	.p2align	8
	.type	_ZN2at6native29vectorized_elementwise_kernelILi8EZZZNS0_12_GLOBAL__N_117hardshrink_kernelERNS_18TensorIteratorBaseERKN3c106ScalarEENKUlvE_clEvENKUlvE0_clEvEUlfE_St5arrayIPcLm2EEEEviT0_T1_,@function
_ZN2at6native29vectorized_elementwise_kernelILi8EZZZNS0_12_GLOBAL__N_117hardshrink_kernelERNS_18TensorIteratorBaseERKN3c106ScalarEENKUlvE_clEvENKUlvE0_clEvEUlfE_St5arrayIPcLm2EEEEviT0_T1_: ; @_ZN2at6native29vectorized_elementwise_kernelILi8EZZZNS0_12_GLOBAL__N_117hardshrink_kernelERNS_18TensorIteratorBaseERKN3c106ScalarEENKUlvE_clEvENKUlvE0_clEvEUlfE_St5arrayIPcLm2EEEEviT0_T1_
; %bb.0:
	s_load_dwordx2 s[12:13], s[4:5], 0x0
	s_load_dwordx4 s[8:11], s[4:5], 0x8
	s_lshl_b32 s6, s6, 10
	s_mov_b64 s[0:1], -1
	s_waitcnt lgkmcnt(0)
	s_sub_i32 s12, s12, s6
	s_cmpk_gt_i32 s12, 0x3ff
	s_cbranch_scc0 .LBB9_2
; %bb.1:
	s_ashr_i32 s7, s6, 31
	s_lshl_b64 s[14:15], s[6:7], 2
	s_add_u32 s0, s10, s14
	s_addc_u32 s1, s11, s15
	v_lshlrev_b32_e32 v5, 4, v0
	global_load_dwordx4 v[1:4], v5, s[0:1]
	s_waitcnt vmcnt(0)
	v_cmp_nge_f32_e64 s[16:17], v1, -s13
	v_cmp_nge_f32_e32 vcc, s13, v1
	v_cmp_nge_f32_e64 s[18:19], v2, -s13
	v_cmp_nge_f32_e64 s[0:1], s13, v2
	s_or_b64 vcc, s[16:17], vcc
	v_cmp_nge_f32_e64 s[20:21], v3, -s13
	v_cmp_nge_f32_e64 s[2:3], s13, v3
	v_cndmask_b32_e32 v1, 0, v1, vcc
	s_or_b64 vcc, s[18:19], s[0:1]
	v_cmp_nge_f32_e64 s[22:23], v4, -s13
	v_cmp_nge_f32_e64 s[4:5], s13, v4
	v_cndmask_b32_e32 v2, 0, v2, vcc
	s_or_b64 vcc, s[20:21], s[2:3]
	v_cndmask_b32_e32 v3, 0, v3, vcc
	s_or_b64 vcc, s[22:23], s[4:5]
	s_add_u32 s0, s8, s14
	v_cndmask_b32_e32 v4, 0, v4, vcc
	s_addc_u32 s1, s9, s15
	global_store_dwordx4 v5, v[1:4], s[0:1]
	s_mov_b64 s[0:1], 0
.LBB9_2:
	s_andn2_b64 vcc, exec, s[0:1]
	s_cbranch_vccnz .LBB9_16
; %bb.3:
	v_cmp_gt_i32_e32 vcc, s12, v0
	v_mov_b32_e32 v3, 0
	v_or_b32_e32 v1, s6, v0
	v_mov_b32_e32 v2, 0
	v_mov_b32_e32 v4, v0
	s_and_saveexec_b64 s[2:3], vcc
	s_cbranch_execz .LBB9_5
; %bb.4:
	v_mov_b32_e32 v2, 0
	v_lshlrev_b64 v[4:5], 2, v[1:2]
	v_mov_b32_e32 v2, s11
	v_add_co_u32_e64 v4, s[0:1], s10, v4
	v_addc_co_u32_e64 v5, s[0:1], v2, v5, s[0:1]
	global_load_dword v2, v[4:5], off
	v_or_b32_e32 v4, 0x100, v0
.LBB9_5:
	s_or_b64 exec, exec, s[2:3]
	v_cmp_gt_i32_e64 s[0:1], s12, v4
	s_and_saveexec_b64 s[2:3], s[0:1]
	s_cbranch_execz .LBB9_7
; %bb.6:
	v_add_u32_e32 v5, s6, v4
	v_mov_b32_e32 v6, 0
	v_lshlrev_b64 v[5:6], 2, v[5:6]
	v_mov_b32_e32 v3, s11
	v_add_co_u32_e64 v5, s[0:1], s10, v5
	v_addc_co_u32_e64 v6, s[0:1], v3, v6, s[0:1]
	global_load_dword v3, v[5:6], off
	v_add_u32_e32 v4, 0x100, v4
.LBB9_7:
	s_or_b64 exec, exec, s[2:3]
	v_cmp_gt_i32_e64 s[0:1], s12, v4
	v_mov_b32_e32 v5, 0
	v_mov_b32_e32 v7, 0
	s_and_saveexec_b64 s[2:3], s[0:1]
	s_cbranch_execz .LBB9_9
; %bb.8:
	v_add_u32_e32 v6, s6, v4
	v_mov_b32_e32 v7, 0
	v_lshlrev_b64 v[6:7], 2, v[6:7]
	v_mov_b32_e32 v8, s11
	v_add_co_u32_e64 v6, s[0:1], s10, v6
	v_addc_co_u32_e64 v7, s[0:1], v8, v7, s[0:1]
	global_load_dword v7, v[6:7], off
	v_add_u32_e32 v4, 0x100, v4
.LBB9_9:
	s_or_b64 exec, exec, s[2:3]
	v_cmp_gt_i32_e64 s[0:1], s12, v4
	s_and_saveexec_b64 s[2:3], s[0:1]
	s_cbranch_execz .LBB9_11
; %bb.10:
	v_add_u32_e32 v4, s6, v4
	v_mov_b32_e32 v5, 0
	v_lshlrev_b64 v[4:5], 2, v[4:5]
	v_mov_b32_e32 v6, s11
	v_add_co_u32_e64 v4, s[0:1], s10, v4
	v_addc_co_u32_e64 v5, s[0:1], v6, v5, s[0:1]
	global_load_dword v5, v[4:5], off
.LBB9_11:
	s_or_b64 exec, exec, s[2:3]
	s_waitcnt vmcnt(0)
	v_cmp_nge_f32_e64 s[2:3], v2, -s13
	v_cmp_nge_f32_e64 s[0:1], s13, v2
	s_or_b64 s[0:1], s[2:3], s[0:1]
	v_cndmask_b32_e64 v2, 0, v2, s[0:1]
	v_cmp_nge_f32_e64 s[2:3], v3, -s13
	v_cmp_nge_f32_e64 s[0:1], s13, v3
	v_or_b32_e32 v8, 0x100, v0
	s_or_b64 s[0:1], s[2:3], s[0:1]
	v_cndmask_b32_e32 v9, 0, v2, vcc
	v_cndmask_b32_e64 v2, 0, v3, s[0:1]
	v_cmp_gt_i32_e64 s[0:1], s12, v8
	v_cndmask_b32_e64 v6, 0, v2, s[0:1]
	v_cmp_nge_f32_e64 s[2:3], v7, -s13
	v_cmp_nge_f32_e64 s[0:1], s13, v7
	v_or_b32_e32 v2, 0x200, v0
	s_or_b64 s[0:1], s[2:3], s[0:1]
	v_cndmask_b32_e64 v3, 0, v7, s[0:1]
	v_cmp_gt_i32_e64 s[0:1], s12, v2
	v_cndmask_b32_e64 v4, 0, v3, s[0:1]
	v_cmp_nge_f32_e64 s[2:3], v5, -s13
	v_cmp_nge_f32_e64 s[0:1], s13, v5
	v_or_b32_e32 v2, 0x300, v0
	s_or_b64 s[0:1], s[2:3], s[0:1]
	v_cndmask_b32_e64 v3, 0, v5, s[0:1]
	v_cmp_gt_i32_e64 s[0:1], s12, v2
	v_cndmask_b32_e64 v3, 0, v3, s[0:1]
	s_and_saveexec_b64 s[0:1], vcc
	s_cbranch_execnz .LBB9_17
; %bb.12:
	s_or_b64 exec, exec, s[0:1]
	v_cmp_gt_i32_e32 vcc, s12, v0
	s_and_saveexec_b64 s[0:1], vcc
	s_cbranch_execnz .LBB9_18
.LBB9_13:
	s_or_b64 exec, exec, s[0:1]
	v_cmp_gt_i32_e32 vcc, s12, v0
	s_and_saveexec_b64 s[0:1], vcc
	s_cbranch_execnz .LBB9_19
.LBB9_14:
	s_or_b64 exec, exec, s[0:1]
	v_cmp_gt_i32_e32 vcc, s12, v0
	s_and_saveexec_b64 s[0:1], vcc
	s_cbranch_execz .LBB9_16
.LBB9_15:
	v_add_u32_e32 v0, s6, v0
	v_mov_b32_e32 v1, 0
	v_lshlrev_b64 v[0:1], 2, v[0:1]
	v_mov_b32_e32 v2, s9
	v_add_co_u32_e32 v0, vcc, s8, v0
	v_addc_co_u32_e32 v1, vcc, v2, v1, vcc
	global_store_dword v[0:1], v3, off
.LBB9_16:
	s_endpgm
.LBB9_17:
	v_mov_b32_e32 v2, 0
	v_lshlrev_b64 v[0:1], 2, v[1:2]
	v_mov_b32_e32 v2, s9
	v_add_co_u32_e32 v0, vcc, s8, v0
	v_addc_co_u32_e32 v1, vcc, v2, v1, vcc
	global_store_dword v[0:1], v9, off
	v_mov_b32_e32 v0, v8
	s_or_b64 exec, exec, s[0:1]
	v_cmp_gt_i32_e32 vcc, s12, v0
	s_and_saveexec_b64 s[0:1], vcc
	s_cbranch_execz .LBB9_13
.LBB9_18:
	v_add_u32_e32 v1, s6, v0
	v_mov_b32_e32 v2, 0
	v_lshlrev_b64 v[1:2], 2, v[1:2]
	v_mov_b32_e32 v5, s9
	v_add_co_u32_e32 v1, vcc, s8, v1
	v_addc_co_u32_e32 v2, vcc, v5, v2, vcc
	v_add_u32_e32 v0, 0x100, v0
	global_store_dword v[1:2], v6, off
	s_or_b64 exec, exec, s[0:1]
	v_cmp_gt_i32_e32 vcc, s12, v0
	s_and_saveexec_b64 s[0:1], vcc
	s_cbranch_execz .LBB9_14
.LBB9_19:
	v_add_u32_e32 v1, s6, v0
	v_mov_b32_e32 v2, 0
	v_lshlrev_b64 v[1:2], 2, v[1:2]
	v_mov_b32_e32 v5, s9
	v_add_co_u32_e32 v1, vcc, s8, v1
	v_addc_co_u32_e32 v2, vcc, v5, v2, vcc
	v_add_u32_e32 v0, 0x100, v0
	global_store_dword v[1:2], v4, off
	s_or_b64 exec, exec, s[0:1]
	v_cmp_gt_i32_e32 vcc, s12, v0
	s_and_saveexec_b64 s[0:1], vcc
	s_cbranch_execnz .LBB9_15
	s_branch .LBB9_16
	.section	.rodata,"a",@progbits
	.p2align	6, 0x0
	.amdhsa_kernel _ZN2at6native29vectorized_elementwise_kernelILi8EZZZNS0_12_GLOBAL__N_117hardshrink_kernelERNS_18TensorIteratorBaseERKN3c106ScalarEENKUlvE_clEvENKUlvE0_clEvEUlfE_St5arrayIPcLm2EEEEviT0_T1_
		.amdhsa_group_segment_fixed_size 0
		.amdhsa_private_segment_fixed_size 0
		.amdhsa_kernarg_size 24
		.amdhsa_user_sgpr_count 6
		.amdhsa_user_sgpr_private_segment_buffer 1
		.amdhsa_user_sgpr_dispatch_ptr 0
		.amdhsa_user_sgpr_queue_ptr 0
		.amdhsa_user_sgpr_kernarg_segment_ptr 1
		.amdhsa_user_sgpr_dispatch_id 0
		.amdhsa_user_sgpr_flat_scratch_init 0
		.amdhsa_user_sgpr_private_segment_size 0
		.amdhsa_uses_dynamic_stack 0
		.amdhsa_system_sgpr_private_segment_wavefront_offset 0
		.amdhsa_system_sgpr_workgroup_id_x 1
		.amdhsa_system_sgpr_workgroup_id_y 0
		.amdhsa_system_sgpr_workgroup_id_z 0
		.amdhsa_system_sgpr_workgroup_info 0
		.amdhsa_system_vgpr_workitem_id 0
		.amdhsa_next_free_vgpr 10
		.amdhsa_next_free_sgpr 24
		.amdhsa_reserve_vcc 1
		.amdhsa_reserve_flat_scratch 0
		.amdhsa_float_round_mode_32 0
		.amdhsa_float_round_mode_16_64 0
		.amdhsa_float_denorm_mode_32 3
		.amdhsa_float_denorm_mode_16_64 3
		.amdhsa_dx10_clamp 1
		.amdhsa_ieee_mode 1
		.amdhsa_fp16_overflow 0
		.amdhsa_exception_fp_ieee_invalid_op 0
		.amdhsa_exception_fp_denorm_src 0
		.amdhsa_exception_fp_ieee_div_zero 0
		.amdhsa_exception_fp_ieee_overflow 0
		.amdhsa_exception_fp_ieee_underflow 0
		.amdhsa_exception_fp_ieee_inexact 0
		.amdhsa_exception_int_div_zero 0
	.end_amdhsa_kernel
	.section	.text._ZN2at6native29vectorized_elementwise_kernelILi8EZZZNS0_12_GLOBAL__N_117hardshrink_kernelERNS_18TensorIteratorBaseERKN3c106ScalarEENKUlvE_clEvENKUlvE0_clEvEUlfE_St5arrayIPcLm2EEEEviT0_T1_,"axG",@progbits,_ZN2at6native29vectorized_elementwise_kernelILi8EZZZNS0_12_GLOBAL__N_117hardshrink_kernelERNS_18TensorIteratorBaseERKN3c106ScalarEENKUlvE_clEvENKUlvE0_clEvEUlfE_St5arrayIPcLm2EEEEviT0_T1_,comdat
.Lfunc_end9:
	.size	_ZN2at6native29vectorized_elementwise_kernelILi8EZZZNS0_12_GLOBAL__N_117hardshrink_kernelERNS_18TensorIteratorBaseERKN3c106ScalarEENKUlvE_clEvENKUlvE0_clEvEUlfE_St5arrayIPcLm2EEEEviT0_T1_, .Lfunc_end9-_ZN2at6native29vectorized_elementwise_kernelILi8EZZZNS0_12_GLOBAL__N_117hardshrink_kernelERNS_18TensorIteratorBaseERKN3c106ScalarEENKUlvE_clEvENKUlvE0_clEvEUlfE_St5arrayIPcLm2EEEEviT0_T1_
                                        ; -- End function
	.set _ZN2at6native29vectorized_elementwise_kernelILi8EZZZNS0_12_GLOBAL__N_117hardshrink_kernelERNS_18TensorIteratorBaseERKN3c106ScalarEENKUlvE_clEvENKUlvE0_clEvEUlfE_St5arrayIPcLm2EEEEviT0_T1_.num_vgpr, 10
	.set _ZN2at6native29vectorized_elementwise_kernelILi8EZZZNS0_12_GLOBAL__N_117hardshrink_kernelERNS_18TensorIteratorBaseERKN3c106ScalarEENKUlvE_clEvENKUlvE0_clEvEUlfE_St5arrayIPcLm2EEEEviT0_T1_.num_agpr, 0
	.set _ZN2at6native29vectorized_elementwise_kernelILi8EZZZNS0_12_GLOBAL__N_117hardshrink_kernelERNS_18TensorIteratorBaseERKN3c106ScalarEENKUlvE_clEvENKUlvE0_clEvEUlfE_St5arrayIPcLm2EEEEviT0_T1_.numbered_sgpr, 24
	.set _ZN2at6native29vectorized_elementwise_kernelILi8EZZZNS0_12_GLOBAL__N_117hardshrink_kernelERNS_18TensorIteratorBaseERKN3c106ScalarEENKUlvE_clEvENKUlvE0_clEvEUlfE_St5arrayIPcLm2EEEEviT0_T1_.num_named_barrier, 0
	.set _ZN2at6native29vectorized_elementwise_kernelILi8EZZZNS0_12_GLOBAL__N_117hardshrink_kernelERNS_18TensorIteratorBaseERKN3c106ScalarEENKUlvE_clEvENKUlvE0_clEvEUlfE_St5arrayIPcLm2EEEEviT0_T1_.private_seg_size, 0
	.set _ZN2at6native29vectorized_elementwise_kernelILi8EZZZNS0_12_GLOBAL__N_117hardshrink_kernelERNS_18TensorIteratorBaseERKN3c106ScalarEENKUlvE_clEvENKUlvE0_clEvEUlfE_St5arrayIPcLm2EEEEviT0_T1_.uses_vcc, 1
	.set _ZN2at6native29vectorized_elementwise_kernelILi8EZZZNS0_12_GLOBAL__N_117hardshrink_kernelERNS_18TensorIteratorBaseERKN3c106ScalarEENKUlvE_clEvENKUlvE0_clEvEUlfE_St5arrayIPcLm2EEEEviT0_T1_.uses_flat_scratch, 0
	.set _ZN2at6native29vectorized_elementwise_kernelILi8EZZZNS0_12_GLOBAL__N_117hardshrink_kernelERNS_18TensorIteratorBaseERKN3c106ScalarEENKUlvE_clEvENKUlvE0_clEvEUlfE_St5arrayIPcLm2EEEEviT0_T1_.has_dyn_sized_stack, 0
	.set _ZN2at6native29vectorized_elementwise_kernelILi8EZZZNS0_12_GLOBAL__N_117hardshrink_kernelERNS_18TensorIteratorBaseERKN3c106ScalarEENKUlvE_clEvENKUlvE0_clEvEUlfE_St5arrayIPcLm2EEEEviT0_T1_.has_recursion, 0
	.set _ZN2at6native29vectorized_elementwise_kernelILi8EZZZNS0_12_GLOBAL__N_117hardshrink_kernelERNS_18TensorIteratorBaseERKN3c106ScalarEENKUlvE_clEvENKUlvE0_clEvEUlfE_St5arrayIPcLm2EEEEviT0_T1_.has_indirect_call, 0
	.section	.AMDGPU.csdata,"",@progbits
; Kernel info:
; codeLenInByte = 952
; TotalNumSgprs: 28
; NumVgprs: 10
; ScratchSize: 0
; MemoryBound: 0
; FloatMode: 240
; IeeeMode: 1
; LDSByteSize: 0 bytes/workgroup (compile time only)
; SGPRBlocks: 3
; VGPRBlocks: 2
; NumSGPRsForWavesPerEU: 28
; NumVGPRsForWavesPerEU: 10
; Occupancy: 10
; WaveLimiterHint : 0
; COMPUTE_PGM_RSRC2:SCRATCH_EN: 0
; COMPUTE_PGM_RSRC2:USER_SGPR: 6
; COMPUTE_PGM_RSRC2:TRAP_HANDLER: 0
; COMPUTE_PGM_RSRC2:TGID_X_EN: 1
; COMPUTE_PGM_RSRC2:TGID_Y_EN: 0
; COMPUTE_PGM_RSRC2:TGID_Z_EN: 0
; COMPUTE_PGM_RSRC2:TIDIG_COMP_CNT: 0
	.section	.text._ZN2at6native29vectorized_elementwise_kernelILi4EZZZNS0_12_GLOBAL__N_117hardshrink_kernelERNS_18TensorIteratorBaseERKN3c106ScalarEENKUlvE_clEvENKUlvE0_clEvEUlfE_St5arrayIPcLm2EEEEviT0_T1_,"axG",@progbits,_ZN2at6native29vectorized_elementwise_kernelILi4EZZZNS0_12_GLOBAL__N_117hardshrink_kernelERNS_18TensorIteratorBaseERKN3c106ScalarEENKUlvE_clEvENKUlvE0_clEvEUlfE_St5arrayIPcLm2EEEEviT0_T1_,comdat
	.globl	_ZN2at6native29vectorized_elementwise_kernelILi4EZZZNS0_12_GLOBAL__N_117hardshrink_kernelERNS_18TensorIteratorBaseERKN3c106ScalarEENKUlvE_clEvENKUlvE0_clEvEUlfE_St5arrayIPcLm2EEEEviT0_T1_ ; -- Begin function _ZN2at6native29vectorized_elementwise_kernelILi4EZZZNS0_12_GLOBAL__N_117hardshrink_kernelERNS_18TensorIteratorBaseERKN3c106ScalarEENKUlvE_clEvENKUlvE0_clEvEUlfE_St5arrayIPcLm2EEEEviT0_T1_
	.p2align	8
	.type	_ZN2at6native29vectorized_elementwise_kernelILi4EZZZNS0_12_GLOBAL__N_117hardshrink_kernelERNS_18TensorIteratorBaseERKN3c106ScalarEENKUlvE_clEvENKUlvE0_clEvEUlfE_St5arrayIPcLm2EEEEviT0_T1_,@function
_ZN2at6native29vectorized_elementwise_kernelILi4EZZZNS0_12_GLOBAL__N_117hardshrink_kernelERNS_18TensorIteratorBaseERKN3c106ScalarEENKUlvE_clEvENKUlvE0_clEvEUlfE_St5arrayIPcLm2EEEEviT0_T1_: ; @_ZN2at6native29vectorized_elementwise_kernelILi4EZZZNS0_12_GLOBAL__N_117hardshrink_kernelERNS_18TensorIteratorBaseERKN3c106ScalarEENKUlvE_clEvENKUlvE0_clEvEUlfE_St5arrayIPcLm2EEEEviT0_T1_
; %bb.0:
	s_load_dwordx2 s[12:13], s[4:5], 0x0
	s_load_dwordx4 s[8:11], s[4:5], 0x8
	s_lshl_b32 s6, s6, 10
	s_mov_b64 s[0:1], -1
	s_waitcnt lgkmcnt(0)
	s_sub_i32 s12, s12, s6
	s_cmpk_gt_i32 s12, 0x3ff
	s_cbranch_scc0 .LBB10_2
; %bb.1:
	s_ashr_i32 s7, s6, 31
	s_lshl_b64 s[14:15], s[6:7], 2
	s_add_u32 s0, s10, s14
	s_addc_u32 s1, s11, s15
	v_lshlrev_b32_e32 v5, 4, v0
	global_load_dwordx4 v[1:4], v5, s[0:1]
	s_waitcnt vmcnt(0)
	v_cmp_nge_f32_e64 s[16:17], v1, -s13
	v_cmp_nge_f32_e32 vcc, s13, v1
	v_cmp_nge_f32_e64 s[18:19], v2, -s13
	v_cmp_nge_f32_e64 s[0:1], s13, v2
	s_or_b64 vcc, s[16:17], vcc
	v_cmp_nge_f32_e64 s[20:21], v3, -s13
	v_cmp_nge_f32_e64 s[2:3], s13, v3
	v_cndmask_b32_e32 v1, 0, v1, vcc
	s_or_b64 vcc, s[18:19], s[0:1]
	v_cmp_nge_f32_e64 s[22:23], v4, -s13
	v_cmp_nge_f32_e64 s[4:5], s13, v4
	v_cndmask_b32_e32 v2, 0, v2, vcc
	s_or_b64 vcc, s[20:21], s[2:3]
	v_cndmask_b32_e32 v3, 0, v3, vcc
	s_or_b64 vcc, s[22:23], s[4:5]
	s_add_u32 s0, s8, s14
	v_cndmask_b32_e32 v4, 0, v4, vcc
	s_addc_u32 s1, s9, s15
	global_store_dwordx4 v5, v[1:4], s[0:1]
	s_mov_b64 s[0:1], 0
.LBB10_2:
	s_andn2_b64 vcc, exec, s[0:1]
	s_cbranch_vccnz .LBB10_16
; %bb.3:
	v_cmp_gt_i32_e32 vcc, s12, v0
	v_mov_b32_e32 v3, 0
	v_or_b32_e32 v1, s6, v0
	v_mov_b32_e32 v2, 0
	v_mov_b32_e32 v4, v0
	s_and_saveexec_b64 s[2:3], vcc
	s_cbranch_execz .LBB10_5
; %bb.4:
	v_mov_b32_e32 v2, 0
	v_lshlrev_b64 v[4:5], 2, v[1:2]
	v_mov_b32_e32 v2, s11
	v_add_co_u32_e64 v4, s[0:1], s10, v4
	v_addc_co_u32_e64 v5, s[0:1], v2, v5, s[0:1]
	global_load_dword v2, v[4:5], off
	v_or_b32_e32 v4, 0x100, v0
.LBB10_5:
	s_or_b64 exec, exec, s[2:3]
	v_cmp_gt_i32_e64 s[0:1], s12, v4
	s_and_saveexec_b64 s[2:3], s[0:1]
	s_cbranch_execz .LBB10_7
; %bb.6:
	v_add_u32_e32 v5, s6, v4
	v_mov_b32_e32 v6, 0
	v_lshlrev_b64 v[5:6], 2, v[5:6]
	v_mov_b32_e32 v3, s11
	v_add_co_u32_e64 v5, s[0:1], s10, v5
	v_addc_co_u32_e64 v6, s[0:1], v3, v6, s[0:1]
	global_load_dword v3, v[5:6], off
	v_add_u32_e32 v4, 0x100, v4
.LBB10_7:
	s_or_b64 exec, exec, s[2:3]
	v_cmp_gt_i32_e64 s[0:1], s12, v4
	v_mov_b32_e32 v5, 0
	v_mov_b32_e32 v7, 0
	s_and_saveexec_b64 s[2:3], s[0:1]
	s_cbranch_execz .LBB10_9
; %bb.8:
	v_add_u32_e32 v6, s6, v4
	v_mov_b32_e32 v7, 0
	v_lshlrev_b64 v[6:7], 2, v[6:7]
	v_mov_b32_e32 v8, s11
	v_add_co_u32_e64 v6, s[0:1], s10, v6
	v_addc_co_u32_e64 v7, s[0:1], v8, v7, s[0:1]
	global_load_dword v7, v[6:7], off
	v_add_u32_e32 v4, 0x100, v4
.LBB10_9:
	s_or_b64 exec, exec, s[2:3]
	v_cmp_gt_i32_e64 s[0:1], s12, v4
	s_and_saveexec_b64 s[2:3], s[0:1]
	s_cbranch_execz .LBB10_11
; %bb.10:
	v_add_u32_e32 v4, s6, v4
	v_mov_b32_e32 v5, 0
	v_lshlrev_b64 v[4:5], 2, v[4:5]
	v_mov_b32_e32 v6, s11
	v_add_co_u32_e64 v4, s[0:1], s10, v4
	v_addc_co_u32_e64 v5, s[0:1], v6, v5, s[0:1]
	global_load_dword v5, v[4:5], off
.LBB10_11:
	s_or_b64 exec, exec, s[2:3]
	s_waitcnt vmcnt(0)
	v_cmp_nge_f32_e64 s[2:3], v2, -s13
	v_cmp_nge_f32_e64 s[0:1], s13, v2
	s_or_b64 s[0:1], s[2:3], s[0:1]
	v_cndmask_b32_e64 v2, 0, v2, s[0:1]
	v_cmp_nge_f32_e64 s[2:3], v3, -s13
	v_cmp_nge_f32_e64 s[0:1], s13, v3
	v_or_b32_e32 v8, 0x100, v0
	s_or_b64 s[0:1], s[2:3], s[0:1]
	v_cndmask_b32_e32 v9, 0, v2, vcc
	v_cndmask_b32_e64 v2, 0, v3, s[0:1]
	v_cmp_gt_i32_e64 s[0:1], s12, v8
	v_cndmask_b32_e64 v6, 0, v2, s[0:1]
	v_cmp_nge_f32_e64 s[2:3], v7, -s13
	v_cmp_nge_f32_e64 s[0:1], s13, v7
	v_or_b32_e32 v2, 0x200, v0
	s_or_b64 s[0:1], s[2:3], s[0:1]
	v_cndmask_b32_e64 v3, 0, v7, s[0:1]
	v_cmp_gt_i32_e64 s[0:1], s12, v2
	v_cndmask_b32_e64 v4, 0, v3, s[0:1]
	v_cmp_nge_f32_e64 s[2:3], v5, -s13
	v_cmp_nge_f32_e64 s[0:1], s13, v5
	v_or_b32_e32 v2, 0x300, v0
	s_or_b64 s[0:1], s[2:3], s[0:1]
	v_cndmask_b32_e64 v3, 0, v5, s[0:1]
	v_cmp_gt_i32_e64 s[0:1], s12, v2
	v_cndmask_b32_e64 v3, 0, v3, s[0:1]
	s_and_saveexec_b64 s[0:1], vcc
	s_cbranch_execnz .LBB10_17
; %bb.12:
	s_or_b64 exec, exec, s[0:1]
	v_cmp_gt_i32_e32 vcc, s12, v0
	s_and_saveexec_b64 s[0:1], vcc
	s_cbranch_execnz .LBB10_18
.LBB10_13:
	s_or_b64 exec, exec, s[0:1]
	v_cmp_gt_i32_e32 vcc, s12, v0
	s_and_saveexec_b64 s[0:1], vcc
	s_cbranch_execnz .LBB10_19
.LBB10_14:
	s_or_b64 exec, exec, s[0:1]
	v_cmp_gt_i32_e32 vcc, s12, v0
	s_and_saveexec_b64 s[0:1], vcc
	s_cbranch_execz .LBB10_16
.LBB10_15:
	v_add_u32_e32 v0, s6, v0
	v_mov_b32_e32 v1, 0
	v_lshlrev_b64 v[0:1], 2, v[0:1]
	v_mov_b32_e32 v2, s9
	v_add_co_u32_e32 v0, vcc, s8, v0
	v_addc_co_u32_e32 v1, vcc, v2, v1, vcc
	global_store_dword v[0:1], v3, off
.LBB10_16:
	s_endpgm
.LBB10_17:
	v_mov_b32_e32 v2, 0
	v_lshlrev_b64 v[0:1], 2, v[1:2]
	v_mov_b32_e32 v2, s9
	v_add_co_u32_e32 v0, vcc, s8, v0
	v_addc_co_u32_e32 v1, vcc, v2, v1, vcc
	global_store_dword v[0:1], v9, off
	v_mov_b32_e32 v0, v8
	s_or_b64 exec, exec, s[0:1]
	v_cmp_gt_i32_e32 vcc, s12, v0
	s_and_saveexec_b64 s[0:1], vcc
	s_cbranch_execz .LBB10_13
.LBB10_18:
	v_add_u32_e32 v1, s6, v0
	v_mov_b32_e32 v2, 0
	v_lshlrev_b64 v[1:2], 2, v[1:2]
	v_mov_b32_e32 v5, s9
	v_add_co_u32_e32 v1, vcc, s8, v1
	v_addc_co_u32_e32 v2, vcc, v5, v2, vcc
	v_add_u32_e32 v0, 0x100, v0
	global_store_dword v[1:2], v6, off
	s_or_b64 exec, exec, s[0:1]
	v_cmp_gt_i32_e32 vcc, s12, v0
	s_and_saveexec_b64 s[0:1], vcc
	s_cbranch_execz .LBB10_14
.LBB10_19:
	v_add_u32_e32 v1, s6, v0
	v_mov_b32_e32 v2, 0
	v_lshlrev_b64 v[1:2], 2, v[1:2]
	v_mov_b32_e32 v5, s9
	v_add_co_u32_e32 v1, vcc, s8, v1
	v_addc_co_u32_e32 v2, vcc, v5, v2, vcc
	v_add_u32_e32 v0, 0x100, v0
	global_store_dword v[1:2], v4, off
	s_or_b64 exec, exec, s[0:1]
	v_cmp_gt_i32_e32 vcc, s12, v0
	s_and_saveexec_b64 s[0:1], vcc
	s_cbranch_execnz .LBB10_15
	s_branch .LBB10_16
	.section	.rodata,"a",@progbits
	.p2align	6, 0x0
	.amdhsa_kernel _ZN2at6native29vectorized_elementwise_kernelILi4EZZZNS0_12_GLOBAL__N_117hardshrink_kernelERNS_18TensorIteratorBaseERKN3c106ScalarEENKUlvE_clEvENKUlvE0_clEvEUlfE_St5arrayIPcLm2EEEEviT0_T1_
		.amdhsa_group_segment_fixed_size 0
		.amdhsa_private_segment_fixed_size 0
		.amdhsa_kernarg_size 24
		.amdhsa_user_sgpr_count 6
		.amdhsa_user_sgpr_private_segment_buffer 1
		.amdhsa_user_sgpr_dispatch_ptr 0
		.amdhsa_user_sgpr_queue_ptr 0
		.amdhsa_user_sgpr_kernarg_segment_ptr 1
		.amdhsa_user_sgpr_dispatch_id 0
		.amdhsa_user_sgpr_flat_scratch_init 0
		.amdhsa_user_sgpr_private_segment_size 0
		.amdhsa_uses_dynamic_stack 0
		.amdhsa_system_sgpr_private_segment_wavefront_offset 0
		.amdhsa_system_sgpr_workgroup_id_x 1
		.amdhsa_system_sgpr_workgroup_id_y 0
		.amdhsa_system_sgpr_workgroup_id_z 0
		.amdhsa_system_sgpr_workgroup_info 0
		.amdhsa_system_vgpr_workitem_id 0
		.amdhsa_next_free_vgpr 10
		.amdhsa_next_free_sgpr 24
		.amdhsa_reserve_vcc 1
		.amdhsa_reserve_flat_scratch 0
		.amdhsa_float_round_mode_32 0
		.amdhsa_float_round_mode_16_64 0
		.amdhsa_float_denorm_mode_32 3
		.amdhsa_float_denorm_mode_16_64 3
		.amdhsa_dx10_clamp 1
		.amdhsa_ieee_mode 1
		.amdhsa_fp16_overflow 0
		.amdhsa_exception_fp_ieee_invalid_op 0
		.amdhsa_exception_fp_denorm_src 0
		.amdhsa_exception_fp_ieee_div_zero 0
		.amdhsa_exception_fp_ieee_overflow 0
		.amdhsa_exception_fp_ieee_underflow 0
		.amdhsa_exception_fp_ieee_inexact 0
		.amdhsa_exception_int_div_zero 0
	.end_amdhsa_kernel
	.section	.text._ZN2at6native29vectorized_elementwise_kernelILi4EZZZNS0_12_GLOBAL__N_117hardshrink_kernelERNS_18TensorIteratorBaseERKN3c106ScalarEENKUlvE_clEvENKUlvE0_clEvEUlfE_St5arrayIPcLm2EEEEviT0_T1_,"axG",@progbits,_ZN2at6native29vectorized_elementwise_kernelILi4EZZZNS0_12_GLOBAL__N_117hardshrink_kernelERNS_18TensorIteratorBaseERKN3c106ScalarEENKUlvE_clEvENKUlvE0_clEvEUlfE_St5arrayIPcLm2EEEEviT0_T1_,comdat
.Lfunc_end10:
	.size	_ZN2at6native29vectorized_elementwise_kernelILi4EZZZNS0_12_GLOBAL__N_117hardshrink_kernelERNS_18TensorIteratorBaseERKN3c106ScalarEENKUlvE_clEvENKUlvE0_clEvEUlfE_St5arrayIPcLm2EEEEviT0_T1_, .Lfunc_end10-_ZN2at6native29vectorized_elementwise_kernelILi4EZZZNS0_12_GLOBAL__N_117hardshrink_kernelERNS_18TensorIteratorBaseERKN3c106ScalarEENKUlvE_clEvENKUlvE0_clEvEUlfE_St5arrayIPcLm2EEEEviT0_T1_
                                        ; -- End function
	.set _ZN2at6native29vectorized_elementwise_kernelILi4EZZZNS0_12_GLOBAL__N_117hardshrink_kernelERNS_18TensorIteratorBaseERKN3c106ScalarEENKUlvE_clEvENKUlvE0_clEvEUlfE_St5arrayIPcLm2EEEEviT0_T1_.num_vgpr, 10
	.set _ZN2at6native29vectorized_elementwise_kernelILi4EZZZNS0_12_GLOBAL__N_117hardshrink_kernelERNS_18TensorIteratorBaseERKN3c106ScalarEENKUlvE_clEvENKUlvE0_clEvEUlfE_St5arrayIPcLm2EEEEviT0_T1_.num_agpr, 0
	.set _ZN2at6native29vectorized_elementwise_kernelILi4EZZZNS0_12_GLOBAL__N_117hardshrink_kernelERNS_18TensorIteratorBaseERKN3c106ScalarEENKUlvE_clEvENKUlvE0_clEvEUlfE_St5arrayIPcLm2EEEEviT0_T1_.numbered_sgpr, 24
	.set _ZN2at6native29vectorized_elementwise_kernelILi4EZZZNS0_12_GLOBAL__N_117hardshrink_kernelERNS_18TensorIteratorBaseERKN3c106ScalarEENKUlvE_clEvENKUlvE0_clEvEUlfE_St5arrayIPcLm2EEEEviT0_T1_.num_named_barrier, 0
	.set _ZN2at6native29vectorized_elementwise_kernelILi4EZZZNS0_12_GLOBAL__N_117hardshrink_kernelERNS_18TensorIteratorBaseERKN3c106ScalarEENKUlvE_clEvENKUlvE0_clEvEUlfE_St5arrayIPcLm2EEEEviT0_T1_.private_seg_size, 0
	.set _ZN2at6native29vectorized_elementwise_kernelILi4EZZZNS0_12_GLOBAL__N_117hardshrink_kernelERNS_18TensorIteratorBaseERKN3c106ScalarEENKUlvE_clEvENKUlvE0_clEvEUlfE_St5arrayIPcLm2EEEEviT0_T1_.uses_vcc, 1
	.set _ZN2at6native29vectorized_elementwise_kernelILi4EZZZNS0_12_GLOBAL__N_117hardshrink_kernelERNS_18TensorIteratorBaseERKN3c106ScalarEENKUlvE_clEvENKUlvE0_clEvEUlfE_St5arrayIPcLm2EEEEviT0_T1_.uses_flat_scratch, 0
	.set _ZN2at6native29vectorized_elementwise_kernelILi4EZZZNS0_12_GLOBAL__N_117hardshrink_kernelERNS_18TensorIteratorBaseERKN3c106ScalarEENKUlvE_clEvENKUlvE0_clEvEUlfE_St5arrayIPcLm2EEEEviT0_T1_.has_dyn_sized_stack, 0
	.set _ZN2at6native29vectorized_elementwise_kernelILi4EZZZNS0_12_GLOBAL__N_117hardshrink_kernelERNS_18TensorIteratorBaseERKN3c106ScalarEENKUlvE_clEvENKUlvE0_clEvEUlfE_St5arrayIPcLm2EEEEviT0_T1_.has_recursion, 0
	.set _ZN2at6native29vectorized_elementwise_kernelILi4EZZZNS0_12_GLOBAL__N_117hardshrink_kernelERNS_18TensorIteratorBaseERKN3c106ScalarEENKUlvE_clEvENKUlvE0_clEvEUlfE_St5arrayIPcLm2EEEEviT0_T1_.has_indirect_call, 0
	.section	.AMDGPU.csdata,"",@progbits
; Kernel info:
; codeLenInByte = 952
; TotalNumSgprs: 28
; NumVgprs: 10
; ScratchSize: 0
; MemoryBound: 0
; FloatMode: 240
; IeeeMode: 1
; LDSByteSize: 0 bytes/workgroup (compile time only)
; SGPRBlocks: 3
; VGPRBlocks: 2
; NumSGPRsForWavesPerEU: 28
; NumVGPRsForWavesPerEU: 10
; Occupancy: 10
; WaveLimiterHint : 0
; COMPUTE_PGM_RSRC2:SCRATCH_EN: 0
; COMPUTE_PGM_RSRC2:USER_SGPR: 6
; COMPUTE_PGM_RSRC2:TRAP_HANDLER: 0
; COMPUTE_PGM_RSRC2:TGID_X_EN: 1
; COMPUTE_PGM_RSRC2:TGID_Y_EN: 0
; COMPUTE_PGM_RSRC2:TGID_Z_EN: 0
; COMPUTE_PGM_RSRC2:TIDIG_COMP_CNT: 0
	.section	.text._ZN2at6native29vectorized_elementwise_kernelILi2EZZZNS0_12_GLOBAL__N_117hardshrink_kernelERNS_18TensorIteratorBaseERKN3c106ScalarEENKUlvE_clEvENKUlvE0_clEvEUlfE_St5arrayIPcLm2EEEEviT0_T1_,"axG",@progbits,_ZN2at6native29vectorized_elementwise_kernelILi2EZZZNS0_12_GLOBAL__N_117hardshrink_kernelERNS_18TensorIteratorBaseERKN3c106ScalarEENKUlvE_clEvENKUlvE0_clEvEUlfE_St5arrayIPcLm2EEEEviT0_T1_,comdat
	.globl	_ZN2at6native29vectorized_elementwise_kernelILi2EZZZNS0_12_GLOBAL__N_117hardshrink_kernelERNS_18TensorIteratorBaseERKN3c106ScalarEENKUlvE_clEvENKUlvE0_clEvEUlfE_St5arrayIPcLm2EEEEviT0_T1_ ; -- Begin function _ZN2at6native29vectorized_elementwise_kernelILi2EZZZNS0_12_GLOBAL__N_117hardshrink_kernelERNS_18TensorIteratorBaseERKN3c106ScalarEENKUlvE_clEvENKUlvE0_clEvEUlfE_St5arrayIPcLm2EEEEviT0_T1_
	.p2align	8
	.type	_ZN2at6native29vectorized_elementwise_kernelILi2EZZZNS0_12_GLOBAL__N_117hardshrink_kernelERNS_18TensorIteratorBaseERKN3c106ScalarEENKUlvE_clEvENKUlvE0_clEvEUlfE_St5arrayIPcLm2EEEEviT0_T1_,@function
_ZN2at6native29vectorized_elementwise_kernelILi2EZZZNS0_12_GLOBAL__N_117hardshrink_kernelERNS_18TensorIteratorBaseERKN3c106ScalarEENKUlvE_clEvENKUlvE0_clEvEUlfE_St5arrayIPcLm2EEEEviT0_T1_: ; @_ZN2at6native29vectorized_elementwise_kernelILi2EZZZNS0_12_GLOBAL__N_117hardshrink_kernelERNS_18TensorIteratorBaseERKN3c106ScalarEENKUlvE_clEvENKUlvE0_clEvEUlfE_St5arrayIPcLm2EEEEviT0_T1_
; %bb.0:
	s_load_dwordx2 s[12:13], s[4:5], 0x0
	s_load_dwordx4 s[8:11], s[4:5], 0x8
	s_lshl_b32 s6, s6, 10
	s_mov_b64 s[0:1], -1
	s_waitcnt lgkmcnt(0)
	s_sub_i32 s12, s12, s6
	s_cmpk_gt_i32 s12, 0x3ff
	s_cbranch_scc0 .LBB11_2
; %bb.1:
	s_ashr_i32 s7, s6, 31
	s_lshl_b64 s[14:15], s[6:7], 2
	s_add_u32 s0, s10, s14
	s_addc_u32 s1, s11, s15
	v_lshlrev_b32_e32 v5, 3, v0
	global_load_dwordx2 v[1:2], v5, s[0:1]
	global_load_dwordx2 v[3:4], v5, s[0:1] offset:2048
	s_waitcnt vmcnt(1)
	v_cmp_nge_f32_e64 s[16:17], v1, -s13
	v_cmp_nge_f32_e32 vcc, s13, v1
	v_cmp_nge_f32_e64 s[18:19], v2, -s13
	v_cmp_nge_f32_e64 s[0:1], s13, v2
	s_or_b64 vcc, s[16:17], vcc
	s_waitcnt vmcnt(0)
	v_cmp_nge_f32_e64 s[20:21], v3, -s13
	v_cmp_nge_f32_e64 s[2:3], s13, v3
	v_cndmask_b32_e32 v1, 0, v1, vcc
	s_or_b64 vcc, s[18:19], s[0:1]
	v_cmp_nge_f32_e64 s[22:23], v4, -s13
	v_cmp_nge_f32_e64 s[4:5], s13, v4
	v_cndmask_b32_e32 v2, 0, v2, vcc
	s_or_b64 vcc, s[20:21], s[2:3]
	v_cndmask_b32_e32 v3, 0, v3, vcc
	s_or_b64 vcc, s[22:23], s[4:5]
	s_add_u32 s0, s8, s14
	s_addc_u32 s1, s9, s15
	v_cndmask_b32_e32 v4, 0, v4, vcc
	global_store_dwordx2 v5, v[1:2], s[0:1]
	global_store_dwordx2 v5, v[3:4], s[0:1] offset:2048
	s_mov_b64 s[0:1], 0
.LBB11_2:
	s_andn2_b64 vcc, exec, s[0:1]
	s_cbranch_vccnz .LBB11_16
; %bb.3:
	v_cmp_gt_i32_e32 vcc, s12, v0
	v_mov_b32_e32 v3, 0
	v_or_b32_e32 v1, s6, v0
	v_mov_b32_e32 v2, 0
	v_mov_b32_e32 v4, v0
	s_and_saveexec_b64 s[2:3], vcc
	s_cbranch_execz .LBB11_5
; %bb.4:
	v_mov_b32_e32 v2, 0
	v_lshlrev_b64 v[4:5], 2, v[1:2]
	v_mov_b32_e32 v2, s11
	v_add_co_u32_e64 v4, s[0:1], s10, v4
	v_addc_co_u32_e64 v5, s[0:1], v2, v5, s[0:1]
	global_load_dword v2, v[4:5], off
	v_or_b32_e32 v4, 0x100, v0
.LBB11_5:
	s_or_b64 exec, exec, s[2:3]
	v_cmp_gt_i32_e64 s[0:1], s12, v4
	s_and_saveexec_b64 s[2:3], s[0:1]
	s_cbranch_execz .LBB11_7
; %bb.6:
	v_add_u32_e32 v5, s6, v4
	v_mov_b32_e32 v6, 0
	v_lshlrev_b64 v[5:6], 2, v[5:6]
	v_mov_b32_e32 v3, s11
	v_add_co_u32_e64 v5, s[0:1], s10, v5
	v_addc_co_u32_e64 v6, s[0:1], v3, v6, s[0:1]
	global_load_dword v3, v[5:6], off
	v_add_u32_e32 v4, 0x100, v4
.LBB11_7:
	s_or_b64 exec, exec, s[2:3]
	v_cmp_gt_i32_e64 s[0:1], s12, v4
	v_mov_b32_e32 v5, 0
	v_mov_b32_e32 v7, 0
	s_and_saveexec_b64 s[2:3], s[0:1]
	s_cbranch_execz .LBB11_9
; %bb.8:
	v_add_u32_e32 v6, s6, v4
	v_mov_b32_e32 v7, 0
	v_lshlrev_b64 v[6:7], 2, v[6:7]
	v_mov_b32_e32 v8, s11
	v_add_co_u32_e64 v6, s[0:1], s10, v6
	v_addc_co_u32_e64 v7, s[0:1], v8, v7, s[0:1]
	global_load_dword v7, v[6:7], off
	v_add_u32_e32 v4, 0x100, v4
.LBB11_9:
	s_or_b64 exec, exec, s[2:3]
	v_cmp_gt_i32_e64 s[0:1], s12, v4
	s_and_saveexec_b64 s[2:3], s[0:1]
	s_cbranch_execz .LBB11_11
; %bb.10:
	v_add_u32_e32 v4, s6, v4
	v_mov_b32_e32 v5, 0
	v_lshlrev_b64 v[4:5], 2, v[4:5]
	v_mov_b32_e32 v6, s11
	v_add_co_u32_e64 v4, s[0:1], s10, v4
	v_addc_co_u32_e64 v5, s[0:1], v6, v5, s[0:1]
	global_load_dword v5, v[4:5], off
.LBB11_11:
	s_or_b64 exec, exec, s[2:3]
	s_waitcnt vmcnt(0)
	v_cmp_nge_f32_e64 s[2:3], v2, -s13
	v_cmp_nge_f32_e64 s[0:1], s13, v2
	s_or_b64 s[0:1], s[2:3], s[0:1]
	v_cndmask_b32_e64 v2, 0, v2, s[0:1]
	v_cmp_nge_f32_e64 s[2:3], v3, -s13
	v_cmp_nge_f32_e64 s[0:1], s13, v3
	v_or_b32_e32 v8, 0x100, v0
	s_or_b64 s[0:1], s[2:3], s[0:1]
	v_cndmask_b32_e32 v9, 0, v2, vcc
	v_cndmask_b32_e64 v2, 0, v3, s[0:1]
	v_cmp_gt_i32_e64 s[0:1], s12, v8
	v_cndmask_b32_e64 v6, 0, v2, s[0:1]
	v_cmp_nge_f32_e64 s[2:3], v7, -s13
	v_cmp_nge_f32_e64 s[0:1], s13, v7
	v_or_b32_e32 v2, 0x200, v0
	s_or_b64 s[0:1], s[2:3], s[0:1]
	v_cndmask_b32_e64 v3, 0, v7, s[0:1]
	v_cmp_gt_i32_e64 s[0:1], s12, v2
	v_cndmask_b32_e64 v4, 0, v3, s[0:1]
	v_cmp_nge_f32_e64 s[2:3], v5, -s13
	v_cmp_nge_f32_e64 s[0:1], s13, v5
	v_or_b32_e32 v2, 0x300, v0
	s_or_b64 s[0:1], s[2:3], s[0:1]
	v_cndmask_b32_e64 v3, 0, v5, s[0:1]
	v_cmp_gt_i32_e64 s[0:1], s12, v2
	v_cndmask_b32_e64 v3, 0, v3, s[0:1]
	s_and_saveexec_b64 s[0:1], vcc
	s_cbranch_execnz .LBB11_17
; %bb.12:
	s_or_b64 exec, exec, s[0:1]
	v_cmp_gt_i32_e32 vcc, s12, v0
	s_and_saveexec_b64 s[0:1], vcc
	s_cbranch_execnz .LBB11_18
.LBB11_13:
	s_or_b64 exec, exec, s[0:1]
	v_cmp_gt_i32_e32 vcc, s12, v0
	s_and_saveexec_b64 s[0:1], vcc
	s_cbranch_execnz .LBB11_19
.LBB11_14:
	s_or_b64 exec, exec, s[0:1]
	v_cmp_gt_i32_e32 vcc, s12, v0
	s_and_saveexec_b64 s[0:1], vcc
	s_cbranch_execz .LBB11_16
.LBB11_15:
	v_add_u32_e32 v0, s6, v0
	v_mov_b32_e32 v1, 0
	v_lshlrev_b64 v[0:1], 2, v[0:1]
	v_mov_b32_e32 v2, s9
	v_add_co_u32_e32 v0, vcc, s8, v0
	v_addc_co_u32_e32 v1, vcc, v2, v1, vcc
	global_store_dword v[0:1], v3, off
.LBB11_16:
	s_endpgm
.LBB11_17:
	v_mov_b32_e32 v2, 0
	v_lshlrev_b64 v[0:1], 2, v[1:2]
	v_mov_b32_e32 v2, s9
	v_add_co_u32_e32 v0, vcc, s8, v0
	v_addc_co_u32_e32 v1, vcc, v2, v1, vcc
	global_store_dword v[0:1], v9, off
	v_mov_b32_e32 v0, v8
	s_or_b64 exec, exec, s[0:1]
	v_cmp_gt_i32_e32 vcc, s12, v0
	s_and_saveexec_b64 s[0:1], vcc
	s_cbranch_execz .LBB11_13
.LBB11_18:
	v_add_u32_e32 v1, s6, v0
	v_mov_b32_e32 v2, 0
	v_lshlrev_b64 v[1:2], 2, v[1:2]
	v_mov_b32_e32 v5, s9
	v_add_co_u32_e32 v1, vcc, s8, v1
	v_addc_co_u32_e32 v2, vcc, v5, v2, vcc
	v_add_u32_e32 v0, 0x100, v0
	global_store_dword v[1:2], v6, off
	s_or_b64 exec, exec, s[0:1]
	v_cmp_gt_i32_e32 vcc, s12, v0
	s_and_saveexec_b64 s[0:1], vcc
	s_cbranch_execz .LBB11_14
.LBB11_19:
	v_add_u32_e32 v1, s6, v0
	v_mov_b32_e32 v2, 0
	v_lshlrev_b64 v[1:2], 2, v[1:2]
	v_mov_b32_e32 v5, s9
	v_add_co_u32_e32 v1, vcc, s8, v1
	v_addc_co_u32_e32 v2, vcc, v5, v2, vcc
	v_add_u32_e32 v0, 0x100, v0
	global_store_dword v[1:2], v4, off
	s_or_b64 exec, exec, s[0:1]
	v_cmp_gt_i32_e32 vcc, s12, v0
	s_and_saveexec_b64 s[0:1], vcc
	s_cbranch_execnz .LBB11_15
	s_branch .LBB11_16
	.section	.rodata,"a",@progbits
	.p2align	6, 0x0
	.amdhsa_kernel _ZN2at6native29vectorized_elementwise_kernelILi2EZZZNS0_12_GLOBAL__N_117hardshrink_kernelERNS_18TensorIteratorBaseERKN3c106ScalarEENKUlvE_clEvENKUlvE0_clEvEUlfE_St5arrayIPcLm2EEEEviT0_T1_
		.amdhsa_group_segment_fixed_size 0
		.amdhsa_private_segment_fixed_size 0
		.amdhsa_kernarg_size 24
		.amdhsa_user_sgpr_count 6
		.amdhsa_user_sgpr_private_segment_buffer 1
		.amdhsa_user_sgpr_dispatch_ptr 0
		.amdhsa_user_sgpr_queue_ptr 0
		.amdhsa_user_sgpr_kernarg_segment_ptr 1
		.amdhsa_user_sgpr_dispatch_id 0
		.amdhsa_user_sgpr_flat_scratch_init 0
		.amdhsa_user_sgpr_private_segment_size 0
		.amdhsa_uses_dynamic_stack 0
		.amdhsa_system_sgpr_private_segment_wavefront_offset 0
		.amdhsa_system_sgpr_workgroup_id_x 1
		.amdhsa_system_sgpr_workgroup_id_y 0
		.amdhsa_system_sgpr_workgroup_id_z 0
		.amdhsa_system_sgpr_workgroup_info 0
		.amdhsa_system_vgpr_workitem_id 0
		.amdhsa_next_free_vgpr 10
		.amdhsa_next_free_sgpr 24
		.amdhsa_reserve_vcc 1
		.amdhsa_reserve_flat_scratch 0
		.amdhsa_float_round_mode_32 0
		.amdhsa_float_round_mode_16_64 0
		.amdhsa_float_denorm_mode_32 3
		.amdhsa_float_denorm_mode_16_64 3
		.amdhsa_dx10_clamp 1
		.amdhsa_ieee_mode 1
		.amdhsa_fp16_overflow 0
		.amdhsa_exception_fp_ieee_invalid_op 0
		.amdhsa_exception_fp_denorm_src 0
		.amdhsa_exception_fp_ieee_div_zero 0
		.amdhsa_exception_fp_ieee_overflow 0
		.amdhsa_exception_fp_ieee_underflow 0
		.amdhsa_exception_fp_ieee_inexact 0
		.amdhsa_exception_int_div_zero 0
	.end_amdhsa_kernel
	.section	.text._ZN2at6native29vectorized_elementwise_kernelILi2EZZZNS0_12_GLOBAL__N_117hardshrink_kernelERNS_18TensorIteratorBaseERKN3c106ScalarEENKUlvE_clEvENKUlvE0_clEvEUlfE_St5arrayIPcLm2EEEEviT0_T1_,"axG",@progbits,_ZN2at6native29vectorized_elementwise_kernelILi2EZZZNS0_12_GLOBAL__N_117hardshrink_kernelERNS_18TensorIteratorBaseERKN3c106ScalarEENKUlvE_clEvENKUlvE0_clEvEUlfE_St5arrayIPcLm2EEEEviT0_T1_,comdat
.Lfunc_end11:
	.size	_ZN2at6native29vectorized_elementwise_kernelILi2EZZZNS0_12_GLOBAL__N_117hardshrink_kernelERNS_18TensorIteratorBaseERKN3c106ScalarEENKUlvE_clEvENKUlvE0_clEvEUlfE_St5arrayIPcLm2EEEEviT0_T1_, .Lfunc_end11-_ZN2at6native29vectorized_elementwise_kernelILi2EZZZNS0_12_GLOBAL__N_117hardshrink_kernelERNS_18TensorIteratorBaseERKN3c106ScalarEENKUlvE_clEvENKUlvE0_clEvEUlfE_St5arrayIPcLm2EEEEviT0_T1_
                                        ; -- End function
	.set _ZN2at6native29vectorized_elementwise_kernelILi2EZZZNS0_12_GLOBAL__N_117hardshrink_kernelERNS_18TensorIteratorBaseERKN3c106ScalarEENKUlvE_clEvENKUlvE0_clEvEUlfE_St5arrayIPcLm2EEEEviT0_T1_.num_vgpr, 10
	.set _ZN2at6native29vectorized_elementwise_kernelILi2EZZZNS0_12_GLOBAL__N_117hardshrink_kernelERNS_18TensorIteratorBaseERKN3c106ScalarEENKUlvE_clEvENKUlvE0_clEvEUlfE_St5arrayIPcLm2EEEEviT0_T1_.num_agpr, 0
	.set _ZN2at6native29vectorized_elementwise_kernelILi2EZZZNS0_12_GLOBAL__N_117hardshrink_kernelERNS_18TensorIteratorBaseERKN3c106ScalarEENKUlvE_clEvENKUlvE0_clEvEUlfE_St5arrayIPcLm2EEEEviT0_T1_.numbered_sgpr, 24
	.set _ZN2at6native29vectorized_elementwise_kernelILi2EZZZNS0_12_GLOBAL__N_117hardshrink_kernelERNS_18TensorIteratorBaseERKN3c106ScalarEENKUlvE_clEvENKUlvE0_clEvEUlfE_St5arrayIPcLm2EEEEviT0_T1_.num_named_barrier, 0
	.set _ZN2at6native29vectorized_elementwise_kernelILi2EZZZNS0_12_GLOBAL__N_117hardshrink_kernelERNS_18TensorIteratorBaseERKN3c106ScalarEENKUlvE_clEvENKUlvE0_clEvEUlfE_St5arrayIPcLm2EEEEviT0_T1_.private_seg_size, 0
	.set _ZN2at6native29vectorized_elementwise_kernelILi2EZZZNS0_12_GLOBAL__N_117hardshrink_kernelERNS_18TensorIteratorBaseERKN3c106ScalarEENKUlvE_clEvENKUlvE0_clEvEUlfE_St5arrayIPcLm2EEEEviT0_T1_.uses_vcc, 1
	.set _ZN2at6native29vectorized_elementwise_kernelILi2EZZZNS0_12_GLOBAL__N_117hardshrink_kernelERNS_18TensorIteratorBaseERKN3c106ScalarEENKUlvE_clEvENKUlvE0_clEvEUlfE_St5arrayIPcLm2EEEEviT0_T1_.uses_flat_scratch, 0
	.set _ZN2at6native29vectorized_elementwise_kernelILi2EZZZNS0_12_GLOBAL__N_117hardshrink_kernelERNS_18TensorIteratorBaseERKN3c106ScalarEENKUlvE_clEvENKUlvE0_clEvEUlfE_St5arrayIPcLm2EEEEviT0_T1_.has_dyn_sized_stack, 0
	.set _ZN2at6native29vectorized_elementwise_kernelILi2EZZZNS0_12_GLOBAL__N_117hardshrink_kernelERNS_18TensorIteratorBaseERKN3c106ScalarEENKUlvE_clEvENKUlvE0_clEvEUlfE_St5arrayIPcLm2EEEEviT0_T1_.has_recursion, 0
	.set _ZN2at6native29vectorized_elementwise_kernelILi2EZZZNS0_12_GLOBAL__N_117hardshrink_kernelERNS_18TensorIteratorBaseERKN3c106ScalarEENKUlvE_clEvENKUlvE0_clEvEUlfE_St5arrayIPcLm2EEEEviT0_T1_.has_indirect_call, 0
	.section	.AMDGPU.csdata,"",@progbits
; Kernel info:
; codeLenInByte = 972
; TotalNumSgprs: 28
; NumVgprs: 10
; ScratchSize: 0
; MemoryBound: 0
; FloatMode: 240
; IeeeMode: 1
; LDSByteSize: 0 bytes/workgroup (compile time only)
; SGPRBlocks: 3
; VGPRBlocks: 2
; NumSGPRsForWavesPerEU: 28
; NumVGPRsForWavesPerEU: 10
; Occupancy: 10
; WaveLimiterHint : 1
; COMPUTE_PGM_RSRC2:SCRATCH_EN: 0
; COMPUTE_PGM_RSRC2:USER_SGPR: 6
; COMPUTE_PGM_RSRC2:TRAP_HANDLER: 0
; COMPUTE_PGM_RSRC2:TGID_X_EN: 1
; COMPUTE_PGM_RSRC2:TGID_Y_EN: 0
; COMPUTE_PGM_RSRC2:TGID_Z_EN: 0
; COMPUTE_PGM_RSRC2:TIDIG_COMP_CNT: 0
	.section	.text._ZN2at6native27unrolled_elementwise_kernelIZZZNS0_12_GLOBAL__N_117hardshrink_kernelERNS_18TensorIteratorBaseERKN3c106ScalarEENKUlvE_clEvENKUlvE0_clEvEUlfE_St5arrayIPcLm2EELi4E23TrivialOffsetCalculatorILi1EjESG_NS0_6memory15LoadWithoutCastENSH_16StoreWithoutCastEEEviT_T0_T2_T3_T4_T5_,"axG",@progbits,_ZN2at6native27unrolled_elementwise_kernelIZZZNS0_12_GLOBAL__N_117hardshrink_kernelERNS_18TensorIteratorBaseERKN3c106ScalarEENKUlvE_clEvENKUlvE0_clEvEUlfE_St5arrayIPcLm2EELi4E23TrivialOffsetCalculatorILi1EjESG_NS0_6memory15LoadWithoutCastENSH_16StoreWithoutCastEEEviT_T0_T2_T3_T4_T5_,comdat
	.globl	_ZN2at6native27unrolled_elementwise_kernelIZZZNS0_12_GLOBAL__N_117hardshrink_kernelERNS_18TensorIteratorBaseERKN3c106ScalarEENKUlvE_clEvENKUlvE0_clEvEUlfE_St5arrayIPcLm2EELi4E23TrivialOffsetCalculatorILi1EjESG_NS0_6memory15LoadWithoutCastENSH_16StoreWithoutCastEEEviT_T0_T2_T3_T4_T5_ ; -- Begin function _ZN2at6native27unrolled_elementwise_kernelIZZZNS0_12_GLOBAL__N_117hardshrink_kernelERNS_18TensorIteratorBaseERKN3c106ScalarEENKUlvE_clEvENKUlvE0_clEvEUlfE_St5arrayIPcLm2EELi4E23TrivialOffsetCalculatorILi1EjESG_NS0_6memory15LoadWithoutCastENSH_16StoreWithoutCastEEEviT_T0_T2_T3_T4_T5_
	.p2align	8
	.type	_ZN2at6native27unrolled_elementwise_kernelIZZZNS0_12_GLOBAL__N_117hardshrink_kernelERNS_18TensorIteratorBaseERKN3c106ScalarEENKUlvE_clEvENKUlvE0_clEvEUlfE_St5arrayIPcLm2EELi4E23TrivialOffsetCalculatorILi1EjESG_NS0_6memory15LoadWithoutCastENSH_16StoreWithoutCastEEEviT_T0_T2_T3_T4_T5_,@function
_ZN2at6native27unrolled_elementwise_kernelIZZZNS0_12_GLOBAL__N_117hardshrink_kernelERNS_18TensorIteratorBaseERKN3c106ScalarEENKUlvE_clEvENKUlvE0_clEvEUlfE_St5arrayIPcLm2EELi4E23TrivialOffsetCalculatorILi1EjESG_NS0_6memory15LoadWithoutCastENSH_16StoreWithoutCastEEEviT_T0_T2_T3_T4_T5_: ; @_ZN2at6native27unrolled_elementwise_kernelIZZZNS0_12_GLOBAL__N_117hardshrink_kernelERNS_18TensorIteratorBaseERKN3c106ScalarEENKUlvE_clEvENKUlvE0_clEvEUlfE_St5arrayIPcLm2EELi4E23TrivialOffsetCalculatorILi1EjESG_NS0_6memory15LoadWithoutCastENSH_16StoreWithoutCastEEEviT_T0_T2_T3_T4_T5_
; %bb.0:
	s_load_dwordx2 s[2:3], s[4:5], 0x0
	s_load_dwordx4 s[8:11], s[4:5], 0x8
	s_lshl_b32 s6, s6, 10
	v_mov_b32_e32 v3, 0
	v_or_b32_e32 v1, s6, v0
	s_waitcnt lgkmcnt(0)
	s_sub_i32 s2, s2, s6
	v_cmp_gt_i32_e32 vcc, s2, v0
	v_mov_b32_e32 v2, 0
	v_mov_b32_e32 v4, v0
	s_and_saveexec_b64 s[4:5], vcc
	s_cbranch_execz .LBB12_2
; %bb.1:
	v_mov_b32_e32 v2, 0
	v_lshlrev_b64 v[4:5], 2, v[1:2]
	v_mov_b32_e32 v2, s11
	v_add_co_u32_e64 v4, s[0:1], s10, v4
	v_addc_co_u32_e64 v5, s[0:1], v2, v5, s[0:1]
	global_load_dword v2, v[4:5], off
	v_or_b32_e32 v4, 0x100, v0
.LBB12_2:
	s_or_b64 exec, exec, s[4:5]
	v_cmp_gt_i32_e64 s[0:1], s2, v4
	s_and_saveexec_b64 s[4:5], s[0:1]
	s_cbranch_execz .LBB12_4
; %bb.3:
	v_add_u32_e32 v5, s6, v4
	v_mov_b32_e32 v6, 0
	v_lshlrev_b64 v[5:6], 2, v[5:6]
	v_mov_b32_e32 v3, s11
	v_add_co_u32_e64 v5, s[0:1], s10, v5
	v_addc_co_u32_e64 v6, s[0:1], v3, v6, s[0:1]
	global_load_dword v3, v[5:6], off
	v_add_u32_e32 v4, 0x100, v4
.LBB12_4:
	s_or_b64 exec, exec, s[4:5]
	v_cmp_gt_i32_e64 s[0:1], s2, v4
	v_mov_b32_e32 v5, 0
	v_mov_b32_e32 v7, 0
	s_and_saveexec_b64 s[4:5], s[0:1]
	s_cbranch_execz .LBB12_6
; %bb.5:
	v_add_u32_e32 v6, s6, v4
	v_mov_b32_e32 v7, 0
	v_lshlrev_b64 v[6:7], 2, v[6:7]
	v_mov_b32_e32 v8, s11
	v_add_co_u32_e64 v6, s[0:1], s10, v6
	v_addc_co_u32_e64 v7, s[0:1], v8, v7, s[0:1]
	global_load_dword v7, v[6:7], off
	v_add_u32_e32 v4, 0x100, v4
.LBB12_6:
	s_or_b64 exec, exec, s[4:5]
	v_cmp_gt_i32_e64 s[0:1], s2, v4
	s_and_saveexec_b64 s[4:5], s[0:1]
	s_cbranch_execz .LBB12_8
; %bb.7:
	v_add_u32_e32 v4, s6, v4
	v_mov_b32_e32 v5, 0
	v_lshlrev_b64 v[4:5], 2, v[4:5]
	v_mov_b32_e32 v6, s11
	v_add_co_u32_e64 v4, s[0:1], s10, v4
	v_addc_co_u32_e64 v5, s[0:1], v6, v5, s[0:1]
	global_load_dword v5, v[4:5], off
.LBB12_8:
	s_or_b64 exec, exec, s[4:5]
	s_waitcnt vmcnt(0)
	v_cmp_nge_f32_e64 s[4:5], v2, -s3
	v_cmp_nge_f32_e64 s[0:1], s3, v2
	s_or_b64 s[0:1], s[4:5], s[0:1]
	v_cndmask_b32_e64 v2, 0, v2, s[0:1]
	v_cmp_nge_f32_e64 s[4:5], v3, -s3
	v_cmp_nge_f32_e64 s[0:1], s3, v3
	v_or_b32_e32 v8, 0x100, v0
	s_or_b64 s[0:1], s[4:5], s[0:1]
	v_cndmask_b32_e32 v9, 0, v2, vcc
	v_cndmask_b32_e64 v2, 0, v3, s[0:1]
	v_cmp_gt_i32_e64 s[0:1], s2, v8
	v_cndmask_b32_e64 v6, 0, v2, s[0:1]
	v_cmp_nge_f32_e64 s[4:5], v7, -s3
	v_cmp_nge_f32_e64 s[0:1], s3, v7
	v_or_b32_e32 v2, 0x200, v0
	s_or_b64 s[0:1], s[4:5], s[0:1]
	v_cndmask_b32_e64 v3, 0, v7, s[0:1]
	v_cmp_gt_i32_e64 s[0:1], s2, v2
	v_cndmask_b32_e64 v4, 0, v3, s[0:1]
	v_cmp_nge_f32_e64 s[4:5], v5, -s3
	v_cmp_nge_f32_e64 s[0:1], s3, v5
	v_or_b32_e32 v2, 0x300, v0
	s_or_b64 s[0:1], s[4:5], s[0:1]
	v_cndmask_b32_e64 v3, 0, v5, s[0:1]
	v_cmp_gt_i32_e64 s[0:1], s2, v2
	v_cndmask_b32_e64 v3, 0, v3, s[0:1]
	s_and_saveexec_b64 s[0:1], vcc
	s_cbranch_execnz .LBB12_13
; %bb.9:
	s_or_b64 exec, exec, s[0:1]
	v_cmp_gt_i32_e32 vcc, s2, v0
	s_and_saveexec_b64 s[0:1], vcc
	s_cbranch_execnz .LBB12_14
.LBB12_10:
	s_or_b64 exec, exec, s[0:1]
	v_cmp_gt_i32_e32 vcc, s2, v0
	s_and_saveexec_b64 s[0:1], vcc
	s_cbranch_execnz .LBB12_15
.LBB12_11:
	s_or_b64 exec, exec, s[0:1]
	v_cmp_gt_i32_e32 vcc, s2, v0
	s_and_saveexec_b64 s[0:1], vcc
	s_cbranch_execnz .LBB12_16
.LBB12_12:
	s_endpgm
.LBB12_13:
	v_mov_b32_e32 v2, 0
	v_lshlrev_b64 v[0:1], 2, v[1:2]
	v_mov_b32_e32 v2, s9
	v_add_co_u32_e32 v0, vcc, s8, v0
	v_addc_co_u32_e32 v1, vcc, v2, v1, vcc
	global_store_dword v[0:1], v9, off
	v_mov_b32_e32 v0, v8
	s_or_b64 exec, exec, s[0:1]
	v_cmp_gt_i32_e32 vcc, s2, v0
	s_and_saveexec_b64 s[0:1], vcc
	s_cbranch_execz .LBB12_10
.LBB12_14:
	v_add_u32_e32 v2, 0x100, v0
	v_add_u32_e32 v0, s6, v0
	v_mov_b32_e32 v1, 0
	v_lshlrev_b64 v[0:1], 2, v[0:1]
	v_mov_b32_e32 v5, s9
	v_add_co_u32_e32 v0, vcc, s8, v0
	v_addc_co_u32_e32 v1, vcc, v5, v1, vcc
	global_store_dword v[0:1], v6, off
	v_mov_b32_e32 v0, v2
	s_or_b64 exec, exec, s[0:1]
	v_cmp_gt_i32_e32 vcc, s2, v0
	s_and_saveexec_b64 s[0:1], vcc
	s_cbranch_execz .LBB12_11
.LBB12_15:
	v_add_u32_e32 v2, 0x100, v0
	v_add_u32_e32 v0, s6, v0
	v_mov_b32_e32 v1, 0
	v_lshlrev_b64 v[0:1], 2, v[0:1]
	v_mov_b32_e32 v5, s9
	v_add_co_u32_e32 v0, vcc, s8, v0
	v_addc_co_u32_e32 v1, vcc, v5, v1, vcc
	global_store_dword v[0:1], v4, off
	v_mov_b32_e32 v0, v2
	s_or_b64 exec, exec, s[0:1]
	v_cmp_gt_i32_e32 vcc, s2, v0
	s_and_saveexec_b64 s[0:1], vcc
	s_cbranch_execz .LBB12_12
.LBB12_16:
	v_add_u32_e32 v0, s6, v0
	v_mov_b32_e32 v1, 0
	v_lshlrev_b64 v[0:1], 2, v[0:1]
	v_mov_b32_e32 v2, s9
	v_add_co_u32_e32 v0, vcc, s8, v0
	v_addc_co_u32_e32 v1, vcc, v2, v1, vcc
	global_store_dword v[0:1], v3, off
	s_endpgm
	.section	.rodata,"a",@progbits
	.p2align	6, 0x0
	.amdhsa_kernel _ZN2at6native27unrolled_elementwise_kernelIZZZNS0_12_GLOBAL__N_117hardshrink_kernelERNS_18TensorIteratorBaseERKN3c106ScalarEENKUlvE_clEvENKUlvE0_clEvEUlfE_St5arrayIPcLm2EELi4E23TrivialOffsetCalculatorILi1EjESG_NS0_6memory15LoadWithoutCastENSH_16StoreWithoutCastEEEviT_T0_T2_T3_T4_T5_
		.amdhsa_group_segment_fixed_size 0
		.amdhsa_private_segment_fixed_size 0
		.amdhsa_kernarg_size 28
		.amdhsa_user_sgpr_count 6
		.amdhsa_user_sgpr_private_segment_buffer 1
		.amdhsa_user_sgpr_dispatch_ptr 0
		.amdhsa_user_sgpr_queue_ptr 0
		.amdhsa_user_sgpr_kernarg_segment_ptr 1
		.amdhsa_user_sgpr_dispatch_id 0
		.amdhsa_user_sgpr_flat_scratch_init 0
		.amdhsa_user_sgpr_private_segment_size 0
		.amdhsa_uses_dynamic_stack 0
		.amdhsa_system_sgpr_private_segment_wavefront_offset 0
		.amdhsa_system_sgpr_workgroup_id_x 1
		.amdhsa_system_sgpr_workgroup_id_y 0
		.amdhsa_system_sgpr_workgroup_id_z 0
		.amdhsa_system_sgpr_workgroup_info 0
		.amdhsa_system_vgpr_workitem_id 0
		.amdhsa_next_free_vgpr 10
		.amdhsa_next_free_sgpr 12
		.amdhsa_reserve_vcc 1
		.amdhsa_reserve_flat_scratch 0
		.amdhsa_float_round_mode_32 0
		.amdhsa_float_round_mode_16_64 0
		.amdhsa_float_denorm_mode_32 3
		.amdhsa_float_denorm_mode_16_64 3
		.amdhsa_dx10_clamp 1
		.amdhsa_ieee_mode 1
		.amdhsa_fp16_overflow 0
		.amdhsa_exception_fp_ieee_invalid_op 0
		.amdhsa_exception_fp_denorm_src 0
		.amdhsa_exception_fp_ieee_div_zero 0
		.amdhsa_exception_fp_ieee_overflow 0
		.amdhsa_exception_fp_ieee_underflow 0
		.amdhsa_exception_fp_ieee_inexact 0
		.amdhsa_exception_int_div_zero 0
	.end_amdhsa_kernel
	.section	.text._ZN2at6native27unrolled_elementwise_kernelIZZZNS0_12_GLOBAL__N_117hardshrink_kernelERNS_18TensorIteratorBaseERKN3c106ScalarEENKUlvE_clEvENKUlvE0_clEvEUlfE_St5arrayIPcLm2EELi4E23TrivialOffsetCalculatorILi1EjESG_NS0_6memory15LoadWithoutCastENSH_16StoreWithoutCastEEEviT_T0_T2_T3_T4_T5_,"axG",@progbits,_ZN2at6native27unrolled_elementwise_kernelIZZZNS0_12_GLOBAL__N_117hardshrink_kernelERNS_18TensorIteratorBaseERKN3c106ScalarEENKUlvE_clEvENKUlvE0_clEvEUlfE_St5arrayIPcLm2EELi4E23TrivialOffsetCalculatorILi1EjESG_NS0_6memory15LoadWithoutCastENSH_16StoreWithoutCastEEEviT_T0_T2_T3_T4_T5_,comdat
.Lfunc_end12:
	.size	_ZN2at6native27unrolled_elementwise_kernelIZZZNS0_12_GLOBAL__N_117hardshrink_kernelERNS_18TensorIteratorBaseERKN3c106ScalarEENKUlvE_clEvENKUlvE0_clEvEUlfE_St5arrayIPcLm2EELi4E23TrivialOffsetCalculatorILi1EjESG_NS0_6memory15LoadWithoutCastENSH_16StoreWithoutCastEEEviT_T0_T2_T3_T4_T5_, .Lfunc_end12-_ZN2at6native27unrolled_elementwise_kernelIZZZNS0_12_GLOBAL__N_117hardshrink_kernelERNS_18TensorIteratorBaseERKN3c106ScalarEENKUlvE_clEvENKUlvE0_clEvEUlfE_St5arrayIPcLm2EELi4E23TrivialOffsetCalculatorILi1EjESG_NS0_6memory15LoadWithoutCastENSH_16StoreWithoutCastEEEviT_T0_T2_T3_T4_T5_
                                        ; -- End function
	.set _ZN2at6native27unrolled_elementwise_kernelIZZZNS0_12_GLOBAL__N_117hardshrink_kernelERNS_18TensorIteratorBaseERKN3c106ScalarEENKUlvE_clEvENKUlvE0_clEvEUlfE_St5arrayIPcLm2EELi4E23TrivialOffsetCalculatorILi1EjESG_NS0_6memory15LoadWithoutCastENSH_16StoreWithoutCastEEEviT_T0_T2_T3_T4_T5_.num_vgpr, 10
	.set _ZN2at6native27unrolled_elementwise_kernelIZZZNS0_12_GLOBAL__N_117hardshrink_kernelERNS_18TensorIteratorBaseERKN3c106ScalarEENKUlvE_clEvENKUlvE0_clEvEUlfE_St5arrayIPcLm2EELi4E23TrivialOffsetCalculatorILi1EjESG_NS0_6memory15LoadWithoutCastENSH_16StoreWithoutCastEEEviT_T0_T2_T3_T4_T5_.num_agpr, 0
	.set _ZN2at6native27unrolled_elementwise_kernelIZZZNS0_12_GLOBAL__N_117hardshrink_kernelERNS_18TensorIteratorBaseERKN3c106ScalarEENKUlvE_clEvENKUlvE0_clEvEUlfE_St5arrayIPcLm2EELi4E23TrivialOffsetCalculatorILi1EjESG_NS0_6memory15LoadWithoutCastENSH_16StoreWithoutCastEEEviT_T0_T2_T3_T4_T5_.numbered_sgpr, 12
	.set _ZN2at6native27unrolled_elementwise_kernelIZZZNS0_12_GLOBAL__N_117hardshrink_kernelERNS_18TensorIteratorBaseERKN3c106ScalarEENKUlvE_clEvENKUlvE0_clEvEUlfE_St5arrayIPcLm2EELi4E23TrivialOffsetCalculatorILi1EjESG_NS0_6memory15LoadWithoutCastENSH_16StoreWithoutCastEEEviT_T0_T2_T3_T4_T5_.num_named_barrier, 0
	.set _ZN2at6native27unrolled_elementwise_kernelIZZZNS0_12_GLOBAL__N_117hardshrink_kernelERNS_18TensorIteratorBaseERKN3c106ScalarEENKUlvE_clEvENKUlvE0_clEvEUlfE_St5arrayIPcLm2EELi4E23TrivialOffsetCalculatorILi1EjESG_NS0_6memory15LoadWithoutCastENSH_16StoreWithoutCastEEEviT_T0_T2_T3_T4_T5_.private_seg_size, 0
	.set _ZN2at6native27unrolled_elementwise_kernelIZZZNS0_12_GLOBAL__N_117hardshrink_kernelERNS_18TensorIteratorBaseERKN3c106ScalarEENKUlvE_clEvENKUlvE0_clEvEUlfE_St5arrayIPcLm2EELi4E23TrivialOffsetCalculatorILi1EjESG_NS0_6memory15LoadWithoutCastENSH_16StoreWithoutCastEEEviT_T0_T2_T3_T4_T5_.uses_vcc, 1
	.set _ZN2at6native27unrolled_elementwise_kernelIZZZNS0_12_GLOBAL__N_117hardshrink_kernelERNS_18TensorIteratorBaseERKN3c106ScalarEENKUlvE_clEvENKUlvE0_clEvEUlfE_St5arrayIPcLm2EELi4E23TrivialOffsetCalculatorILi1EjESG_NS0_6memory15LoadWithoutCastENSH_16StoreWithoutCastEEEviT_T0_T2_T3_T4_T5_.uses_flat_scratch, 0
	.set _ZN2at6native27unrolled_elementwise_kernelIZZZNS0_12_GLOBAL__N_117hardshrink_kernelERNS_18TensorIteratorBaseERKN3c106ScalarEENKUlvE_clEvENKUlvE0_clEvEUlfE_St5arrayIPcLm2EELi4E23TrivialOffsetCalculatorILi1EjESG_NS0_6memory15LoadWithoutCastENSH_16StoreWithoutCastEEEviT_T0_T2_T3_T4_T5_.has_dyn_sized_stack, 0
	.set _ZN2at6native27unrolled_elementwise_kernelIZZZNS0_12_GLOBAL__N_117hardshrink_kernelERNS_18TensorIteratorBaseERKN3c106ScalarEENKUlvE_clEvENKUlvE0_clEvEUlfE_St5arrayIPcLm2EELi4E23TrivialOffsetCalculatorILi1EjESG_NS0_6memory15LoadWithoutCastENSH_16StoreWithoutCastEEEviT_T0_T2_T3_T4_T5_.has_recursion, 0
	.set _ZN2at6native27unrolled_elementwise_kernelIZZZNS0_12_GLOBAL__N_117hardshrink_kernelERNS_18TensorIteratorBaseERKN3c106ScalarEENKUlvE_clEvENKUlvE0_clEvEUlfE_St5arrayIPcLm2EELi4E23TrivialOffsetCalculatorILi1EjESG_NS0_6memory15LoadWithoutCastENSH_16StoreWithoutCastEEEviT_T0_T2_T3_T4_T5_.has_indirect_call, 0
	.section	.AMDGPU.csdata,"",@progbits
; Kernel info:
; codeLenInByte = 796
; TotalNumSgprs: 16
; NumVgprs: 10
; ScratchSize: 0
; MemoryBound: 0
; FloatMode: 240
; IeeeMode: 1
; LDSByteSize: 0 bytes/workgroup (compile time only)
; SGPRBlocks: 1
; VGPRBlocks: 2
; NumSGPRsForWavesPerEU: 16
; NumVGPRsForWavesPerEU: 10
; Occupancy: 10
; WaveLimiterHint : 0
; COMPUTE_PGM_RSRC2:SCRATCH_EN: 0
; COMPUTE_PGM_RSRC2:USER_SGPR: 6
; COMPUTE_PGM_RSRC2:TRAP_HANDLER: 0
; COMPUTE_PGM_RSRC2:TGID_X_EN: 1
; COMPUTE_PGM_RSRC2:TGID_Y_EN: 0
; COMPUTE_PGM_RSRC2:TGID_Z_EN: 0
; COMPUTE_PGM_RSRC2:TIDIG_COMP_CNT: 0
	.section	.text._ZN2at6native32elementwise_kernel_manual_unrollILi128ELi4EZNS0_22gpu_kernel_impl_nocastIZZZNS0_12_GLOBAL__N_117hardshrink_kernelERNS_18TensorIteratorBaseERKN3c106ScalarEENKUlvE_clEvENKUlvE0_clEvEUlfE_EEvS5_RKT_EUlibE_EEviT1_,"axG",@progbits,_ZN2at6native32elementwise_kernel_manual_unrollILi128ELi4EZNS0_22gpu_kernel_impl_nocastIZZZNS0_12_GLOBAL__N_117hardshrink_kernelERNS_18TensorIteratorBaseERKN3c106ScalarEENKUlvE_clEvENKUlvE0_clEvEUlfE_EEvS5_RKT_EUlibE_EEviT1_,comdat
	.globl	_ZN2at6native32elementwise_kernel_manual_unrollILi128ELi4EZNS0_22gpu_kernel_impl_nocastIZZZNS0_12_GLOBAL__N_117hardshrink_kernelERNS_18TensorIteratorBaseERKN3c106ScalarEENKUlvE_clEvENKUlvE0_clEvEUlfE_EEvS5_RKT_EUlibE_EEviT1_ ; -- Begin function _ZN2at6native32elementwise_kernel_manual_unrollILi128ELi4EZNS0_22gpu_kernel_impl_nocastIZZZNS0_12_GLOBAL__N_117hardshrink_kernelERNS_18TensorIteratorBaseERKN3c106ScalarEENKUlvE_clEvENKUlvE0_clEvEUlfE_EEvS5_RKT_EUlibE_EEviT1_
	.p2align	8
	.type	_ZN2at6native32elementwise_kernel_manual_unrollILi128ELi4EZNS0_22gpu_kernel_impl_nocastIZZZNS0_12_GLOBAL__N_117hardshrink_kernelERNS_18TensorIteratorBaseERKN3c106ScalarEENKUlvE_clEvENKUlvE0_clEvEUlfE_EEvS5_RKT_EUlibE_EEviT1_,@function
_ZN2at6native32elementwise_kernel_manual_unrollILi128ELi4EZNS0_22gpu_kernel_impl_nocastIZZZNS0_12_GLOBAL__N_117hardshrink_kernelERNS_18TensorIteratorBaseERKN3c106ScalarEENKUlvE_clEvENKUlvE0_clEvEUlfE_EEvS5_RKT_EUlibE_EEviT1_: ; @_ZN2at6native32elementwise_kernel_manual_unrollILi128ELi4EZNS0_22gpu_kernel_impl_nocastIZZZNS0_12_GLOBAL__N_117hardshrink_kernelERNS_18TensorIteratorBaseERKN3c106ScalarEENKUlvE_clEvENKUlvE0_clEvEUlfE_EEvS5_RKT_EUlibE_EEviT1_
; %bb.0:
	s_load_dword s56, s[4:5], 0x0
	s_load_dword s33, s[4:5], 0x8
	s_add_u32 s34, s4, 8
	s_addc_u32 s35, s5, 0
	v_lshl_or_b32 v7, s6, 9, v0
	v_or_b32_e32 v13, 0x180, v7
	s_waitcnt lgkmcnt(0)
	s_add_i32 s54, s33, -1
	s_cmp_gt_u32 s54, 1
	v_cmp_le_i32_e32 vcc, s56, v13
	s_cselect_b64 s[36:37], -1, 0
	s_and_saveexec_b64 s[0:1], vcc
	s_xor_b64 s[38:39], exec, s[0:1]
	s_cbranch_execz .LBB13_7
; %bb.1:
	s_load_dwordx4 s[24:27], s[34:35], 0x4
	s_load_dwordx2 s[40:41], s[34:35], 0x14
	s_load_dwordx4 s[20:23], s[34:35], 0xc4
	s_load_dwordx4 s[16:19], s[34:35], 0x148
	s_load_dword s55, s[34:35], 0x158
	s_cmp_lg_u32 s33, 0
	s_cselect_b64 s[46:47], -1, 0
	s_add_u32 s44, s34, 0xc4
	s_addc_u32 s45, s35, 0
	s_min_u32 s57, s54, 15
	s_cmp_gt_u32 s33, 1
	s_cselect_b64 s[42:43], -1, 0
	v_cmp_gt_i32_e32 vcc, s56, v7
	s_and_saveexec_b64 s[48:49], vcc
	s_cbranch_execz .LBB13_14
; %bb.2:
	s_andn2_b64 vcc, exec, s[36:37]
	s_cbranch_vccnz .LBB13_21
; %bb.3:
	s_andn2_b64 vcc, exec, s[46:47]
	s_cbranch_vccnz .LBB13_73
; %bb.4:
	s_add_i32 s59, s57, 1
	s_cmp_eq_u32 s54, 2
	s_cbranch_scc1 .LBB13_75
; %bb.5:
	s_and_b32 s58, s59, 28
	v_mov_b32_e32 v2, 0
	s_mov_b32 s60, 0
	s_mov_b64 s[50:51], s[34:35]
	s_mov_b64 s[52:53], s[44:45]
	v_mov_b32_e32 v0, 0
	v_mov_b32_e32 v1, v7
.LBB13_6:                               ; =>This Inner Loop Header: Depth=1
	s_load_dwordx8 s[8:15], s[50:51], 0x4
	s_load_dwordx4 s[28:31], s[50:51], 0x24
	s_load_dwordx8 s[0:7], s[52:53], 0x0
	s_add_u32 s50, s50, 48
	s_addc_u32 s51, s51, 0
	s_waitcnt lgkmcnt(0)
	v_mul_hi_u32 v3, s9, v1
	s_add_i32 s60, s60, 4
	s_add_u32 s52, s52, 32
	s_addc_u32 s53, s53, 0
	v_add_u32_e32 v3, v1, v3
	v_lshrrev_b32_e32 v3, s10, v3
	v_mul_lo_u32 v4, v3, s8
	v_mul_hi_u32 v5, s12, v3
	s_cmp_lg_u32 s58, s60
	v_sub_u32_e32 v1, v1, v4
	v_add_u32_e32 v4, v3, v5
	v_mul_lo_u32 v5, v1, s0
	v_mul_lo_u32 v6, v1, s1
	v_lshrrev_b32_e32 v1, s13, v4
	v_mul_lo_u32 v4, v1, s11
	v_mul_hi_u32 v8, s15, v1
	v_sub_u32_e32 v3, v3, v4
	v_add_u32_e32 v4, v1, v8
	v_lshrrev_b32_e32 v4, s28, v4
	v_mul_hi_u32 v9, s30, v4
	v_mul_lo_u32 v10, v4, s14
	v_mul_lo_u32 v8, v3, s2
	;; [unrolled: 1-line block ×3, first 2 shown]
	v_sub_u32_e32 v10, v1, v10
	v_add_u32_e32 v1, v4, v9
	v_lshrrev_b32_e32 v1, s31, v1
	v_mul_lo_u32 v9, v1, s29
	v_mul_lo_u32 v11, v10, s4
	;; [unrolled: 1-line block ×3, first 2 shown]
	v_add3_u32 v0, v5, v0, v8
	v_sub_u32_e32 v4, v4, v9
	v_mul_lo_u32 v9, v4, s6
	v_mul_lo_u32 v4, v4, s7
	v_add3_u32 v2, v6, v2, v3
	v_add3_u32 v0, v11, v0, v9
	;; [unrolled: 1-line block ×3, first 2 shown]
	s_cbranch_scc1 .LBB13_6
	s_branch .LBB13_76
.LBB13_7:
	s_andn2_saveexec_b64 s[0:1], s[38:39]
	s_cbranch_execz .LBB13_101
.LBB13_8:
	v_cndmask_b32_e64 v0, 0, 1, s[36:37]
	v_cmp_ne_u32_e64 s[0:1], 1, v0
	s_andn2_b64 vcc, exec, s[36:37]
	s_cbranch_vccnz .LBB13_20
; %bb.9:
	s_cmp_lg_u32 s33, 0
	s_waitcnt lgkmcnt(0)
	s_mov_b32 s26, 0
	s_cbranch_scc0 .LBB13_23
; %bb.10:
	s_min_u32 s27, s54, 15
	s_add_i32 s27, s27, 1
	s_cmp_eq_u32 s54, 2
	s_cbranch_scc1 .LBB13_24
; %bb.11:
	s_and_b32 s26, s27, 28
	s_add_u32 s2, s34, 0xc4
	s_addc_u32 s3, s35, 0
	v_mov_b32_e32 v2, 0
	s_mov_b32 s28, 0
	s_mov_b64 s[24:25], s[34:35]
	v_mov_b32_e32 v0, 0
	v_mov_b32_e32 v1, v7
.LBB13_12:                              ; =>This Inner Loop Header: Depth=1
	s_load_dwordx8 s[12:19], s[24:25], 0x4
	s_load_dwordx4 s[20:23], s[24:25], 0x24
	s_load_dwordx8 s[4:11], s[2:3], 0x0
	s_add_u32 s24, s24, 48
	s_addc_u32 s25, s25, 0
	s_waitcnt lgkmcnt(0)
	v_mul_hi_u32 v3, s13, v1
	s_add_i32 s28, s28, 4
	s_add_u32 s2, s2, 32
	s_addc_u32 s3, s3, 0
	v_add_u32_e32 v3, v1, v3
	v_lshrrev_b32_e32 v3, s14, v3
	v_mul_lo_u32 v4, v3, s12
	v_mul_hi_u32 v5, s16, v3
	s_cmp_lg_u32 s26, s28
	v_sub_u32_e32 v1, v1, v4
	v_add_u32_e32 v4, v3, v5
	v_mul_lo_u32 v5, v1, s4
	v_mul_lo_u32 v6, v1, s5
	v_lshrrev_b32_e32 v1, s17, v4
	v_mul_lo_u32 v4, v1, s15
	v_mul_hi_u32 v8, s19, v1
	v_sub_u32_e32 v3, v3, v4
	v_add_u32_e32 v4, v1, v8
	v_lshrrev_b32_e32 v4, s20, v4
	v_mul_hi_u32 v9, s22, v4
	v_mul_lo_u32 v10, v4, s18
	v_mul_lo_u32 v8, v3, s6
	;; [unrolled: 1-line block ×3, first 2 shown]
	v_sub_u32_e32 v10, v1, v10
	v_add_u32_e32 v1, v4, v9
	v_lshrrev_b32_e32 v1, s23, v1
	v_mul_lo_u32 v9, v1, s21
	v_mul_lo_u32 v11, v10, s8
	;; [unrolled: 1-line block ×3, first 2 shown]
	v_add3_u32 v0, v5, v0, v8
	v_sub_u32_e32 v4, v4, v9
	v_mul_lo_u32 v9, v4, s10
	v_mul_lo_u32 v4, v4, s11
	v_add3_u32 v2, v6, v2, v3
	v_add3_u32 v0, v11, v0, v9
	;; [unrolled: 1-line block ×3, first 2 shown]
	s_cbranch_scc1 .LBB13_12
; %bb.13:
	s_and_b32 s6, s27, 3
	s_cmp_eq_u32 s6, 0
	s_cbranch_scc0 .LBB13_25
	s_branch .LBB13_27
.LBB13_14:
	s_or_b64 exec, exec, s[48:49]
	v_cmp_gt_i32_e32 vcc, s56, v7
	s_and_saveexec_b64 s[48:49], vcc
	s_cbranch_execz .LBB13_83
.LBB13_15:
	s_andn2_b64 vcc, exec, s[36:37]
	s_cbranch_vccnz .LBB13_22
; %bb.16:
	s_andn2_b64 vcc, exec, s[46:47]
	s_cbranch_vccnz .LBB13_74
; %bb.17:
	s_add_i32 s59, s57, 1
	s_cmp_eq_u32 s54, 2
	s_cbranch_scc1 .LBB13_91
; %bb.18:
	s_and_b32 s58, s59, 28
	v_mov_b32_e32 v2, 0
	s_mov_b32 s60, 0
	s_mov_b64 s[50:51], s[34:35]
	s_mov_b64 s[52:53], s[44:45]
	v_mov_b32_e32 v0, 0
	v_mov_b32_e32 v1, v7
.LBB13_19:                              ; =>This Inner Loop Header: Depth=1
	s_load_dwordx8 s[8:15], s[50:51], 0x4
	s_load_dwordx4 s[28:31], s[50:51], 0x24
	s_load_dwordx8 s[0:7], s[52:53], 0x0
	s_add_u32 s50, s50, 48
	s_addc_u32 s51, s51, 0
	s_waitcnt lgkmcnt(0)
	v_mul_hi_u32 v3, s9, v1
	s_add_i32 s60, s60, 4
	s_add_u32 s52, s52, 32
	s_addc_u32 s53, s53, 0
	v_add_u32_e32 v3, v1, v3
	v_lshrrev_b32_e32 v3, s10, v3
	v_mul_lo_u32 v4, v3, s8
	v_mul_hi_u32 v5, s12, v3
	s_cmp_eq_u32 s58, s60
	v_sub_u32_e32 v1, v1, v4
	v_add_u32_e32 v4, v3, v5
	v_mul_lo_u32 v5, v1, s0
	v_mul_lo_u32 v6, v1, s1
	v_lshrrev_b32_e32 v1, s13, v4
	v_mul_lo_u32 v4, v1, s11
	v_mul_hi_u32 v8, s15, v1
	v_sub_u32_e32 v3, v3, v4
	v_add_u32_e32 v4, v1, v8
	v_lshrrev_b32_e32 v4, s28, v4
	v_mul_hi_u32 v9, s30, v4
	v_mul_lo_u32 v10, v4, s14
	v_mul_lo_u32 v8, v3, s2
	;; [unrolled: 1-line block ×3, first 2 shown]
	v_sub_u32_e32 v10, v1, v10
	v_add_u32_e32 v1, v4, v9
	v_lshrrev_b32_e32 v1, s31, v1
	v_mul_lo_u32 v9, v1, s29
	v_mul_lo_u32 v11, v10, s4
	;; [unrolled: 1-line block ×3, first 2 shown]
	v_add3_u32 v0, v5, v0, v8
	v_sub_u32_e32 v4, v4, v9
	v_mul_lo_u32 v9, v4, s6
	v_mul_lo_u32 v4, v4, s7
	v_add3_u32 v2, v6, v2, v3
	v_add3_u32 v0, v11, v0, v9
	;; [unrolled: 1-line block ×3, first 2 shown]
	s_cbranch_scc0 .LBB13_19
	s_branch .LBB13_92
.LBB13_20:
                                        ; implicit-def: $vgpr0
                                        ; implicit-def: $vgpr2
	s_branch .LBB13_28
.LBB13_21:
                                        ; implicit-def: $vgpr0
                                        ; implicit-def: $vgpr2
	s_branch .LBB13_80
.LBB13_22:
                                        ; implicit-def: $vgpr0
                                        ; implicit-def: $vgpr2
	s_branch .LBB13_96
.LBB13_23:
	v_mov_b32_e32 v0, 0
	v_mov_b32_e32 v2, 0
	s_branch .LBB13_27
.LBB13_24:
	v_mov_b32_e32 v0, 0
	v_mov_b32_e32 v2, 0
	v_mov_b32_e32 v1, v7
	s_and_b32 s6, s27, 3
	s_cmp_eq_u32 s6, 0
	s_cbranch_scc1 .LBB13_27
.LBB13_25:
	s_lshl_b32 s2, s26, 3
	s_add_u32 s2, s34, s2
	s_addc_u32 s3, s35, 0
	s_add_u32 s2, s2, 0xc4
	s_addc_u32 s3, s3, 0
	s_mul_i32 s4, s26, 12
	s_add_u32 s4, s34, s4
	s_addc_u32 s5, s35, 0
.LBB13_26:                              ; =>This Inner Loop Header: Depth=1
	s_load_dwordx2 s[8:9], s[4:5], 0x4
	s_load_dword s7, s[4:5], 0xc
	s_load_dwordx2 s[10:11], s[2:3], 0x0
	s_add_u32 s4, s4, 12
	s_addc_u32 s5, s5, 0
	s_waitcnt lgkmcnt(0)
	v_mul_hi_u32 v4, s9, v1
	s_add_u32 s2, s2, 8
	s_addc_u32 s3, s3, 0
	s_add_i32 s6, s6, -1
	v_add_u32_e32 v4, v1, v4
	v_lshrrev_b32_e32 v4, s7, v4
	v_mul_lo_u32 v5, v4, s8
	s_cmp_lg_u32 s6, 0
	v_sub_u32_e32 v5, v1, v5
	v_mad_u64_u32 v[0:1], s[8:9], v5, s10, v[0:1]
	v_mad_u64_u32 v[2:3], s[8:9], v5, s11, v[2:3]
	v_mov_b32_e32 v1, v4
	s_cbranch_scc1 .LBB13_26
.LBB13_27:
	s_cbranch_execnz .LBB13_30
.LBB13_28:
	s_load_dwordx4 s[4:7], s[34:35], 0x4
	s_load_dwordx2 s[2:3], s[34:35], 0xc4
	s_cmp_lt_u32 s33, 2
	s_waitcnt lgkmcnt(0)
	v_mul_hi_u32 v0, s5, v7
	v_add_u32_e32 v0, v7, v0
	v_lshrrev_b32_e32 v1, s6, v0
	v_mul_lo_u32 v0, v1, s4
	v_sub_u32_e32 v2, v7, v0
	v_mul_lo_u32 v0, v2, s2
	v_mul_lo_u32 v2, v2, s3
	s_cbranch_scc1 .LBB13_30
; %bb.29:
	s_load_dwordx4 s[4:7], s[34:35], 0x10
	s_load_dwordx2 s[2:3], s[34:35], 0xcc
	s_waitcnt lgkmcnt(0)
	v_mul_hi_u32 v3, s5, v1
	v_add_u32_e32 v3, v1, v3
	v_lshrrev_b32_e32 v3, s6, v3
	v_mul_lo_u32 v3, v3, s4
	v_sub_u32_e32 v3, v1, v3
	v_mad_u64_u32 v[0:1], s[4:5], v3, s2, v[0:1]
	v_mad_u64_u32 v[2:3], s[2:3], v3, s3, v[2:3]
.LBB13_30:
	s_and_b64 vcc, exec, s[0:1]
	v_add_u32_e32 v1, 0x80, v7
	s_cbranch_vccnz .LBB13_36
; %bb.31:
	s_cmp_lg_u32 s33, 0
	s_waitcnt lgkmcnt(0)
	s_mov_b32 s26, 0
	s_cbranch_scc0 .LBB13_37
; %bb.32:
	s_min_u32 s27, s54, 15
	s_add_i32 s27, s27, 1
	s_cmp_eq_u32 s54, 2
	s_cbranch_scc1 .LBB13_38
; %bb.33:
	s_and_b32 s26, s27, 28
	s_add_u32 s2, s34, 0xc4
	s_addc_u32 s3, s35, 0
	v_mov_b32_e32 v5, 0
	s_mov_b32 s28, 0
	s_mov_b64 s[24:25], s[34:35]
	v_mov_b32_e32 v3, 0
	v_mov_b32_e32 v4, v1
.LBB13_34:                              ; =>This Inner Loop Header: Depth=1
	s_load_dwordx8 s[12:19], s[24:25], 0x4
	s_load_dwordx4 s[20:23], s[24:25], 0x24
	s_load_dwordx8 s[4:11], s[2:3], 0x0
	s_add_u32 s24, s24, 48
	s_addc_u32 s25, s25, 0
	s_waitcnt lgkmcnt(0)
	v_mul_hi_u32 v6, s13, v4
	s_add_i32 s28, s28, 4
	s_add_u32 s2, s2, 32
	s_addc_u32 s3, s3, 0
	v_add_u32_e32 v6, v4, v6
	v_lshrrev_b32_e32 v6, s14, v6
	v_mul_lo_u32 v8, v6, s12
	v_mul_hi_u32 v9, s16, v6
	s_cmp_lg_u32 s26, s28
	v_sub_u32_e32 v4, v4, v8
	v_add_u32_e32 v8, v6, v9
	v_mul_lo_u32 v9, v4, s4
	v_mul_lo_u32 v10, v4, s5
	v_lshrrev_b32_e32 v4, s17, v8
	v_mul_lo_u32 v8, v4, s15
	v_mul_hi_u32 v11, s19, v4
	v_sub_u32_e32 v6, v6, v8
	v_add_u32_e32 v8, v4, v11
	v_lshrrev_b32_e32 v8, s20, v8
	v_mul_hi_u32 v12, s22, v8
	v_mul_lo_u32 v14, v8, s18
	v_mul_lo_u32 v11, v6, s6
	v_mul_lo_u32 v6, v6, s7
	v_sub_u32_e32 v14, v4, v14
	v_add_u32_e32 v4, v8, v12
	v_lshrrev_b32_e32 v4, s23, v4
	v_mul_lo_u32 v12, v4, s21
	v_mul_lo_u32 v15, v14, s8
	;; [unrolled: 1-line block ×3, first 2 shown]
	v_add3_u32 v3, v9, v3, v11
	v_sub_u32_e32 v8, v8, v12
	v_mul_lo_u32 v12, v8, s10
	v_mul_lo_u32 v8, v8, s11
	v_add3_u32 v5, v10, v5, v6
	v_add3_u32 v3, v15, v3, v12
	;; [unrolled: 1-line block ×3, first 2 shown]
	s_cbranch_scc1 .LBB13_34
; %bb.35:
	s_and_b32 s6, s27, 3
	s_cmp_eq_u32 s6, 0
	s_cbranch_scc0 .LBB13_39
	s_branch .LBB13_41
.LBB13_36:
                                        ; implicit-def: $vgpr3
                                        ; implicit-def: $vgpr5
	s_branch .LBB13_42
.LBB13_37:
	v_mov_b32_e32 v3, 0
	v_mov_b32_e32 v5, 0
	s_branch .LBB13_41
.LBB13_38:
	v_mov_b32_e32 v3, 0
	v_mov_b32_e32 v5, 0
	;; [unrolled: 1-line block ×3, first 2 shown]
	s_and_b32 s6, s27, 3
	s_cmp_eq_u32 s6, 0
	s_cbranch_scc1 .LBB13_41
.LBB13_39:
	s_lshl_b32 s2, s26, 3
	s_add_u32 s2, s34, s2
	s_addc_u32 s3, s35, 0
	s_add_u32 s2, s2, 0xc4
	s_addc_u32 s3, s3, 0
	s_mul_i32 s4, s26, 12
	s_add_u32 s4, s34, s4
	s_addc_u32 s5, s35, 0
.LBB13_40:                              ; =>This Inner Loop Header: Depth=1
	s_load_dwordx2 s[8:9], s[4:5], 0x4
	s_load_dword s7, s[4:5], 0xc
	s_load_dwordx2 s[10:11], s[2:3], 0x0
	s_add_u32 s4, s4, 12
	s_addc_u32 s5, s5, 0
	s_waitcnt lgkmcnt(0)
	v_mul_hi_u32 v8, s9, v4
	s_add_u32 s2, s2, 8
	s_addc_u32 s3, s3, 0
	s_add_i32 s6, s6, -1
	v_add_u32_e32 v8, v4, v8
	v_lshrrev_b32_e32 v8, s7, v8
	v_mul_lo_u32 v9, v8, s8
	s_cmp_lg_u32 s6, 0
	v_sub_u32_e32 v9, v4, v9
	v_mad_u64_u32 v[3:4], s[8:9], v9, s10, v[3:4]
	v_mad_u64_u32 v[5:6], s[8:9], v9, s11, v[5:6]
	v_mov_b32_e32 v4, v8
	s_cbranch_scc1 .LBB13_40
.LBB13_41:
	s_cbranch_execnz .LBB13_44
.LBB13_42:
	s_load_dwordx4 s[4:7], s[34:35], 0x4
	s_load_dwordx2 s[2:3], s[34:35], 0xc4
	s_cmp_lt_u32 s33, 2
	s_waitcnt lgkmcnt(0)
	v_mul_hi_u32 v3, s5, v1
	v_add_u32_e32 v3, v1, v3
	v_lshrrev_b32_e32 v4, s6, v3
	v_mul_lo_u32 v3, v4, s4
	v_sub_u32_e32 v1, v1, v3
	v_mul_lo_u32 v3, v1, s2
	v_mul_lo_u32 v5, v1, s3
	s_cbranch_scc1 .LBB13_44
; %bb.43:
	s_load_dwordx4 s[4:7], s[34:35], 0x10
	s_load_dwordx2 s[2:3], s[34:35], 0xcc
	s_waitcnt lgkmcnt(0)
	v_mul_hi_u32 v1, s5, v4
	v_add_u32_e32 v1, v4, v1
	v_lshrrev_b32_e32 v1, s6, v1
	v_mul_lo_u32 v1, v1, s4
	v_sub_u32_e32 v1, v4, v1
	v_mad_u64_u32 v[3:4], s[4:5], v1, s2, v[3:4]
	v_mad_u64_u32 v[5:6], s[2:3], v1, s3, v[5:6]
.LBB13_44:
	s_and_b64 vcc, exec, s[0:1]
	v_add_u32_e32 v1, 0x100, v7
	s_cbranch_vccnz .LBB13_50
; %bb.45:
	s_cmp_lg_u32 s33, 0
	s_waitcnt lgkmcnt(0)
	s_mov_b32 s26, 0
	s_cbranch_scc0 .LBB13_51
; %bb.46:
	s_min_u32 s27, s54, 15
	s_add_i32 s27, s27, 1
	s_cmp_eq_u32 s54, 2
	s_cbranch_scc1 .LBB13_52
; %bb.47:
	s_and_b32 s26, s27, 28
	s_add_u32 s2, s34, 0xc4
	s_addc_u32 s3, s35, 0
	v_mov_b32_e32 v8, 0
	s_mov_b32 s28, 0
	s_mov_b64 s[24:25], s[34:35]
	v_mov_b32_e32 v6, 0
	v_mov_b32_e32 v4, v1
.LBB13_48:                              ; =>This Inner Loop Header: Depth=1
	s_load_dwordx8 s[12:19], s[24:25], 0x4
	s_load_dwordx4 s[20:23], s[24:25], 0x24
	s_load_dwordx8 s[4:11], s[2:3], 0x0
	s_add_u32 s24, s24, 48
	s_addc_u32 s25, s25, 0
	s_waitcnt lgkmcnt(0)
	v_mul_hi_u32 v7, s13, v4
	s_add_i32 s28, s28, 4
	s_add_u32 s2, s2, 32
	s_addc_u32 s3, s3, 0
	v_add_u32_e32 v7, v4, v7
	v_lshrrev_b32_e32 v7, s14, v7
	v_mul_lo_u32 v9, v7, s12
	v_mul_hi_u32 v10, s16, v7
	s_cmp_lg_u32 s26, s28
	v_sub_u32_e32 v4, v4, v9
	v_add_u32_e32 v9, v7, v10
	v_mul_lo_u32 v10, v4, s4
	v_mul_lo_u32 v11, v4, s5
	v_lshrrev_b32_e32 v4, s17, v9
	v_mul_lo_u32 v9, v4, s15
	v_mul_hi_u32 v12, s19, v4
	v_sub_u32_e32 v7, v7, v9
	v_add_u32_e32 v9, v4, v12
	v_lshrrev_b32_e32 v9, s20, v9
	v_mul_hi_u32 v14, s22, v9
	v_mul_lo_u32 v15, v9, s18
	v_mul_lo_u32 v12, v7, s6
	;; [unrolled: 1-line block ×3, first 2 shown]
	v_sub_u32_e32 v15, v4, v15
	v_add_u32_e32 v4, v9, v14
	v_lshrrev_b32_e32 v4, s23, v4
	v_mul_lo_u32 v14, v4, s21
	v_mul_lo_u32 v16, v15, s8
	;; [unrolled: 1-line block ×3, first 2 shown]
	v_add3_u32 v6, v10, v6, v12
	v_sub_u32_e32 v9, v9, v14
	v_mul_lo_u32 v14, v9, s10
	v_mul_lo_u32 v9, v9, s11
	v_add3_u32 v7, v11, v8, v7
	v_add3_u32 v6, v16, v6, v14
	v_add3_u32 v8, v15, v7, v9
	s_cbranch_scc1 .LBB13_48
; %bb.49:
	s_and_b32 s6, s27, 3
	s_cmp_eq_u32 s6, 0
	s_cbranch_scc0 .LBB13_53
	s_branch .LBB13_55
.LBB13_50:
                                        ; implicit-def: $vgpr6
                                        ; implicit-def: $vgpr8
	s_branch .LBB13_56
.LBB13_51:
	v_mov_b32_e32 v6, 0
	v_mov_b32_e32 v8, 0
	s_branch .LBB13_55
.LBB13_52:
	v_mov_b32_e32 v6, 0
	v_mov_b32_e32 v8, 0
	v_mov_b32_e32 v4, v1
	s_and_b32 s6, s27, 3
	s_cmp_eq_u32 s6, 0
	s_cbranch_scc1 .LBB13_55
.LBB13_53:
	s_lshl_b32 s2, s26, 3
	s_add_u32 s2, s34, s2
	s_addc_u32 s3, s35, 0
	s_add_u32 s2, s2, 0xc4
	s_addc_u32 s3, s3, 0
	s_mul_i32 s4, s26, 12
	s_add_u32 s4, s34, s4
	s_addc_u32 s5, s35, 0
.LBB13_54:                              ; =>This Inner Loop Header: Depth=1
	s_load_dwordx2 s[8:9], s[4:5], 0x4
	s_load_dword s7, s[4:5], 0xc
	s_load_dwordx2 s[10:11], s[2:3], 0x0
	s_add_u32 s4, s4, 12
	s_addc_u32 s5, s5, 0
	s_waitcnt lgkmcnt(0)
	v_mul_hi_u32 v7, s9, v4
	s_add_u32 s2, s2, 8
	s_addc_u32 s3, s3, 0
	s_add_i32 s6, s6, -1
	v_add_u32_e32 v7, v4, v7
	v_lshrrev_b32_e32 v10, s7, v7
	v_mul_lo_u32 v7, v10, s8
	s_cmp_lg_u32 s6, 0
	v_sub_u32_e32 v4, v4, v7
	v_mad_u64_u32 v[6:7], s[8:9], v4, s10, v[6:7]
	v_mad_u64_u32 v[8:9], s[8:9], v4, s11, v[8:9]
	v_mov_b32_e32 v4, v10
	s_cbranch_scc1 .LBB13_54
.LBB13_55:
	s_cbranch_execnz .LBB13_58
.LBB13_56:
	s_load_dwordx4 s[4:7], s[34:35], 0x4
	s_load_dwordx2 s[2:3], s[34:35], 0xc4
	s_cmp_lt_u32 s33, 2
	s_waitcnt lgkmcnt(0)
	v_mul_hi_u32 v4, s5, v1
	v_add_u32_e32 v4, v1, v4
	v_lshrrev_b32_e32 v4, s6, v4
	v_mul_lo_u32 v6, v4, s4
	v_sub_u32_e32 v1, v1, v6
	v_mul_lo_u32 v6, v1, s2
	v_mul_lo_u32 v8, v1, s3
	s_cbranch_scc1 .LBB13_58
; %bb.57:
	s_load_dwordx4 s[4:7], s[34:35], 0x10
	s_load_dwordx2 s[2:3], s[34:35], 0xcc
	s_waitcnt lgkmcnt(0)
	v_mul_hi_u32 v1, s5, v4
	v_add_u32_e32 v1, v4, v1
	v_lshrrev_b32_e32 v1, s6, v1
	v_mul_lo_u32 v1, v1, s4
	v_sub_u32_e32 v1, v4, v1
	v_mad_u64_u32 v[6:7], s[4:5], v1, s2, v[6:7]
	v_mad_u64_u32 v[8:9], s[2:3], v1, s3, v[8:9]
.LBB13_58:
	s_and_b64 vcc, exec, s[0:1]
	s_cbranch_vccnz .LBB13_64
; %bb.59:
	s_cmp_lg_u32 s33, 0
	s_waitcnt lgkmcnt(0)
	s_mov_b32 s24, 0
	s_cbranch_scc0 .LBB13_65
; %bb.60:
	s_min_u32 s25, s54, 15
	s_add_i32 s25, s25, 1
	s_cmp_eq_u32 s54, 2
	s_cbranch_scc1 .LBB13_66
; %bb.61:
	s_and_b32 s24, s25, 28
	s_add_u32 s20, s34, 0xc4
	s_addc_u32 s21, s35, 0
	v_mov_b32_e32 v11, 0
	s_mov_b32 s26, 0
	s_mov_b64 s[22:23], s[34:35]
	v_mov_b32_e32 v9, 0
	v_mov_b32_e32 v1, v13
.LBB13_62:                              ; =>This Inner Loop Header: Depth=1
	s_load_dwordx8 s[8:15], s[22:23], 0x4
	s_load_dwordx4 s[16:19], s[22:23], 0x24
	s_load_dwordx8 s[0:7], s[20:21], 0x0
	s_add_u32 s22, s22, 48
	s_addc_u32 s23, s23, 0
	s_waitcnt lgkmcnt(0)
	v_mul_hi_u32 v4, s9, v1
	s_add_i32 s26, s26, 4
	s_add_u32 s20, s20, 32
	s_addc_u32 s21, s21, 0
	v_add_u32_e32 v4, v1, v4
	v_lshrrev_b32_e32 v4, s10, v4
	v_mul_lo_u32 v7, v4, s8
	v_mul_hi_u32 v10, s12, v4
	s_cmp_lg_u32 s24, s26
	v_sub_u32_e32 v1, v1, v7
	v_add_u32_e32 v7, v4, v10
	v_mul_lo_u32 v10, v1, s0
	v_mul_lo_u32 v12, v1, s1
	v_lshrrev_b32_e32 v1, s13, v7
	v_mul_lo_u32 v7, v1, s11
	v_mul_hi_u32 v14, s15, v1
	v_sub_u32_e32 v4, v4, v7
	v_add_u32_e32 v7, v1, v14
	v_lshrrev_b32_e32 v7, s16, v7
	v_mul_hi_u32 v15, s18, v7
	v_mul_lo_u32 v16, v7, s14
	v_mul_lo_u32 v14, v4, s2
	;; [unrolled: 1-line block ×3, first 2 shown]
	v_sub_u32_e32 v16, v1, v16
	v_add_u32_e32 v1, v7, v15
	v_lshrrev_b32_e32 v1, s19, v1
	v_mul_lo_u32 v15, v1, s17
	v_mul_lo_u32 v17, v16, s4
	v_mul_lo_u32 v16, v16, s5
	v_add3_u32 v9, v10, v9, v14
	v_sub_u32_e32 v7, v7, v15
	v_mul_lo_u32 v15, v7, s6
	v_mul_lo_u32 v7, v7, s7
	v_add3_u32 v4, v12, v11, v4
	v_add3_u32 v9, v17, v9, v15
	;; [unrolled: 1-line block ×3, first 2 shown]
	s_cbranch_scc1 .LBB13_62
; %bb.63:
	s_and_b32 s4, s25, 3
	s_cmp_eq_u32 s4, 0
	s_cbranch_scc0 .LBB13_67
	s_branch .LBB13_69
.LBB13_64:
                                        ; implicit-def: $vgpr9
                                        ; implicit-def: $vgpr11
	s_branch .LBB13_70
.LBB13_65:
	v_mov_b32_e32 v9, 0
	v_mov_b32_e32 v11, 0
	s_branch .LBB13_69
.LBB13_66:
	v_mov_b32_e32 v9, 0
	v_mov_b32_e32 v11, 0
	;; [unrolled: 1-line block ×3, first 2 shown]
	s_and_b32 s4, s25, 3
	s_cmp_eq_u32 s4, 0
	s_cbranch_scc1 .LBB13_69
.LBB13_67:
	s_lshl_b32 s0, s24, 3
	s_add_u32 s0, s34, s0
	s_addc_u32 s1, s35, 0
	s_add_u32 s0, s0, 0xc4
	s_addc_u32 s1, s1, 0
	s_mul_i32 s2, s24, 12
	s_add_u32 s2, s34, s2
	s_addc_u32 s3, s35, 0
.LBB13_68:                              ; =>This Inner Loop Header: Depth=1
	s_load_dwordx2 s[6:7], s[2:3], 0x4
	s_load_dword s5, s[2:3], 0xc
	s_load_dwordx2 s[8:9], s[0:1], 0x0
	s_add_u32 s2, s2, 12
	s_addc_u32 s3, s3, 0
	s_waitcnt lgkmcnt(0)
	v_mul_hi_u32 v4, s7, v1
	s_add_u32 s0, s0, 8
	s_addc_u32 s1, s1, 0
	s_add_i32 s4, s4, -1
	v_add_u32_e32 v4, v1, v4
	v_lshrrev_b32_e32 v4, s5, v4
	v_mul_lo_u32 v7, v4, s6
	s_cmp_lg_u32 s4, 0
	v_sub_u32_e32 v1, v1, v7
	v_mad_u64_u32 v[9:10], s[6:7], v1, s8, v[9:10]
	v_mad_u64_u32 v[11:12], s[6:7], v1, s9, v[11:12]
	v_mov_b32_e32 v1, v4
	s_cbranch_scc1 .LBB13_68
.LBB13_69:
	s_cbranch_execnz .LBB13_72
.LBB13_70:
	s_load_dwordx4 s[0:3], s[34:35], 0x4
	s_load_dwordx2 s[4:5], s[34:35], 0xc4
	s_cmp_lt_u32 s33, 2
	s_waitcnt lgkmcnt(0)
	v_mul_hi_u32 v1, s1, v13
	v_add_u32_e32 v1, v13, v1
	v_lshrrev_b32_e32 v1, s2, v1
	v_mul_lo_u32 v4, v1, s0
	v_sub_u32_e32 v4, v13, v4
	v_mul_lo_u32 v9, v4, s4
	v_mul_lo_u32 v11, v4, s5
	s_cbranch_scc1 .LBB13_72
; %bb.71:
	s_load_dwordx4 s[0:3], s[34:35], 0x10
	s_load_dwordx2 s[4:5], s[34:35], 0xcc
	s_waitcnt lgkmcnt(0)
	v_mul_hi_u32 v4, s1, v1
	v_add_u32_e32 v4, v1, v4
	v_lshrrev_b32_e32 v4, s2, v4
	v_mul_lo_u32 v4, v4, s0
	v_sub_u32_e32 v1, v1, v4
	v_mad_u64_u32 v[9:10], s[0:1], v1, s4, v[9:10]
	v_mad_u64_u32 v[11:12], s[0:1], v1, s5, v[11:12]
.LBB13_72:
	s_load_dwordx4 s[8:11], s[34:35], 0x148
	s_load_dword s4, s[34:35], 0x158
	s_waitcnt lgkmcnt(0)
	global_load_dword v1, v2, s[10:11]
	global_load_dword v4, v5, s[10:11]
	;; [unrolled: 1-line block ×4, first 2 shown]
	s_waitcnt vmcnt(3)
	v_cmp_nge_f32_e64 s[6:7], v1, -s4
	v_cmp_nge_f32_e32 vcc, s4, v1
	s_waitcnt vmcnt(2)
	v_cmp_nge_f32_e64 s[10:11], v4, -s4
	v_cmp_nge_f32_e64 s[0:1], s4, v4
	s_or_b64 vcc, s[6:7], vcc
	s_waitcnt vmcnt(1)
	v_cmp_nge_f32_e64 s[12:13], v7, -s4
	v_cmp_nge_f32_e64 s[2:3], s4, v7
	v_cndmask_b32_e32 v1, 0, v1, vcc
	s_or_b64 vcc, s[10:11], s[0:1]
	s_waitcnt vmcnt(0)
	v_cmp_nge_f32_e64 s[14:15], v10, -s4
	v_cmp_nge_f32_e64 s[4:5], s4, v10
	v_cndmask_b32_e32 v2, 0, v4, vcc
	s_or_b64 vcc, s[12:13], s[2:3]
	v_cndmask_b32_e32 v4, 0, v7, vcc
	s_or_b64 vcc, s[14:15], s[4:5]
	v_cndmask_b32_e32 v5, 0, v10, vcc
	global_store_dword v0, v1, s[8:9]
	global_store_dword v3, v2, s[8:9]
	;; [unrolled: 1-line block ×4, first 2 shown]
	s_endpgm
.LBB13_73:
	v_mov_b32_e32 v0, 0
	v_mov_b32_e32 v2, 0
	s_branch .LBB13_79
.LBB13_74:
	v_mov_b32_e32 v0, 0
	v_mov_b32_e32 v2, 0
	s_branch .LBB13_95
.LBB13_75:
	s_mov_b32 s58, 0
	v_mov_b32_e32 v0, 0
	v_mov_b32_e32 v2, 0
	;; [unrolled: 1-line block ×3, first 2 shown]
.LBB13_76:
	s_and_b32 s4, s59, 3
	s_cmp_eq_u32 s4, 0
	s_cbranch_scc1 .LBB13_79
; %bb.77:
	s_lshl_b32 s0, s58, 3
	s_add_u32 s0, s34, s0
	s_addc_u32 s1, s35, 0
	s_add_u32 s0, s0, 0xc4
	s_addc_u32 s1, s1, 0
	s_mul_i32 s2, s58, 12
	s_add_u32 s2, s34, s2
	s_addc_u32 s3, s35, 0
.LBB13_78:                              ; =>This Inner Loop Header: Depth=1
	s_load_dwordx2 s[6:7], s[2:3], 0x4
	s_load_dword s5, s[2:3], 0xc
	s_load_dwordx2 s[8:9], s[0:1], 0x0
	s_add_u32 s2, s2, 12
	s_addc_u32 s3, s3, 0
	s_waitcnt lgkmcnt(0)
	v_mul_hi_u32 v3, s7, v1
	s_add_u32 s0, s0, 8
	s_addc_u32 s1, s1, 0
	s_add_i32 s4, s4, -1
	v_add_u32_e32 v3, v1, v3
	v_lshrrev_b32_e32 v4, s5, v3
	v_mul_lo_u32 v3, v4, s6
	s_cmp_lg_u32 s4, 0
	v_sub_u32_e32 v3, v1, v3
	v_mad_u64_u32 v[0:1], s[6:7], v3, s8, v[0:1]
	v_mad_u64_u32 v[2:3], s[6:7], v3, s9, v[2:3]
	v_mov_b32_e32 v1, v4
	s_cbranch_scc1 .LBB13_78
.LBB13_79:
	s_cbranch_execnz .LBB13_82
.LBB13_80:
	s_waitcnt lgkmcnt(0)
	v_mul_hi_u32 v0, s25, v7
	s_andn2_b64 vcc, exec, s[42:43]
	v_add_u32_e32 v0, v7, v0
	v_lshrrev_b32_e32 v1, s26, v0
	v_mul_lo_u32 v0, v1, s24
	v_sub_u32_e32 v2, v7, v0
	v_mul_lo_u32 v0, v2, s20
	v_mul_lo_u32 v2, v2, s21
	s_cbranch_vccnz .LBB13_82
; %bb.81:
	v_mul_hi_u32 v3, s40, v1
	v_add_u32_e32 v3, v1, v3
	v_lshrrev_b32_e32 v3, s41, v3
	v_mul_lo_u32 v3, v3, s27
	v_sub_u32_e32 v3, v1, v3
	v_mad_u64_u32 v[0:1], s[0:1], v3, s22, v[0:1]
	v_mad_u64_u32 v[2:3], s[0:1], v3, s23, v[2:3]
.LBB13_82:
	s_waitcnt lgkmcnt(0)
	global_load_dword v1, v2, s[18:19]
	v_add_u32_e32 v7, 0x80, v7
	s_waitcnt vmcnt(0)
	v_cmp_nge_f32_e64 s[0:1], v1, -s55
	v_cmp_nge_f32_e32 vcc, s55, v1
	s_or_b64 vcc, s[0:1], vcc
	v_cndmask_b32_e32 v1, 0, v1, vcc
	global_store_dword v0, v1, s[16:17]
	s_or_b64 exec, exec, s[48:49]
	v_cmp_gt_i32_e32 vcc, s56, v7
	s_and_saveexec_b64 s[48:49], vcc
	s_cbranch_execnz .LBB13_15
.LBB13_83:
	s_or_b64 exec, exec, s[48:49]
	v_cmp_gt_i32_e32 vcc, s56, v7
	s_and_saveexec_b64 s[48:49], vcc
	s_cbranch_execz .LBB13_99
.LBB13_84:
	s_andn2_b64 vcc, exec, s[36:37]
	s_cbranch_vccnz .LBB13_89
; %bb.85:
	s_andn2_b64 vcc, exec, s[46:47]
	s_cbranch_vccnz .LBB13_90
; %bb.86:
	s_add_i32 s59, s57, 1
	s_cmp_eq_u32 s54, 2
	s_cbranch_scc1 .LBB13_102
; %bb.87:
	s_and_b32 s58, s59, 28
	v_mov_b32_e32 v2, 0
	s_mov_b32 s60, 0
	s_mov_b64 s[50:51], s[34:35]
	s_mov_b64 s[52:53], s[44:45]
	v_mov_b32_e32 v0, 0
	v_mov_b32_e32 v1, v7
.LBB13_88:                              ; =>This Inner Loop Header: Depth=1
	s_load_dwordx8 s[8:15], s[50:51], 0x4
	s_load_dwordx4 s[28:31], s[50:51], 0x24
	s_load_dwordx8 s[0:7], s[52:53], 0x0
	s_add_u32 s50, s50, 48
	s_addc_u32 s51, s51, 0
	s_waitcnt lgkmcnt(0)
	v_mul_hi_u32 v3, s9, v1
	s_add_i32 s60, s60, 4
	s_add_u32 s52, s52, 32
	s_addc_u32 s53, s53, 0
	v_add_u32_e32 v3, v1, v3
	v_lshrrev_b32_e32 v3, s10, v3
	v_mul_lo_u32 v4, v3, s8
	v_mul_hi_u32 v5, s12, v3
	s_cmp_eq_u32 s58, s60
	v_sub_u32_e32 v1, v1, v4
	v_add_u32_e32 v4, v3, v5
	v_mul_lo_u32 v5, v1, s0
	v_mul_lo_u32 v6, v1, s1
	v_lshrrev_b32_e32 v1, s13, v4
	v_mul_lo_u32 v4, v1, s11
	v_mul_hi_u32 v8, s15, v1
	v_sub_u32_e32 v3, v3, v4
	v_add_u32_e32 v4, v1, v8
	v_lshrrev_b32_e32 v4, s28, v4
	v_mul_hi_u32 v9, s30, v4
	v_mul_lo_u32 v10, v4, s14
	v_mul_lo_u32 v8, v3, s2
	;; [unrolled: 1-line block ×3, first 2 shown]
	v_sub_u32_e32 v10, v1, v10
	v_add_u32_e32 v1, v4, v9
	v_lshrrev_b32_e32 v1, s31, v1
	v_mul_lo_u32 v9, v1, s29
	v_mul_lo_u32 v11, v10, s4
	;; [unrolled: 1-line block ×3, first 2 shown]
	v_add3_u32 v0, v5, v0, v8
	v_sub_u32_e32 v4, v4, v9
	v_mul_lo_u32 v9, v4, s6
	v_mul_lo_u32 v4, v4, s7
	v_add3_u32 v2, v6, v2, v3
	v_add3_u32 v0, v11, v0, v9
	;; [unrolled: 1-line block ×3, first 2 shown]
	s_cbranch_scc0 .LBB13_88
	s_branch .LBB13_103
.LBB13_89:
                                        ; implicit-def: $vgpr0
                                        ; implicit-def: $vgpr2
	s_branch .LBB13_107
.LBB13_90:
	v_mov_b32_e32 v0, 0
	v_mov_b32_e32 v2, 0
	s_branch .LBB13_106
.LBB13_91:
	s_mov_b32 s58, 0
	v_mov_b32_e32 v0, 0
	v_mov_b32_e32 v2, 0
	;; [unrolled: 1-line block ×3, first 2 shown]
.LBB13_92:
	s_and_b32 s4, s59, 3
	s_cmp_eq_u32 s4, 0
	s_cbranch_scc1 .LBB13_95
; %bb.93:
	s_lshl_b32 s0, s58, 3
	s_add_u32 s0, s34, s0
	s_addc_u32 s1, s35, 0
	s_add_u32 s0, s0, 0xc4
	s_addc_u32 s1, s1, 0
	s_mul_i32 s2, s58, 12
	s_add_u32 s2, s34, s2
	s_addc_u32 s3, s35, 0
.LBB13_94:                              ; =>This Inner Loop Header: Depth=1
	s_load_dwordx2 s[6:7], s[2:3], 0x4
	s_load_dword s5, s[2:3], 0xc
	s_load_dwordx2 s[8:9], s[0:1], 0x0
	s_add_u32 s2, s2, 12
	s_addc_u32 s3, s3, 0
	s_waitcnt lgkmcnt(0)
	v_mul_hi_u32 v3, s7, v1
	s_add_u32 s0, s0, 8
	s_addc_u32 s1, s1, 0
	s_add_i32 s4, s4, -1
	v_add_u32_e32 v3, v1, v3
	v_lshrrev_b32_e32 v4, s5, v3
	v_mul_lo_u32 v3, v4, s6
	s_cmp_lg_u32 s4, 0
	v_sub_u32_e32 v3, v1, v3
	v_mad_u64_u32 v[0:1], s[6:7], v3, s8, v[0:1]
	v_mad_u64_u32 v[2:3], s[6:7], v3, s9, v[2:3]
	v_mov_b32_e32 v1, v4
	s_cbranch_scc1 .LBB13_94
.LBB13_95:
	s_cbranch_execnz .LBB13_98
.LBB13_96:
	s_waitcnt lgkmcnt(0)
	v_mul_hi_u32 v0, s25, v7
	s_andn2_b64 vcc, exec, s[42:43]
	v_add_u32_e32 v0, v7, v0
	v_lshrrev_b32_e32 v1, s26, v0
	v_mul_lo_u32 v0, v1, s24
	v_sub_u32_e32 v2, v7, v0
	v_mul_lo_u32 v0, v2, s20
	v_mul_lo_u32 v2, v2, s21
	s_cbranch_vccnz .LBB13_98
; %bb.97:
	v_mul_hi_u32 v3, s40, v1
	v_add_u32_e32 v3, v1, v3
	v_lshrrev_b32_e32 v3, s41, v3
	v_mul_lo_u32 v3, v3, s27
	v_sub_u32_e32 v3, v1, v3
	v_mad_u64_u32 v[0:1], s[0:1], v3, s22, v[0:1]
	v_mad_u64_u32 v[2:3], s[0:1], v3, s23, v[2:3]
.LBB13_98:
	s_waitcnt lgkmcnt(0)
	global_load_dword v1, v2, s[18:19]
	v_add_u32_e32 v7, 0x80, v7
	s_waitcnt vmcnt(0)
	v_cmp_nge_f32_e64 s[0:1], v1, -s55
	v_cmp_nge_f32_e32 vcc, s55, v1
	s_or_b64 vcc, s[0:1], vcc
	v_cndmask_b32_e32 v1, 0, v1, vcc
	global_store_dword v0, v1, s[16:17]
	s_or_b64 exec, exec, s[48:49]
	v_cmp_gt_i32_e32 vcc, s56, v7
	s_and_saveexec_b64 s[48:49], vcc
	s_cbranch_execnz .LBB13_84
.LBB13_99:
	s_or_b64 exec, exec, s[48:49]
	v_cmp_gt_i32_e32 vcc, s56, v7
	s_and_saveexec_b64 s[48:49], vcc
	s_cbranch_execnz .LBB13_110
.LBB13_100:
	s_or_b64 exec, exec, s[48:49]
                                        ; implicit-def: $vgpr13
                                        ; implicit-def: $vgpr7
	s_andn2_saveexec_b64 s[0:1], s[38:39]
	s_cbranch_execnz .LBB13_8
.LBB13_101:
	s_endpgm
.LBB13_102:
	s_mov_b32 s58, 0
	v_mov_b32_e32 v0, 0
	v_mov_b32_e32 v2, 0
	;; [unrolled: 1-line block ×3, first 2 shown]
.LBB13_103:
	s_and_b32 s4, s59, 3
	s_cmp_eq_u32 s4, 0
	s_cbranch_scc1 .LBB13_106
; %bb.104:
	s_lshl_b32 s0, s58, 3
	s_add_u32 s0, s34, s0
	s_addc_u32 s1, s35, 0
	s_add_u32 s0, s0, 0xc4
	s_addc_u32 s1, s1, 0
	s_mul_i32 s2, s58, 12
	s_add_u32 s2, s34, s2
	s_addc_u32 s3, s35, 0
.LBB13_105:                             ; =>This Inner Loop Header: Depth=1
	s_load_dwordx2 s[6:7], s[2:3], 0x4
	s_load_dword s5, s[2:3], 0xc
	s_load_dwordx2 s[8:9], s[0:1], 0x0
	s_add_u32 s2, s2, 12
	s_addc_u32 s3, s3, 0
	s_waitcnt lgkmcnt(0)
	v_mul_hi_u32 v3, s7, v1
	s_add_u32 s0, s0, 8
	s_addc_u32 s1, s1, 0
	s_add_i32 s4, s4, -1
	v_add_u32_e32 v3, v1, v3
	v_lshrrev_b32_e32 v4, s5, v3
	v_mul_lo_u32 v3, v4, s6
	s_cmp_lg_u32 s4, 0
	v_sub_u32_e32 v3, v1, v3
	v_mad_u64_u32 v[0:1], s[6:7], v3, s8, v[0:1]
	v_mad_u64_u32 v[2:3], s[6:7], v3, s9, v[2:3]
	v_mov_b32_e32 v1, v4
	s_cbranch_scc1 .LBB13_105
.LBB13_106:
	s_cbranch_execnz .LBB13_109
.LBB13_107:
	s_waitcnt lgkmcnt(0)
	v_mul_hi_u32 v0, s25, v7
	s_andn2_b64 vcc, exec, s[42:43]
	v_add_u32_e32 v0, v7, v0
	v_lshrrev_b32_e32 v1, s26, v0
	v_mul_lo_u32 v0, v1, s24
	v_sub_u32_e32 v2, v7, v0
	v_mul_lo_u32 v0, v2, s20
	v_mul_lo_u32 v2, v2, s21
	s_cbranch_vccnz .LBB13_109
; %bb.108:
	v_mul_hi_u32 v3, s40, v1
	v_add_u32_e32 v3, v1, v3
	v_lshrrev_b32_e32 v3, s41, v3
	v_mul_lo_u32 v3, v3, s27
	v_sub_u32_e32 v3, v1, v3
	v_mad_u64_u32 v[0:1], s[0:1], v3, s22, v[0:1]
	v_mad_u64_u32 v[2:3], s[0:1], v3, s23, v[2:3]
.LBB13_109:
	s_waitcnt lgkmcnt(0)
	global_load_dword v1, v2, s[18:19]
	v_add_u32_e32 v7, 0x80, v7
	s_waitcnt vmcnt(0)
	v_cmp_nge_f32_e64 s[0:1], v1, -s55
	v_cmp_nge_f32_e32 vcc, s55, v1
	s_or_b64 vcc, s[0:1], vcc
	v_cndmask_b32_e32 v1, 0, v1, vcc
	global_store_dword v0, v1, s[16:17]
	s_or_b64 exec, exec, s[48:49]
	v_cmp_gt_i32_e32 vcc, s56, v7
	s_and_saveexec_b64 s[48:49], vcc
	s_cbranch_execz .LBB13_100
.LBB13_110:
	s_andn2_b64 vcc, exec, s[36:37]
	s_cbranch_vccnz .LBB13_115
; %bb.111:
	s_andn2_b64 vcc, exec, s[46:47]
	s_cbranch_vccnz .LBB13_116
; %bb.112:
	s_add_i32 s57, s57, 1
	s_cmp_eq_u32 s54, 2
	s_cbranch_scc1 .LBB13_117
; %bb.113:
	s_and_b32 s50, s57, 28
	v_mov_b32_e32 v2, 0
	s_mov_b32 s51, 0
	s_mov_b64 s[46:47], s[34:35]
	v_mov_b32_e32 v0, 0
	v_mov_b32_e32 v1, v7
.LBB13_114:                             ; =>This Inner Loop Header: Depth=1
	s_load_dwordx8 s[8:15], s[46:47], 0x4
	s_load_dwordx4 s[28:31], s[46:47], 0x24
	s_load_dwordx8 s[0:7], s[44:45], 0x0
	s_add_u32 s46, s46, 48
	s_addc_u32 s47, s47, 0
	s_waitcnt lgkmcnt(0)
	v_mul_hi_u32 v3, s9, v1
	s_add_i32 s51, s51, 4
	s_add_u32 s44, s44, 32
	s_addc_u32 s45, s45, 0
	v_add_u32_e32 v3, v1, v3
	v_lshrrev_b32_e32 v3, s10, v3
	v_mul_lo_u32 v4, v3, s8
	v_mul_hi_u32 v5, s12, v3
	s_cmp_eq_u32 s50, s51
	v_sub_u32_e32 v1, v1, v4
	v_add_u32_e32 v4, v3, v5
	v_mul_lo_u32 v5, v1, s0
	v_mul_lo_u32 v6, v1, s1
	v_lshrrev_b32_e32 v1, s13, v4
	v_mul_lo_u32 v4, v1, s11
	v_mul_hi_u32 v8, s15, v1
	v_sub_u32_e32 v3, v3, v4
	v_add_u32_e32 v4, v1, v8
	v_lshrrev_b32_e32 v4, s28, v4
	v_mul_hi_u32 v9, s30, v4
	v_mul_lo_u32 v10, v4, s14
	v_mul_lo_u32 v8, v3, s2
	;; [unrolled: 1-line block ×3, first 2 shown]
	v_sub_u32_e32 v10, v1, v10
	v_add_u32_e32 v1, v4, v9
	v_lshrrev_b32_e32 v1, s31, v1
	v_mul_lo_u32 v9, v1, s29
	v_mul_lo_u32 v11, v10, s4
	;; [unrolled: 1-line block ×3, first 2 shown]
	v_add3_u32 v0, v5, v0, v8
	v_sub_u32_e32 v4, v4, v9
	v_mul_lo_u32 v9, v4, s6
	v_mul_lo_u32 v4, v4, s7
	v_add3_u32 v2, v6, v2, v3
	v_add3_u32 v0, v11, v0, v9
	;; [unrolled: 1-line block ×3, first 2 shown]
	s_cbranch_scc0 .LBB13_114
	s_branch .LBB13_118
.LBB13_115:
                                        ; implicit-def: $vgpr0
                                        ; implicit-def: $vgpr2
	s_branch .LBB13_122
.LBB13_116:
	v_mov_b32_e32 v0, 0
	v_mov_b32_e32 v2, 0
	s_branch .LBB13_121
.LBB13_117:
	s_mov_b32 s50, 0
	v_mov_b32_e32 v0, 0
	v_mov_b32_e32 v2, 0
	;; [unrolled: 1-line block ×3, first 2 shown]
.LBB13_118:
	s_and_b32 s4, s57, 3
	s_cmp_eq_u32 s4, 0
	s_cbranch_scc1 .LBB13_121
; %bb.119:
	s_lshl_b32 s0, s50, 3
	s_add_u32 s0, s34, s0
	s_addc_u32 s1, s35, 0
	s_add_u32 s0, s0, 0xc4
	s_addc_u32 s1, s1, 0
	s_mul_i32 s2, s50, 12
	s_add_u32 s2, s34, s2
	s_addc_u32 s3, s35, 0
.LBB13_120:                             ; =>This Inner Loop Header: Depth=1
	s_load_dwordx2 s[6:7], s[2:3], 0x4
	s_load_dword s5, s[2:3], 0xc
	s_load_dwordx2 s[8:9], s[0:1], 0x0
	s_add_u32 s2, s2, 12
	s_addc_u32 s3, s3, 0
	s_waitcnt lgkmcnt(0)
	v_mul_hi_u32 v3, s7, v1
	s_add_u32 s0, s0, 8
	s_addc_u32 s1, s1, 0
	s_add_i32 s4, s4, -1
	v_add_u32_e32 v3, v1, v3
	v_lshrrev_b32_e32 v4, s5, v3
	v_mul_lo_u32 v3, v4, s6
	s_cmp_lg_u32 s4, 0
	v_sub_u32_e32 v3, v1, v3
	v_mad_u64_u32 v[0:1], s[6:7], v3, s8, v[0:1]
	v_mad_u64_u32 v[2:3], s[6:7], v3, s9, v[2:3]
	v_mov_b32_e32 v1, v4
	s_cbranch_scc1 .LBB13_120
.LBB13_121:
	s_cbranch_execnz .LBB13_124
.LBB13_122:
	s_waitcnt lgkmcnt(0)
	v_mul_hi_u32 v0, s25, v7
	s_andn2_b64 vcc, exec, s[42:43]
	v_add_u32_e32 v0, v7, v0
	v_lshrrev_b32_e32 v1, s26, v0
	v_mul_lo_u32 v0, v1, s24
	v_sub_u32_e32 v2, v7, v0
	v_mul_lo_u32 v0, v2, s20
	v_mul_lo_u32 v2, v2, s21
	s_cbranch_vccnz .LBB13_124
; %bb.123:
	v_mul_hi_u32 v3, s40, v1
	v_add_u32_e32 v3, v1, v3
	v_lshrrev_b32_e32 v3, s41, v3
	v_mul_lo_u32 v3, v3, s27
	v_sub_u32_e32 v3, v1, v3
	v_mad_u64_u32 v[0:1], s[0:1], v3, s22, v[0:1]
	v_mad_u64_u32 v[2:3], s[0:1], v3, s23, v[2:3]
.LBB13_124:
	s_waitcnt lgkmcnt(0)
	global_load_dword v1, v2, s[18:19]
	s_waitcnt vmcnt(0)
	v_cmp_nge_f32_e64 s[0:1], v1, -s55
	v_cmp_nge_f32_e32 vcc, s55, v1
	s_or_b64 vcc, s[0:1], vcc
	v_cndmask_b32_e32 v1, 0, v1, vcc
	global_store_dword v0, v1, s[16:17]
	s_or_b64 exec, exec, s[48:49]
                                        ; implicit-def: $vgpr13
                                        ; implicit-def: $vgpr7
	s_andn2_saveexec_b64 s[0:1], s[38:39]
	s_cbranch_execz .LBB13_101
	s_branch .LBB13_8
	.section	.rodata,"a",@progbits
	.p2align	6, 0x0
	.amdhsa_kernel _ZN2at6native32elementwise_kernel_manual_unrollILi128ELi4EZNS0_22gpu_kernel_impl_nocastIZZZNS0_12_GLOBAL__N_117hardshrink_kernelERNS_18TensorIteratorBaseERKN3c106ScalarEENKUlvE_clEvENKUlvE0_clEvEUlfE_EEvS5_RKT_EUlibE_EEviT1_
		.amdhsa_group_segment_fixed_size 0
		.amdhsa_private_segment_fixed_size 0
		.amdhsa_kernarg_size 360
		.amdhsa_user_sgpr_count 6
		.amdhsa_user_sgpr_private_segment_buffer 1
		.amdhsa_user_sgpr_dispatch_ptr 0
		.amdhsa_user_sgpr_queue_ptr 0
		.amdhsa_user_sgpr_kernarg_segment_ptr 1
		.amdhsa_user_sgpr_dispatch_id 0
		.amdhsa_user_sgpr_flat_scratch_init 0
		.amdhsa_user_sgpr_private_segment_size 0
		.amdhsa_uses_dynamic_stack 0
		.amdhsa_system_sgpr_private_segment_wavefront_offset 0
		.amdhsa_system_sgpr_workgroup_id_x 1
		.amdhsa_system_sgpr_workgroup_id_y 0
		.amdhsa_system_sgpr_workgroup_id_z 0
		.amdhsa_system_sgpr_workgroup_info 0
		.amdhsa_system_vgpr_workitem_id 0
		.amdhsa_next_free_vgpr 18
		.amdhsa_next_free_sgpr 61
		.amdhsa_reserve_vcc 1
		.amdhsa_reserve_flat_scratch 0
		.amdhsa_float_round_mode_32 0
		.amdhsa_float_round_mode_16_64 0
		.amdhsa_float_denorm_mode_32 3
		.amdhsa_float_denorm_mode_16_64 3
		.amdhsa_dx10_clamp 1
		.amdhsa_ieee_mode 1
		.amdhsa_fp16_overflow 0
		.amdhsa_exception_fp_ieee_invalid_op 0
		.amdhsa_exception_fp_denorm_src 0
		.amdhsa_exception_fp_ieee_div_zero 0
		.amdhsa_exception_fp_ieee_overflow 0
		.amdhsa_exception_fp_ieee_underflow 0
		.amdhsa_exception_fp_ieee_inexact 0
		.amdhsa_exception_int_div_zero 0
	.end_amdhsa_kernel
	.section	.text._ZN2at6native32elementwise_kernel_manual_unrollILi128ELi4EZNS0_22gpu_kernel_impl_nocastIZZZNS0_12_GLOBAL__N_117hardshrink_kernelERNS_18TensorIteratorBaseERKN3c106ScalarEENKUlvE_clEvENKUlvE0_clEvEUlfE_EEvS5_RKT_EUlibE_EEviT1_,"axG",@progbits,_ZN2at6native32elementwise_kernel_manual_unrollILi128ELi4EZNS0_22gpu_kernel_impl_nocastIZZZNS0_12_GLOBAL__N_117hardshrink_kernelERNS_18TensorIteratorBaseERKN3c106ScalarEENKUlvE_clEvENKUlvE0_clEvEUlfE_EEvS5_RKT_EUlibE_EEviT1_,comdat
.Lfunc_end13:
	.size	_ZN2at6native32elementwise_kernel_manual_unrollILi128ELi4EZNS0_22gpu_kernel_impl_nocastIZZZNS0_12_GLOBAL__N_117hardshrink_kernelERNS_18TensorIteratorBaseERKN3c106ScalarEENKUlvE_clEvENKUlvE0_clEvEUlfE_EEvS5_RKT_EUlibE_EEviT1_, .Lfunc_end13-_ZN2at6native32elementwise_kernel_manual_unrollILi128ELi4EZNS0_22gpu_kernel_impl_nocastIZZZNS0_12_GLOBAL__N_117hardshrink_kernelERNS_18TensorIteratorBaseERKN3c106ScalarEENKUlvE_clEvENKUlvE0_clEvEUlfE_EEvS5_RKT_EUlibE_EEviT1_
                                        ; -- End function
	.set _ZN2at6native32elementwise_kernel_manual_unrollILi128ELi4EZNS0_22gpu_kernel_impl_nocastIZZZNS0_12_GLOBAL__N_117hardshrink_kernelERNS_18TensorIteratorBaseERKN3c106ScalarEENKUlvE_clEvENKUlvE0_clEvEUlfE_EEvS5_RKT_EUlibE_EEviT1_.num_vgpr, 18
	.set _ZN2at6native32elementwise_kernel_manual_unrollILi128ELi4EZNS0_22gpu_kernel_impl_nocastIZZZNS0_12_GLOBAL__N_117hardshrink_kernelERNS_18TensorIteratorBaseERKN3c106ScalarEENKUlvE_clEvENKUlvE0_clEvEUlfE_EEvS5_RKT_EUlibE_EEviT1_.num_agpr, 0
	.set _ZN2at6native32elementwise_kernel_manual_unrollILi128ELi4EZNS0_22gpu_kernel_impl_nocastIZZZNS0_12_GLOBAL__N_117hardshrink_kernelERNS_18TensorIteratorBaseERKN3c106ScalarEENKUlvE_clEvENKUlvE0_clEvEUlfE_EEvS5_RKT_EUlibE_EEviT1_.numbered_sgpr, 61
	.set _ZN2at6native32elementwise_kernel_manual_unrollILi128ELi4EZNS0_22gpu_kernel_impl_nocastIZZZNS0_12_GLOBAL__N_117hardshrink_kernelERNS_18TensorIteratorBaseERKN3c106ScalarEENKUlvE_clEvENKUlvE0_clEvEUlfE_EEvS5_RKT_EUlibE_EEviT1_.num_named_barrier, 0
	.set _ZN2at6native32elementwise_kernel_manual_unrollILi128ELi4EZNS0_22gpu_kernel_impl_nocastIZZZNS0_12_GLOBAL__N_117hardshrink_kernelERNS_18TensorIteratorBaseERKN3c106ScalarEENKUlvE_clEvENKUlvE0_clEvEUlfE_EEvS5_RKT_EUlibE_EEviT1_.private_seg_size, 0
	.set _ZN2at6native32elementwise_kernel_manual_unrollILi128ELi4EZNS0_22gpu_kernel_impl_nocastIZZZNS0_12_GLOBAL__N_117hardshrink_kernelERNS_18TensorIteratorBaseERKN3c106ScalarEENKUlvE_clEvENKUlvE0_clEvEUlfE_EEvS5_RKT_EUlibE_EEviT1_.uses_vcc, 1
	.set _ZN2at6native32elementwise_kernel_manual_unrollILi128ELi4EZNS0_22gpu_kernel_impl_nocastIZZZNS0_12_GLOBAL__N_117hardshrink_kernelERNS_18TensorIteratorBaseERKN3c106ScalarEENKUlvE_clEvENKUlvE0_clEvEUlfE_EEvS5_RKT_EUlibE_EEviT1_.uses_flat_scratch, 0
	.set _ZN2at6native32elementwise_kernel_manual_unrollILi128ELi4EZNS0_22gpu_kernel_impl_nocastIZZZNS0_12_GLOBAL__N_117hardshrink_kernelERNS_18TensorIteratorBaseERKN3c106ScalarEENKUlvE_clEvENKUlvE0_clEvEUlfE_EEvS5_RKT_EUlibE_EEviT1_.has_dyn_sized_stack, 0
	.set _ZN2at6native32elementwise_kernel_manual_unrollILi128ELi4EZNS0_22gpu_kernel_impl_nocastIZZZNS0_12_GLOBAL__N_117hardshrink_kernelERNS_18TensorIteratorBaseERKN3c106ScalarEENKUlvE_clEvENKUlvE0_clEvEUlfE_EEvS5_RKT_EUlibE_EEviT1_.has_recursion, 0
	.set _ZN2at6native32elementwise_kernel_manual_unrollILi128ELi4EZNS0_22gpu_kernel_impl_nocastIZZZNS0_12_GLOBAL__N_117hardshrink_kernelERNS_18TensorIteratorBaseERKN3c106ScalarEENKUlvE_clEvENKUlvE0_clEvEUlfE_EEvS5_RKT_EUlibE_EEviT1_.has_indirect_call, 0
	.section	.AMDGPU.csdata,"",@progbits
; Kernel info:
; codeLenInByte = 5868
; TotalNumSgprs: 65
; NumVgprs: 18
; ScratchSize: 0
; MemoryBound: 0
; FloatMode: 240
; IeeeMode: 1
; LDSByteSize: 0 bytes/workgroup (compile time only)
; SGPRBlocks: 8
; VGPRBlocks: 4
; NumSGPRsForWavesPerEU: 65
; NumVGPRsForWavesPerEU: 18
; Occupancy: 10
; WaveLimiterHint : 1
; COMPUTE_PGM_RSRC2:SCRATCH_EN: 0
; COMPUTE_PGM_RSRC2:USER_SGPR: 6
; COMPUTE_PGM_RSRC2:TRAP_HANDLER: 0
; COMPUTE_PGM_RSRC2:TGID_X_EN: 1
; COMPUTE_PGM_RSRC2:TGID_Y_EN: 0
; COMPUTE_PGM_RSRC2:TGID_Z_EN: 0
; COMPUTE_PGM_RSRC2:TIDIG_COMP_CNT: 0
	.section	.text._ZN2at6native32elementwise_kernel_manual_unrollILi128ELi4EZNS0_15gpu_kernel_implIZZZNS0_12_GLOBAL__N_117hardshrink_kernelERNS_18TensorIteratorBaseERKN3c106ScalarEENKUlvE_clEvENKUlvE0_clEvEUlfE_EEvS5_RKT_EUlibE_EEviT1_,"axG",@progbits,_ZN2at6native32elementwise_kernel_manual_unrollILi128ELi4EZNS0_15gpu_kernel_implIZZZNS0_12_GLOBAL__N_117hardshrink_kernelERNS_18TensorIteratorBaseERKN3c106ScalarEENKUlvE_clEvENKUlvE0_clEvEUlfE_EEvS5_RKT_EUlibE_EEviT1_,comdat
	.globl	_ZN2at6native32elementwise_kernel_manual_unrollILi128ELi4EZNS0_15gpu_kernel_implIZZZNS0_12_GLOBAL__N_117hardshrink_kernelERNS_18TensorIteratorBaseERKN3c106ScalarEENKUlvE_clEvENKUlvE0_clEvEUlfE_EEvS5_RKT_EUlibE_EEviT1_ ; -- Begin function _ZN2at6native32elementwise_kernel_manual_unrollILi128ELi4EZNS0_15gpu_kernel_implIZZZNS0_12_GLOBAL__N_117hardshrink_kernelERNS_18TensorIteratorBaseERKN3c106ScalarEENKUlvE_clEvENKUlvE0_clEvEUlfE_EEvS5_RKT_EUlibE_EEviT1_
	.p2align	8
	.type	_ZN2at6native32elementwise_kernel_manual_unrollILi128ELi4EZNS0_15gpu_kernel_implIZZZNS0_12_GLOBAL__N_117hardshrink_kernelERNS_18TensorIteratorBaseERKN3c106ScalarEENKUlvE_clEvENKUlvE0_clEvEUlfE_EEvS5_RKT_EUlibE_EEviT1_,@function
_ZN2at6native32elementwise_kernel_manual_unrollILi128ELi4EZNS0_15gpu_kernel_implIZZZNS0_12_GLOBAL__N_117hardshrink_kernelERNS_18TensorIteratorBaseERKN3c106ScalarEENKUlvE_clEvENKUlvE0_clEvEUlfE_EEvS5_RKT_EUlibE_EEviT1_: ; @_ZN2at6native32elementwise_kernel_manual_unrollILi128ELi4EZNS0_15gpu_kernel_implIZZZNS0_12_GLOBAL__N_117hardshrink_kernelERNS_18TensorIteratorBaseERKN3c106ScalarEENKUlvE_clEvENKUlvE0_clEvEUlfE_EEvS5_RKT_EUlibE_EEviT1_
; %bb.0:
	s_load_dword s33, s[4:5], 0x24
	s_load_dword s40, s[4:5], 0x0
	s_load_dwordx8 s[8:15], s[4:5], 0x8
	v_lshl_or_b32 v4, s6, 9, v0
	v_or_b32_e32 v0, 0x180, v4
	s_waitcnt lgkmcnt(0)
	s_bfe_u32 s15, s33, 0x80008
	v_cmp_le_i32_e32 vcc, s40, v0
	s_mov_b64 s[2:3], 0
	s_mov_b64 s[6:7], 0
	s_and_saveexec_b64 s[0:1], vcc
	s_xor_b64 s[4:5], exec, s[0:1]
	s_cbranch_execz .LBB14_1027
; %bb.1:
	v_cmp_gt_i32_e32 vcc, s40, v4
	s_mov_b64 s[20:21], -1
	s_mov_b64 s[22:23], 0
	s_mov_b64 s[16:17], 0
	s_and_saveexec_b64 s[18:19], vcc
	s_cbranch_execz .LBB14_252
; %bb.2:
	v_mul_lo_u32 v0, v4, s13
	v_mov_b32_e32 v1, s11
	s_and_b32 s24, 0xffff, s15
	s_cmp_lt_i32 s24, 11
	v_ashrrev_i32_e32 v2, 31, v0
	v_add_co_u32_e32 v0, vcc, s10, v0
	v_addc_co_u32_e32 v1, vcc, v1, v2, vcc
	s_cbranch_scc1 .LBB14_9
; %bb.3:
	s_cmp_gt_i32 s24, 25
	s_cbranch_scc0 .LBB14_18
; %bb.4:
	s_cmp_gt_i32 s24, 28
	s_cbranch_scc0 .LBB14_22
	;; [unrolled: 3-line block ×4, first 2 shown]
; %bb.7:
	s_cmp_eq_u32 s24, 46
	s_cbranch_scc0 .LBB14_28
; %bb.8:
	global_load_dword v2, v[0:1], off
	s_mov_b64 s[0:1], -1
	s_waitcnt vmcnt(0)
	v_lshlrev_b32_e32 v2, 16, v2
	s_branch .LBB14_30
.LBB14_9:
                                        ; implicit-def: $vgpr2
	s_mov_b64 s[0:1], 0
	s_cbranch_execnz .LBB14_203
.LBB14_10:
	s_andn2_b64 vcc, exec, s[0:1]
	s_cbranch_vccnz .LBB14_250
.LBB14_11:
	v_mul_lo_u32 v0, v4, s12
	s_waitcnt vmcnt(0)
	v_cmp_nge_f32_e64 s[0:1], v2, -s14
	v_cmp_nge_f32_e32 vcc, s14, v2
	s_or_b64 vcc, s[0:1], vcc
	v_cndmask_b32_e32 v2, 0, v2, vcc
	v_ashrrev_i32_e32 v1, 31, v0
	v_mov_b32_e32 v3, s9
	s_and_b32 s26, s33, 0xff
	v_add_co_u32_e32 v0, vcc, s8, v0
	s_cmp_lt_i32 s26, 11
	v_addc_co_u32_e32 v1, vcc, v3, v1, vcc
	s_cbranch_scc1 .LBB14_19
; %bb.12:
	s_and_b32 s27, 0xffff, s26
	s_cmp_gt_i32 s27, 25
	s_cbranch_scc0 .LBB14_23
; %bb.13:
	s_cmp_gt_i32 s27, 28
	s_cbranch_scc0 .LBB14_25
; %bb.14:
	;; [unrolled: 3-line block ×4, first 2 shown]
	s_mov_b64 s[20:21], 0
	s_mov_b64 s[0:1], -1
	s_cmp_eq_u32 s27, 46
	s_mov_b64 s[6:7], 0
	s_cbranch_scc0 .LBB14_34
; %bb.17:
	v_bfe_u32 v3, v2, 16, 1
	s_movk_i32 s0, 0x7fff
	v_add3_u32 v3, v2, v3, s0
	v_cmp_o_f32_e32 vcc, v2, v2
	v_mov_b32_e32 v5, 0x7fc0
	v_cndmask_b32_sdwa v3, v5, v3, vcc dst_sel:DWORD dst_unused:UNUSED_PAD src0_sel:DWORD src1_sel:WORD_1
	global_store_dword v[0:1], v3, off
	s_mov_b64 s[6:7], -1
	s_mov_b64 s[0:1], 0
	s_branch .LBB14_34
.LBB14_18:
	s_mov_b64 s[0:1], 0
                                        ; implicit-def: $vgpr2
	s_cbranch_execnz .LBB14_168
	s_branch .LBB14_202
.LBB14_19:
	s_mov_b64 s[0:1], 0
	s_mov_b64 s[6:7], 0
	s_cbranch_execnz .LBB14_103
.LBB14_20:
	s_andn2_b64 vcc, exec, s[6:7]
	s_cbranch_vccnz .LBB14_141
.LBB14_21:
	v_add_u32_e32 v4, 0x80, v4
	s_mov_b64 s[20:21], -1
	s_branch .LBB14_251
.LBB14_22:
	s_mov_b64 s[6:7], -1
	s_mov_b64 s[0:1], 0
                                        ; implicit-def: $vgpr2
	s_branch .LBB14_149
.LBB14_23:
	s_mov_b64 s[20:21], -1
	s_mov_b64 s[0:1], 0
	s_mov_b64 s[6:7], 0
	s_branch .LBB14_61
.LBB14_24:
	s_mov_b64 s[6:7], -1
	s_mov_b64 s[0:1], 0
                                        ; implicit-def: $vgpr2
	s_branch .LBB14_144
.LBB14_25:
	s_mov_b64 s[20:21], -1
	s_mov_b64 s[0:1], 0
	s_mov_b64 s[6:7], 0
	s_branch .LBB14_44
.LBB14_26:
	s_mov_b64 s[6:7], -1
	s_branch .LBB14_29
.LBB14_27:
	s_mov_b64 s[20:21], -1
	s_mov_b64 s[0:1], 0
	s_mov_b64 s[6:7], 0
	s_branch .LBB14_40
.LBB14_28:
	s_mov_b64 s[16:17], -1
.LBB14_29:
	s_mov_b64 s[0:1], 0
                                        ; implicit-def: $vgpr2
.LBB14_30:
	s_and_b64 vcc, exec, s[6:7]
	s_cbranch_vccz .LBB14_143
; %bb.31:
	s_cmp_eq_u32 s24, 44
	s_cbranch_scc0 .LBB14_142
; %bb.32:
	global_load_ubyte v2, v[0:1], off
	s_movk_i32 s6, 0xff
	v_mov_b32_e32 v3, 0x7f800001
	v_mov_b32_e32 v5, 0x400000
	s_mov_b64 s[0:1], -1
	s_mov_b64 s[16:17], 0
	s_waitcnt vmcnt(0)
	v_lshlrev_b32_e32 v6, 23, v2
	v_cmp_ne_u32_e32 vcc, s6, v2
	v_cndmask_b32_e32 v3, v3, v6, vcc
	v_cmp_ne_u32_e32 vcc, 0, v2
	v_cndmask_b32_e32 v2, v5, v3, vcc
	s_branch .LBB14_143
.LBB14_33:
	s_mov_b64 s[20:21], -1
	s_mov_b64 s[0:1], 0
	s_mov_b64 s[6:7], 0
.LBB14_34:
	s_and_b64 vcc, exec, s[20:21]
	s_cbranch_vccz .LBB14_39
; %bb.35:
	s_cmp_eq_u32 s27, 44
	s_mov_b64 s[0:1], -1
	s_cbranch_scc0 .LBB14_39
; %bb.36:
	v_bfe_u32 v3, v2, 23, 8
	s_movk_i32 s0, 0xff
	v_cmp_ne_u32_e32 vcc, s0, v3
	v_mov_b32_e32 v5, 0xff
	s_and_saveexec_b64 s[6:7], vcc
; %bb.37:
	s_mov_b32 s0, 0x3fffff
	v_and_b32_e32 v6, 0x400000, v2
	v_and_or_b32 v3, v2, s0, v3
	v_cmp_ne_u32_e32 vcc, 0, v6
	v_cmp_ne_u32_e64 s[0:1], 0, v3
	s_and_b64 s[0:1], vcc, s[0:1]
	v_lshrrev_b32_e32 v5, 23, v2
	v_cndmask_b32_e64 v3, 0, 1, s[0:1]
	v_add_u32_e32 v5, v5, v3
; %bb.38:
	s_or_b64 exec, exec, s[6:7]
	s_mov_b64 s[6:7], -1
	s_mov_b64 s[0:1], 0
	global_store_byte v[0:1], v5, off
.LBB14_39:
	s_mov_b64 s[20:21], 0
.LBB14_40:
	s_and_b64 vcc, exec, s[20:21]
	s_cbranch_vccz .LBB14_43
; %bb.41:
	s_cmp_eq_u32 s27, 29
	s_mov_b64 s[0:1], -1
	s_cbranch_scc0 .LBB14_43
; %bb.42:
	v_trunc_f32_e32 v3, v2
	v_mul_f32_e32 v5, 0x2f800000, v3
	v_floor_f32_e32 v5, v5
	v_fmac_f32_e32 v3, 0xcf800000, v5
	v_cvt_u32_f32_e32 v6, v5
	v_cvt_u32_f32_e32 v5, v3
	s_mov_b64 s[6:7], -1
	s_mov_b64 s[0:1], 0
	s_mov_b64 s[20:21], 0
	global_store_dwordx2 v[0:1], v[5:6], off
	s_branch .LBB14_44
.LBB14_43:
	s_mov_b64 s[20:21], 0
.LBB14_44:
	s_and_b64 vcc, exec, s[20:21]
	s_cbranch_vccz .LBB14_60
; %bb.45:
	s_cmp_lt_i32 s27, 27
	s_mov_b64 s[6:7], -1
	s_cbranch_scc1 .LBB14_51
; %bb.46:
	v_cvt_u32_f32_e32 v3, v2
	s_cmp_gt_i32 s27, 27
	s_cbranch_scc0 .LBB14_48
; %bb.47:
	s_mov_b64 s[6:7], 0
	global_store_dword v[0:1], v3, off
.LBB14_48:
	s_andn2_b64 vcc, exec, s[6:7]
	s_cbranch_vccnz .LBB14_50
; %bb.49:
	global_store_short v[0:1], v3, off
.LBB14_50:
	s_mov_b64 s[6:7], 0
.LBB14_51:
	s_andn2_b64 vcc, exec, s[6:7]
	s_cbranch_vccnz .LBB14_59
; %bb.52:
	v_and_b32_e32 v3, 0x7fffffff, v2
	s_mov_b32 s6, 0x43800000
	v_cmp_gt_u32_e32 vcc, s6, v3
	v_mov_b32_e32 v5, 0x80
	s_and_saveexec_b64 s[6:7], vcc
	s_cbranch_execz .LBB14_58
; %bb.53:
	s_mov_b32 s20, 0x3bffffff
	v_cmp_lt_u32_e32 vcc, s20, v3
	s_mov_b64 s[20:21], 0
                                        ; implicit-def: $vgpr3
	s_and_saveexec_b64 s[24:25], vcc
	s_xor_b64 s[24:25], exec, s[24:25]
	s_cbranch_execz .LBB14_279
; %bb.54:
	v_bfe_u32 v3, v2, 20, 1
	s_mov_b32 s28, 0x487ffff
	v_add3_u32 v3, v2, v3, s28
	s_mov_b64 s[20:21], exec
	v_lshrrev_b32_e32 v3, 20, v3
	s_andn2_saveexec_b64 s[24:25], s[24:25]
	s_cbranch_execnz .LBB14_280
.LBB14_55:
	s_or_b64 exec, exec, s[24:25]
	v_mov_b32_e32 v5, 0
	s_and_saveexec_b64 s[24:25], s[20:21]
.LBB14_56:
	v_lshrrev_b32_e32 v5, 24, v2
	s_movk_i32 s20, 0x80
	v_and_or_b32 v5, v5, s20, v3
.LBB14_57:
	s_or_b64 exec, exec, s[24:25]
.LBB14_58:
	s_or_b64 exec, exec, s[6:7]
	global_store_byte v[0:1], v5, off
.LBB14_59:
	s_mov_b64 s[6:7], -1
.LBB14_60:
	s_mov_b64 s[20:21], 0
.LBB14_61:
	s_and_b64 vcc, exec, s[20:21]
	s_cbranch_vccz .LBB14_102
; %bb.62:
	s_cmp_gt_i32 s27, 22
	s_mov_b64 s[20:21], -1
	s_cbranch_scc0 .LBB14_94
; %bb.63:
	s_cmp_lt_i32 s27, 24
	s_mov_b64 s[6:7], -1
	s_cbranch_scc1 .LBB14_83
; %bb.64:
	s_cmp_gt_i32 s27, 24
	s_cbranch_scc0 .LBB14_72
; %bb.65:
	v_and_b32_e32 v3, 0x7fffffff, v2
	s_mov_b32 s6, 0x47800000
	v_cmp_gt_u32_e32 vcc, s6, v3
	v_mov_b32_e32 v5, 0x80
	s_and_saveexec_b64 s[6:7], vcc
	s_cbranch_execz .LBB14_71
; %bb.66:
	s_mov_b32 s20, 0x37ffffff
	v_cmp_lt_u32_e32 vcc, s20, v3
	s_mov_b64 s[20:21], 0
                                        ; implicit-def: $vgpr3
	s_and_saveexec_b64 s[24:25], vcc
	s_xor_b64 s[24:25], exec, s[24:25]
	s_cbranch_execz .LBB14_283
; %bb.67:
	v_bfe_u32 v3, v2, 21, 1
	s_mov_b32 s28, 0x88fffff
	v_add3_u32 v3, v2, v3, s28
	s_mov_b64 s[20:21], exec
	v_lshrrev_b32_e32 v3, 21, v3
	s_andn2_saveexec_b64 s[24:25], s[24:25]
	s_cbranch_execnz .LBB14_284
.LBB14_68:
	s_or_b64 exec, exec, s[24:25]
	v_mov_b32_e32 v5, 0
	s_and_saveexec_b64 s[24:25], s[20:21]
.LBB14_69:
	v_lshrrev_b32_e32 v5, 24, v2
	s_movk_i32 s20, 0x80
	v_and_or_b32 v5, v5, s20, v3
.LBB14_70:
	s_or_b64 exec, exec, s[24:25]
.LBB14_71:
	s_or_b64 exec, exec, s[6:7]
	s_mov_b64 s[6:7], 0
	global_store_byte v[0:1], v5, off
.LBB14_72:
	s_and_b64 vcc, exec, s[6:7]
	s_cbranch_vccz .LBB14_82
; %bb.73:
	v_and_b32_e32 v5, 0x7fffffff, v2
	s_mov_b32 s6, 0x43f00000
	v_cmp_gt_u32_e32 vcc, s6, v5
                                        ; implicit-def: $vgpr3
	s_and_saveexec_b64 s[6:7], vcc
	s_xor_b64 s[6:7], exec, s[6:7]
	s_cbranch_execz .LBB14_79
; %bb.74:
	s_mov_b32 s20, 0x3c7fffff
	v_cmp_lt_u32_e32 vcc, s20, v5
                                        ; implicit-def: $vgpr3
	s_and_saveexec_b64 s[20:21], vcc
	s_xor_b64 s[20:21], exec, s[20:21]
; %bb.75:
	v_bfe_u32 v3, v2, 20, 1
	s_mov_b32 s24, 0x407ffff
	v_add3_u32 v3, v2, v3, s24
	v_lshrrev_b32_e32 v5, 20, v3
	v_and_b32_e32 v3, 0xff00000, v3
	s_mov_b32 s24, 0x7f00000
	v_mov_b32_e32 v6, 0x7e
	v_cmp_ne_u32_e32 vcc, s24, v3
	v_cndmask_b32_e32 v3, v6, v5, vcc
; %bb.76:
	s_andn2_saveexec_b64 s[20:21], s[20:21]
; %bb.77:
	s_mov_b32 s24, 0x46800000
	v_add_f32_e64 v3, |v2|, s24
; %bb.78:
	s_or_b64 exec, exec, s[20:21]
                                        ; implicit-def: $vgpr5
.LBB14_79:
	s_andn2_saveexec_b64 s[6:7], s[6:7]
; %bb.80:
	s_mov_b32 s20, 0x7f800000
	v_mov_b32_e32 v3, 0x7e
	v_mov_b32_e32 v6, 0x7f
	v_cmp_lt_u32_e32 vcc, s20, v5
	v_cndmask_b32_e32 v3, v3, v6, vcc
; %bb.81:
	s_or_b64 exec, exec, s[6:7]
	v_lshrrev_b32_e32 v5, 24, v2
	s_movk_i32 s6, 0x80
	v_and_or_b32 v3, v5, s6, v3
	global_store_byte v[0:1], v3, off
.LBB14_82:
	s_mov_b64 s[6:7], 0
.LBB14_83:
	s_andn2_b64 vcc, exec, s[6:7]
	s_cbranch_vccnz .LBB14_93
; %bb.84:
	v_and_b32_e32 v5, 0x7fffffff, v2
	s_mov_b32 s6, 0x47800000
	v_cmp_gt_u32_e32 vcc, s6, v5
                                        ; implicit-def: $vgpr3
	s_and_saveexec_b64 s[6:7], vcc
	s_xor_b64 s[6:7], exec, s[6:7]
	s_cbranch_execz .LBB14_90
; %bb.85:
	s_mov_b32 s20, 0x387fffff
	v_cmp_lt_u32_e32 vcc, s20, v5
                                        ; implicit-def: $vgpr3
	s_and_saveexec_b64 s[20:21], vcc
	s_xor_b64 s[20:21], exec, s[20:21]
; %bb.86:
	v_bfe_u32 v3, v2, 21, 1
	s_mov_b32 s24, 0x80fffff
	v_add3_u32 v3, v2, v3, s24
	v_lshrrev_b32_e32 v3, 21, v3
; %bb.87:
	s_andn2_saveexec_b64 s[20:21], s[20:21]
; %bb.88:
	s_mov_b32 s24, 0x43000000
	v_add_f32_e64 v3, |v2|, s24
; %bb.89:
	s_or_b64 exec, exec, s[20:21]
                                        ; implicit-def: $vgpr5
.LBB14_90:
	s_andn2_saveexec_b64 s[6:7], s[6:7]
; %bb.91:
	s_mov_b32 s20, 0x7f800000
	v_mov_b32_e32 v3, 0x7c
	v_mov_b32_e32 v6, 0x7f
	v_cmp_lt_u32_e32 vcc, s20, v5
	v_cndmask_b32_e32 v3, v3, v6, vcc
; %bb.92:
	s_or_b64 exec, exec, s[6:7]
	v_lshrrev_b32_e32 v5, 24, v2
	s_movk_i32 s6, 0x80
	v_and_or_b32 v3, v5, s6, v3
	global_store_byte v[0:1], v3, off
.LBB14_93:
	s_mov_b64 s[20:21], 0
	s_mov_b64 s[6:7], -1
.LBB14_94:
	s_andn2_b64 vcc, exec, s[20:21]
	s_cbranch_vccnz .LBB14_102
; %bb.95:
	s_cmp_gt_i32 s27, 14
	s_mov_b64 s[20:21], -1
	s_cbranch_scc0 .LBB14_99
; %bb.96:
	s_cmp_eq_u32 s27, 15
	s_mov_b64 s[0:1], -1
	s_cbranch_scc0 .LBB14_98
; %bb.97:
	v_bfe_u32 v3, v2, 16, 1
	s_movk_i32 s0, 0x7fff
	v_add3_u32 v3, v2, v3, s0
	v_cmp_o_f32_e32 vcc, v2, v2
	v_mov_b32_e32 v5, 0x7fc0
	v_cndmask_b32_sdwa v3, v5, v3, vcc dst_sel:DWORD dst_unused:UNUSED_PAD src0_sel:DWORD src1_sel:WORD_1
	global_store_short v[0:1], v3, off
	s_mov_b64 s[6:7], -1
	s_mov_b64 s[0:1], 0
.LBB14_98:
	s_mov_b64 s[20:21], 0
.LBB14_99:
	s_and_b64 vcc, exec, s[20:21]
	s_cbranch_vccz .LBB14_102
; %bb.100:
	s_cmp_eq_u32 s27, 11
	s_mov_b64 s[0:1], -1
	s_cbranch_scc0 .LBB14_102
; %bb.101:
	v_cmp_neq_f32_e32 vcc, 0, v2
	v_cndmask_b32_e64 v3, 0, 1, vcc
	s_mov_b64 s[6:7], -1
	s_mov_b64 s[0:1], 0
	global_store_byte v[0:1], v3, off
.LBB14_102:
	s_branch .LBB14_20
.LBB14_103:
	s_and_b32 s20, 0xffff, s26
	s_cmp_lt_i32 s20, 5
	s_mov_b64 s[6:7], -1
	s_cbranch_scc1 .LBB14_124
; %bb.104:
	s_cmp_lt_i32 s20, 8
	s_cbranch_scc1 .LBB14_114
; %bb.105:
	s_cmp_lt_i32 s20, 9
	s_cbranch_scc1 .LBB14_111
; %bb.106:
	s_cmp_gt_i32 s20, 9
	s_cbranch_scc0 .LBB14_108
; %bb.107:
	v_cvt_f64_f32_e32 v[5:6], v2
	v_mov_b32_e32 v7, 0
	v_mov_b32_e32 v8, v7
	s_mov_b64 s[6:7], 0
	global_store_dwordx4 v[0:1], v[5:8], off
.LBB14_108:
	s_andn2_b64 vcc, exec, s[6:7]
	s_cbranch_vccnz .LBB14_110
; %bb.109:
	v_mov_b32_e32 v3, 0
	global_store_dwordx2 v[0:1], v[2:3], off
.LBB14_110:
	s_mov_b64 s[6:7], 0
.LBB14_111:
	s_andn2_b64 vcc, exec, s[6:7]
	s_cbranch_vccnz .LBB14_113
; %bb.112:
	v_cvt_f16_f32_e32 v3, v2
	global_store_dword v[0:1], v3, off
.LBB14_113:
	s_mov_b64 s[6:7], 0
.LBB14_114:
	s_andn2_b64 vcc, exec, s[6:7]
	s_cbranch_vccnz .LBB14_123
; %bb.115:
	s_cmp_lt_i32 s20, 6
	s_mov_b64 s[6:7], -1
	s_cbranch_scc1 .LBB14_121
; %bb.116:
	s_cmp_gt_i32 s20, 6
	s_cbranch_scc0 .LBB14_118
; %bb.117:
	v_cvt_f64_f32_e32 v[5:6], v2
	s_mov_b64 s[6:7], 0
	global_store_dwordx2 v[0:1], v[5:6], off
.LBB14_118:
	s_andn2_b64 vcc, exec, s[6:7]
	s_cbranch_vccnz .LBB14_120
; %bb.119:
	global_store_dword v[0:1], v2, off
.LBB14_120:
	s_mov_b64 s[6:7], 0
.LBB14_121:
	s_andn2_b64 vcc, exec, s[6:7]
	s_cbranch_vccnz .LBB14_123
; %bb.122:
	v_cvt_f16_f32_e32 v3, v2
	global_store_short v[0:1], v3, off
.LBB14_123:
	s_mov_b64 s[6:7], 0
.LBB14_124:
	s_andn2_b64 vcc, exec, s[6:7]
	s_cbranch_vccnz .LBB14_140
; %bb.125:
	s_cmp_lt_i32 s20, 2
	s_mov_b64 s[6:7], -1
	s_cbranch_scc1 .LBB14_135
; %bb.126:
	s_cmp_lt_i32 s20, 3
	s_cbranch_scc1 .LBB14_132
; %bb.127:
	s_cmp_gt_i32 s20, 3
	s_cbranch_scc0 .LBB14_129
; %bb.128:
	v_trunc_f32_e32 v3, v2
	s_mov_b32 s6, 0x2f800000
	v_mul_f32_e64 v5, |v3|, s6
	v_floor_f32_e32 v5, v5
	s_mov_b32 s6, 0xcf800000
	v_cvt_u32_f32_e32 v6, v5
	v_fma_f32 v5, v5, s6, |v3|
	v_cvt_u32_f32_e32 v5, v5
	v_ashrrev_i32_e32 v3, 31, v3
	v_xor_b32_e32 v6, v6, v3
	s_mov_b64 s[6:7], 0
	v_xor_b32_e32 v5, v5, v3
	v_sub_co_u32_e32 v5, vcc, v5, v3
	v_subb_co_u32_e32 v6, vcc, v6, v3, vcc
	global_store_dwordx2 v[0:1], v[5:6], off
.LBB14_129:
	s_andn2_b64 vcc, exec, s[6:7]
	s_cbranch_vccnz .LBB14_131
; %bb.130:
	v_cvt_i32_f32_e32 v3, v2
	global_store_dword v[0:1], v3, off
.LBB14_131:
	s_mov_b64 s[6:7], 0
.LBB14_132:
	s_andn2_b64 vcc, exec, s[6:7]
	s_cbranch_vccnz .LBB14_134
; %bb.133:
	v_cvt_i32_f32_e32 v3, v2
	global_store_short v[0:1], v3, off
.LBB14_134:
	s_mov_b64 s[6:7], 0
.LBB14_135:
	s_andn2_b64 vcc, exec, s[6:7]
	s_cbranch_vccnz .LBB14_140
; %bb.136:
	s_cmp_gt_i32 s20, 0
	s_mov_b64 s[6:7], -1
	s_cbranch_scc0 .LBB14_138
; %bb.137:
	v_cvt_i32_f32_e32 v3, v2
	s_mov_b64 s[6:7], 0
	global_store_byte v[0:1], v3, off
.LBB14_138:
	s_andn2_b64 vcc, exec, s[6:7]
	s_cbranch_vccnz .LBB14_140
; %bb.139:
	v_trunc_f32_e32 v2, v2
	s_mov_b32 s6, 0x2f800000
	v_mul_f32_e64 v3, |v2|, s6
	v_floor_f32_e32 v3, v3
	s_mov_b32 s6, 0xcf800000
	v_fma_f32 v3, v3, s6, |v2|
	v_cvt_u32_f32_e32 v3, v3
	v_ashrrev_i32_e32 v2, 31, v2
	v_xor_b32_e32 v3, v3, v2
	v_sub_u32_e32 v2, v3, v2
	global_store_byte v[0:1], v2, off
.LBB14_140:
	s_branch .LBB14_21
.LBB14_141:
	s_mov_b64 s[20:21], 0
                                        ; implicit-def: $vgpr4
	s_branch .LBB14_251
.LBB14_142:
	s_mov_b64 s[16:17], -1
                                        ; implicit-def: $vgpr2
.LBB14_143:
	s_mov_b64 s[6:7], 0
.LBB14_144:
	s_and_b64 vcc, exec, s[6:7]
	s_cbranch_vccz .LBB14_148
; %bb.145:
	s_cmp_eq_u32 s24, 29
	s_cbranch_scc0 .LBB14_147
; %bb.146:
	global_load_dwordx2 v[2:3], v[0:1], off
	s_mov_b64 s[0:1], -1
	s_mov_b64 s[16:17], 0
	s_mov_b64 s[6:7], 0
	s_waitcnt vmcnt(0)
	v_ffbh_u32_e32 v5, v3
	v_min_u32_e32 v5, 32, v5
	v_lshlrev_b64 v[2:3], v5, v[2:3]
	v_min_u32_e32 v2, 1, v2
	v_or_b32_e32 v2, v3, v2
	v_cvt_f32_u32_e32 v2, v2
	v_sub_u32_e32 v3, 32, v5
	v_ldexp_f32 v2, v2, v3
	s_branch .LBB14_149
.LBB14_147:
	s_mov_b64 s[16:17], -1
                                        ; implicit-def: $vgpr2
.LBB14_148:
	s_mov_b64 s[6:7], 0
.LBB14_149:
	s_and_b64 vcc, exec, s[6:7]
	s_cbranch_vccz .LBB14_167
; %bb.150:
	s_cmp_lt_i32 s24, 27
	s_cbranch_scc1 .LBB14_153
; %bb.151:
	s_cmp_gt_i32 s24, 27
	s_cbranch_scc0 .LBB14_154
; %bb.152:
	global_load_dword v2, v[0:1], off
	s_mov_b64 s[0:1], 0
	s_waitcnt vmcnt(0)
	v_cvt_f32_u32_e32 v2, v2
	s_branch .LBB14_155
.LBB14_153:
	s_mov_b64 s[0:1], -1
                                        ; implicit-def: $vgpr2
	s_branch .LBB14_158
.LBB14_154:
	s_mov_b64 s[0:1], -1
                                        ; implicit-def: $vgpr2
.LBB14_155:
	s_andn2_b64 vcc, exec, s[0:1]
	s_cbranch_vccnz .LBB14_157
; %bb.156:
	global_load_ushort v2, v[0:1], off
	s_waitcnt vmcnt(0)
	v_cvt_f32_u32_e32 v2, v2
.LBB14_157:
	s_mov_b64 s[0:1], 0
.LBB14_158:
	s_andn2_b64 vcc, exec, s[0:1]
	s_cbranch_vccnz .LBB14_166
; %bb.159:
	global_load_ubyte v3, v[0:1], off
	s_movk_i32 s0, 0x7f
	s_waitcnt vmcnt(0)
	v_cmp_lt_i16_e32 vcc, s0, v3
	s_mov_b64 s[0:1], 0
	s_and_saveexec_b64 s[6:7], vcc
	s_xor_b64 s[6:7], exec, s[6:7]
	s_cbranch_execz .LBB14_179
; %bb.160:
	s_movk_i32 s0, 0x80
	v_cmp_eq_u16_e32 vcc, s0, v3
	s_mov_b64 s[0:1], -1
	s_and_saveexec_b64 s[20:21], vcc
; %bb.161:
	s_xor_b64 s[0:1], exec, -1
; %bb.162:
	s_or_b64 exec, exec, s[20:21]
	s_and_b64 s[0:1], s[0:1], exec
	s_or_saveexec_b64 s[6:7], s[6:7]
	v_mov_b32_e32 v2, 0x7f800001
	s_xor_b64 exec, exec, s[6:7]
	s_cbranch_execnz .LBB14_180
.LBB14_163:
	s_or_b64 exec, exec, s[6:7]
	s_and_saveexec_b64 s[6:7], s[0:1]
	s_cbranch_execz .LBB14_165
.LBB14_164:
	v_lshlrev_b32_e32 v2, 24, v3
	v_and_b32_e32 v3, 0xffff, v3
	v_and_b32_e32 v5, 7, v3
	v_ffbh_u32_e32 v7, v5
	v_min_u32_e32 v7, 32, v7
	v_subrev_u32_e32 v8, 28, v7
	v_bfe_u32 v6, v3, 3, 4
	v_lshlrev_b32_e32 v3, v8, v3
	v_sub_u32_e32 v7, 29, v7
	v_and_b32_e32 v3, 7, v3
	v_cmp_eq_u32_e32 vcc, 0, v6
	v_cndmask_b32_e32 v6, v6, v7, vcc
	v_cndmask_b32_e32 v3, v5, v3, vcc
	v_mov_b32_e32 v5, 0x3b800000
	v_lshlrev_b32_e32 v3, 20, v3
	v_and_b32_e32 v2, 0x80000000, v2
	v_lshl_add_u32 v5, v6, 23, v5
	v_or3_b32 v2, v2, v5, v3
.LBB14_165:
	s_or_b64 exec, exec, s[6:7]
.LBB14_166:
	s_mov_b64 s[0:1], -1
.LBB14_167:
	s_branch .LBB14_202
.LBB14_168:
	s_cmp_gt_i32 s24, 22
	s_cbranch_scc0 .LBB14_178
; %bb.169:
	s_cmp_lt_i32 s24, 24
	s_cbranch_scc1 .LBB14_181
; %bb.170:
	s_cmp_gt_i32 s24, 24
	s_cbranch_scc0 .LBB14_182
; %bb.171:
	global_load_ubyte v3, v[0:1], off
	s_movk_i32 s0, 0x7f
	s_waitcnt vmcnt(0)
	v_cmp_lt_i16_e32 vcc, s0, v3
	s_mov_b64 s[0:1], 0
	s_and_saveexec_b64 s[6:7], vcc
	s_xor_b64 s[6:7], exec, s[6:7]
	s_cbranch_execz .LBB14_194
; %bb.172:
	s_movk_i32 s0, 0x80
	v_cmp_eq_u16_e32 vcc, s0, v3
	s_mov_b64 s[0:1], -1
	s_and_saveexec_b64 s[20:21], vcc
; %bb.173:
	s_xor_b64 s[0:1], exec, -1
; %bb.174:
	s_or_b64 exec, exec, s[20:21]
	s_and_b64 s[0:1], s[0:1], exec
	s_or_saveexec_b64 s[6:7], s[6:7]
	v_mov_b32_e32 v2, 0x7f800001
	s_xor_b64 exec, exec, s[6:7]
	s_cbranch_execnz .LBB14_195
.LBB14_175:
	s_or_b64 exec, exec, s[6:7]
	s_and_saveexec_b64 s[6:7], s[0:1]
	s_cbranch_execz .LBB14_177
.LBB14_176:
	v_lshlrev_b32_e32 v2, 24, v3
	v_and_b32_e32 v3, 0xffff, v3
	v_and_b32_e32 v5, 3, v3
	v_ffbh_u32_e32 v7, v5
	v_min_u32_e32 v7, 32, v7
	v_subrev_u32_e32 v8, 29, v7
	v_bfe_u32 v6, v3, 2, 5
	v_lshlrev_b32_e32 v3, v8, v3
	v_sub_u32_e32 v7, 30, v7
	v_and_b32_e32 v3, 3, v3
	v_cmp_eq_u32_e32 vcc, 0, v6
	v_cndmask_b32_e32 v6, v6, v7, vcc
	v_cndmask_b32_e32 v3, v5, v3, vcc
	v_mov_b32_e32 v5, 0x37800000
	v_lshlrev_b32_e32 v3, 21, v3
	v_and_b32_e32 v2, 0x80000000, v2
	v_lshl_add_u32 v5, v6, 23, v5
	v_or3_b32 v2, v2, v5, v3
.LBB14_177:
	s_or_b64 exec, exec, s[6:7]
	s_mov_b64 s[0:1], 0
	s_branch .LBB14_183
.LBB14_178:
	s_mov_b64 s[6:7], -1
                                        ; implicit-def: $vgpr2
	s_branch .LBB14_189
.LBB14_179:
	s_or_saveexec_b64 s[6:7], s[6:7]
	v_mov_b32_e32 v2, 0x7f800001
	s_xor_b64 exec, exec, s[6:7]
	s_cbranch_execz .LBB14_163
.LBB14_180:
	v_cmp_ne_u16_e32 vcc, 0, v3
	s_andn2_b64 s[0:1], s[0:1], exec
	s_and_b64 s[20:21], vcc, exec
	v_mov_b32_e32 v2, 0
	s_or_b64 s[0:1], s[0:1], s[20:21]
	s_or_b64 exec, exec, s[6:7]
	s_and_saveexec_b64 s[6:7], s[0:1]
	s_cbranch_execnz .LBB14_164
	s_branch .LBB14_165
.LBB14_181:
	s_mov_b64 s[0:1], -1
                                        ; implicit-def: $vgpr2
	s_branch .LBB14_186
.LBB14_182:
	s_mov_b64 s[0:1], -1
                                        ; implicit-def: $vgpr2
.LBB14_183:
	s_and_b64 vcc, exec, s[0:1]
	s_cbranch_vccz .LBB14_185
; %bb.184:
	global_load_ubyte v2, v[0:1], off
	s_mov_b32 s0, 0x7f800000
	s_waitcnt vmcnt(0)
	v_lshlrev_b32_e32 v2, 24, v2
	v_and_b32_e32 v3, 0x7f000000, v2
	v_ffbh_u32_e32 v5, v3
	v_min_u32_e32 v5, 32, v5
	v_sub_u32_e64 v5, v5, 4 clamp
	v_lshlrev_b32_e32 v7, v5, v3
	v_lshlrev_b32_e32 v5, 23, v5
	v_lshrrev_b32_e32 v7, 4, v7
	v_add_u32_e32 v6, 0x1000000, v3
	v_sub_u32_e32 v5, v7, v5
	v_ashrrev_i32_e32 v6, 8, v6
	v_add_u32_e32 v5, 0x3c000000, v5
	v_and_or_b32 v5, v6, s0, v5
	v_cmp_ne_u32_e32 vcc, 0, v3
	v_cndmask_b32_e32 v3, 0, v5, vcc
	s_brev_b32 s0, 1
	v_and_or_b32 v2, v2, s0, v3
.LBB14_185:
	s_mov_b64 s[0:1], 0
.LBB14_186:
	s_andn2_b64 vcc, exec, s[0:1]
	s_cbranch_vccnz .LBB14_188
; %bb.187:
	global_load_ubyte v2, v[0:1], off
	s_movk_i32 s0, 0x7f00
	s_brev_b32 s1, 16
	s_waitcnt vmcnt(0)
	v_lshlrev_b16_e32 v3, 8, v2
	v_lshlrev_b32_e32 v2, 25, v2
	v_lshrrev_b32_e32 v5, 4, v2
	v_and_or_b32 v6, v3, s0, 0.5
	v_or_b32_e32 v5, 0x70000000, v5
	v_add_f32_e32 v6, -0.5, v6
	v_mul_f32_e32 v5, 0x7800000, v5
	v_cmp_gt_u32_e32 vcc, s1, v2
	v_bfe_i32 v3, v3, 0, 16
	v_cndmask_b32_e32 v2, v5, v6, vcc
	s_brev_b32 s0, 1
	v_and_or_b32 v2, v3, s0, v2
.LBB14_188:
	s_mov_b64 s[6:7], 0
	s_mov_b64 s[0:1], -1
.LBB14_189:
	s_andn2_b64 vcc, exec, s[6:7]
	s_cbranch_vccnz .LBB14_202
; %bb.190:
	s_cmp_gt_i32 s24, 14
	s_cbranch_scc0 .LBB14_193
; %bb.191:
	s_cmp_eq_u32 s24, 15
	s_cbranch_scc0 .LBB14_196
; %bb.192:
	global_load_ushort v2, v[0:1], off
	s_mov_b64 s[0:1], -1
	s_mov_b64 s[16:17], 0
	s_waitcnt vmcnt(0)
	v_lshlrev_b32_e32 v2, 16, v2
	s_branch .LBB14_197
.LBB14_193:
	s_mov_b64 s[6:7], -1
                                        ; implicit-def: $vgpr2
	s_branch .LBB14_198
.LBB14_194:
	s_or_saveexec_b64 s[6:7], s[6:7]
	v_mov_b32_e32 v2, 0x7f800001
	s_xor_b64 exec, exec, s[6:7]
	s_cbranch_execz .LBB14_175
.LBB14_195:
	v_cmp_ne_u16_e32 vcc, 0, v3
	s_andn2_b64 s[0:1], s[0:1], exec
	s_and_b64 s[20:21], vcc, exec
	v_mov_b32_e32 v2, 0
	s_or_b64 s[0:1], s[0:1], s[20:21]
	s_or_b64 exec, exec, s[6:7]
	s_and_saveexec_b64 s[6:7], s[0:1]
	s_cbranch_execnz .LBB14_176
	s_branch .LBB14_177
.LBB14_196:
	s_mov_b64 s[16:17], -1
                                        ; implicit-def: $vgpr2
.LBB14_197:
	s_mov_b64 s[6:7], 0
.LBB14_198:
	s_and_b64 vcc, exec, s[6:7]
	s_cbranch_vccz .LBB14_202
; %bb.199:
	s_cmp_eq_u32 s24, 11
	s_cbranch_scc0 .LBB14_201
; %bb.200:
	global_load_ubyte v2, v[0:1], off
	s_mov_b64 s[0:1], -1
	s_mov_b64 s[16:17], 0
	s_waitcnt vmcnt(0)
	v_cmp_ne_u16_e32 vcc, 0, v2
	v_cndmask_b32_e64 v2, 0, 1.0, vcc
	s_branch .LBB14_202
.LBB14_201:
	s_mov_b64 s[16:17], -1
                                        ; implicit-def: $vgpr2
.LBB14_202:
	s_branch .LBB14_10
.LBB14_203:
	s_cmp_lt_i32 s24, 5
	s_cbranch_scc1 .LBB14_208
; %bb.204:
	s_cmp_lt_i32 s24, 8
	s_cbranch_scc1 .LBB14_209
; %bb.205:
	;; [unrolled: 3-line block ×3, first 2 shown]
	s_cmp_gt_i32 s24, 9
	s_cbranch_scc0 .LBB14_211
; %bb.207:
	global_load_dwordx2 v[2:3], v[0:1], off
	s_mov_b64 s[0:1], 0
	s_waitcnt vmcnt(0)
	v_cvt_f32_f64_e32 v2, v[2:3]
	s_branch .LBB14_212
.LBB14_208:
                                        ; implicit-def: $vgpr2
	s_branch .LBB14_230
.LBB14_209:
	s_mov_b64 s[0:1], -1
                                        ; implicit-def: $vgpr2
	s_branch .LBB14_218
.LBB14_210:
	s_mov_b64 s[0:1], -1
                                        ; implicit-def: $vgpr2
	s_branch .LBB14_215
.LBB14_211:
	s_mov_b64 s[0:1], -1
                                        ; implicit-def: $vgpr2
.LBB14_212:
	s_andn2_b64 vcc, exec, s[0:1]
	s_cbranch_vccnz .LBB14_214
; %bb.213:
	global_load_dword v2, v[0:1], off
.LBB14_214:
	s_mov_b64 s[0:1], 0
.LBB14_215:
	s_andn2_b64 vcc, exec, s[0:1]
	s_cbranch_vccnz .LBB14_217
; %bb.216:
	global_load_dword v2, v[0:1], off
	s_waitcnt vmcnt(0)
	v_cvt_f32_f16_e32 v2, v2
.LBB14_217:
	s_mov_b64 s[0:1], 0
.LBB14_218:
	s_andn2_b64 vcc, exec, s[0:1]
	s_cbranch_vccnz .LBB14_229
; %bb.219:
	s_cmp_lt_i32 s24, 6
	s_cbranch_scc1 .LBB14_222
; %bb.220:
	s_cmp_gt_i32 s24, 6
	s_cbranch_scc0 .LBB14_223
; %bb.221:
	global_load_dwordx2 v[2:3], v[0:1], off
	s_mov_b64 s[0:1], 0
	s_waitcnt vmcnt(0)
	v_cvt_f32_f64_e32 v2, v[2:3]
	s_branch .LBB14_224
.LBB14_222:
	s_mov_b64 s[0:1], -1
                                        ; implicit-def: $vgpr2
	s_branch .LBB14_227
.LBB14_223:
	s_mov_b64 s[0:1], -1
                                        ; implicit-def: $vgpr2
.LBB14_224:
	s_andn2_b64 vcc, exec, s[0:1]
	s_cbranch_vccnz .LBB14_226
; %bb.225:
	global_load_dword v2, v[0:1], off
.LBB14_226:
	s_mov_b64 s[0:1], 0
.LBB14_227:
	s_andn2_b64 vcc, exec, s[0:1]
	s_cbranch_vccnz .LBB14_229
; %bb.228:
	global_load_ushort v2, v[0:1], off
	s_waitcnt vmcnt(0)
	v_cvt_f32_f16_e32 v2, v2
.LBB14_229:
	s_cbranch_execnz .LBB14_249
.LBB14_230:
	s_cmp_lt_i32 s24, 2
	s_cbranch_scc1 .LBB14_234
; %bb.231:
	s_cmp_lt_i32 s24, 3
	s_cbranch_scc1 .LBB14_235
; %bb.232:
	s_cmp_gt_i32 s24, 3
	s_cbranch_scc0 .LBB14_236
; %bb.233:
	global_load_dwordx2 v[2:3], v[0:1], off
	s_mov_b64 s[0:1], 0
	s_waitcnt vmcnt(0)
	v_xor_b32_e32 v6, v2, v3
	v_ffbh_i32_e32 v5, v3
	v_ashrrev_i32_e32 v6, 31, v6
	v_add_u32_e32 v5, -1, v5
	v_add_u32_e32 v6, 32, v6
	v_min_u32_e32 v5, v5, v6
	v_lshlrev_b64 v[2:3], v5, v[2:3]
	v_min_u32_e32 v2, 1, v2
	v_or_b32_e32 v2, v3, v2
	v_cvt_f32_i32_e32 v2, v2
	v_sub_u32_e32 v3, 32, v5
	v_ldexp_f32 v2, v2, v3
	s_branch .LBB14_237
.LBB14_234:
	s_mov_b64 s[0:1], -1
                                        ; implicit-def: $vgpr2
	s_branch .LBB14_243
.LBB14_235:
	s_mov_b64 s[0:1], -1
                                        ; implicit-def: $vgpr2
	s_branch .LBB14_240
.LBB14_236:
	s_mov_b64 s[0:1], -1
                                        ; implicit-def: $vgpr2
.LBB14_237:
	s_andn2_b64 vcc, exec, s[0:1]
	s_cbranch_vccnz .LBB14_239
; %bb.238:
	global_load_dword v2, v[0:1], off
	s_waitcnt vmcnt(0)
	v_cvt_f32_i32_e32 v2, v2
.LBB14_239:
	s_mov_b64 s[0:1], 0
.LBB14_240:
	s_andn2_b64 vcc, exec, s[0:1]
	s_cbranch_vccnz .LBB14_242
; %bb.241:
	global_load_sshort v2, v[0:1], off
	s_waitcnt vmcnt(0)
	v_cvt_f32_i32_e32 v2, v2
.LBB14_242:
	s_mov_b64 s[0:1], 0
.LBB14_243:
	s_andn2_b64 vcc, exec, s[0:1]
	s_cbranch_vccnz .LBB14_249
; %bb.244:
	s_cmp_gt_i32 s24, 0
	s_cbranch_scc0 .LBB14_246
; %bb.245:
	global_load_sbyte v2, v[0:1], off
	s_mov_b64 s[0:1], 0
	s_waitcnt vmcnt(0)
	v_cvt_f32_i32_e32 v2, v2
	s_branch .LBB14_247
.LBB14_246:
	s_mov_b64 s[0:1], -1
                                        ; implicit-def: $vgpr2
.LBB14_247:
	s_andn2_b64 vcc, exec, s[0:1]
	s_cbranch_vccnz .LBB14_249
; %bb.248:
	global_load_ubyte v0, v[0:1], off
	s_waitcnt vmcnt(0)
	v_cvt_f32_ubyte0_e32 v2, v0
.LBB14_249:
	s_branch .LBB14_11
.LBB14_250:
	s_mov_b64 s[0:1], 0
                                        ; implicit-def: $vgpr4
	s_mov_b64 s[20:21], 0
.LBB14_251:
	s_and_b64 s[6:7], s[0:1], exec
	s_and_b64 s[16:17], s[16:17], exec
	s_orn2_b64 s[20:21], s[20:21], exec
.LBB14_252:
	s_or_b64 exec, exec, s[18:19]
	s_mov_b64 s[24:25], 0
	s_mov_b64 s[0:1], 0
                                        ; implicit-def: $vgpr0_vgpr1
                                        ; implicit-def: $vgpr3
	s_and_saveexec_b64 s[18:19], s[20:21]
	s_cbranch_execz .LBB14_261
; %bb.253:
	v_cmp_gt_i32_e32 vcc, s40, v4
	s_mov_b64 s[0:1], -1
	s_mov_b64 s[20:21], s[16:17]
	s_mov_b64 s[22:23], s[6:7]
	s_and_saveexec_b64 s[24:25], vcc
	s_cbranch_execz .LBB14_513
; %bb.254:
	v_mul_lo_u32 v0, v4, s13
	v_mov_b32_e32 v1, s11
	s_and_b32 s28, 0xffff, s15
	s_cmp_lt_i32 s28, 11
	s_waitcnt vmcnt(0)
	v_ashrrev_i32_e32 v2, 31, v0
	v_add_co_u32_e32 v0, vcc, s10, v0
	v_addc_co_u32_e32 v1, vcc, v1, v2, vcc
	s_cbranch_scc1 .LBB14_264
; %bb.255:
	s_cmp_gt_i32 s28, 25
	s_cbranch_scc0 .LBB14_273
; %bb.256:
	s_cmp_gt_i32 s28, 28
	s_cbranch_scc0 .LBB14_275
	;; [unrolled: 3-line block ×4, first 2 shown]
; %bb.259:
	s_cmp_eq_u32 s28, 46
	s_mov_b64 s[22:23], 0
	s_cbranch_scc0 .LBB14_285
; %bb.260:
	global_load_dword v2, v[0:1], off
	s_mov_b64 s[20:21], 0
	s_waitcnt vmcnt(0)
	v_lshlrev_b32_e32 v2, 16, v2
	s_branch .LBB14_286
.LBB14_261:
	s_or_b64 exec, exec, s[18:19]
	s_mov_b64 s[18:19], 0
	s_and_saveexec_b64 s[20:21], s[16:17]
	s_cbranch_execnz .LBB14_859
.LBB14_262:
	s_or_b64 exec, exec, s[20:21]
	s_and_saveexec_b64 s[16:17], s[22:23]
	s_xor_b64 s[16:17], exec, s[16:17]
	s_cbranch_execz .LBB14_860
.LBB14_263:
	global_load_ubyte v2, v[0:1], off
	s_or_b64 s[0:1], s[0:1], exec
	s_waitcnt vmcnt(0)
	v_cmp_ne_u16_e32 vcc, 0, v2
	v_cndmask_b32_e64 v3, 0, 1.0, vcc
	s_or_b64 exec, exec, s[16:17]
	s_and_saveexec_b64 s[16:17], s[24:25]
	s_cbranch_execz .LBB14_906
	s_branch .LBB14_861
.LBB14_264:
	s_mov_b64 s[0:1], 0
                                        ; implicit-def: $vgpr2
	s_mov_b64 s[20:21], s[16:17]
	s_cbranch_execnz .LBB14_463
.LBB14_265:
	s_andn2_b64 vcc, exec, s[0:1]
	s_cbranch_vccnz .LBB14_511
.LBB14_266:
	v_mul_lo_u32 v0, v4, s12
	s_waitcnt vmcnt(0)
	v_cmp_nge_f32_e64 s[0:1], v2, -s14
	v_cmp_nge_f32_e32 vcc, s14, v2
	s_or_b64 vcc, s[0:1], vcc
	v_cndmask_b32_e32 v2, 0, v2, vcc
	v_ashrrev_i32_e32 v1, 31, v0
	v_mov_b32_e32 v3, s9
	s_and_b32 s30, s33, 0xff
	v_add_co_u32_e32 v0, vcc, s8, v0
	s_cmp_lt_i32 s30, 11
	v_addc_co_u32_e32 v1, vcc, v3, v1, vcc
	s_cbranch_scc1 .LBB14_274
; %bb.267:
	s_and_b32 s31, 0xffff, s30
	s_cmp_gt_i32 s31, 25
	s_cbranch_scc0 .LBB14_276
; %bb.268:
	s_cmp_gt_i32 s31, 28
	s_cbranch_scc0 .LBB14_278
; %bb.269:
	;; [unrolled: 3-line block ×4, first 2 shown]
	s_mov_b64 s[26:27], 0
	s_mov_b64 s[0:1], -1
	s_cmp_eq_u32 s31, 46
	s_mov_b64 s[22:23], 0
	s_cbranch_scc0 .LBB14_290
; %bb.272:
	v_bfe_u32 v3, v2, 16, 1
	s_movk_i32 s0, 0x7fff
	v_add3_u32 v3, v2, v3, s0
	v_cmp_o_f32_e32 vcc, v2, v2
	v_mov_b32_e32 v5, 0x7fc0
	v_cndmask_b32_sdwa v3, v5, v3, vcc dst_sel:DWORD dst_unused:UNUSED_PAD src0_sel:DWORD src1_sel:WORD_1
	global_store_dword v[0:1], v3, off
	s_mov_b64 s[22:23], -1
	s_mov_b64 s[0:1], 0
	s_branch .LBB14_290
.LBB14_273:
	s_mov_b64 s[22:23], -1
	s_mov_b64 s[0:1], 0
	s_mov_b64 s[20:21], s[16:17]
                                        ; implicit-def: $vgpr2
	s_branch .LBB14_427
.LBB14_274:
	s_mov_b64 s[26:27], -1
	s_mov_b64 s[22:23], 0
	s_mov_b64 s[0:1], s[6:7]
	s_branch .LBB14_359
.LBB14_275:
	s_mov_b64 s[22:23], -1
	s_mov_b64 s[0:1], 0
	s_mov_b64 s[20:21], s[16:17]
                                        ; implicit-def: $vgpr2
	s_branch .LBB14_408
.LBB14_276:
	s_mov_b64 s[26:27], -1
	s_mov_b64 s[22:23], 0
	s_mov_b64 s[0:1], s[6:7]
	s_branch .LBB14_317
.LBB14_277:
	s_mov_b64 s[22:23], -1
	s_mov_b64 s[0:1], 0
	s_mov_b64 s[20:21], s[16:17]
                                        ; implicit-def: $vgpr2
	s_branch .LBB14_403
.LBB14_278:
	s_mov_b64 s[26:27], -1
	s_mov_b64 s[22:23], 0
	s_mov_b64 s[0:1], s[6:7]
	s_branch .LBB14_300
.LBB14_279:
	s_andn2_saveexec_b64 s[24:25], s[24:25]
	s_cbranch_execz .LBB14_55
.LBB14_280:
	s_mov_b32 s28, 0x46000000
	v_add_f32_e64 v3, |v2|, s28
	v_and_b32_e32 v3, 0xff, v3
	v_cmp_ne_u32_e32 vcc, 0, v3
	s_andn2_b64 s[20:21], s[20:21], exec
	s_and_b64 s[28:29], vcc, exec
	s_or_b64 s[20:21], s[20:21], s[28:29]
	s_or_b64 exec, exec, s[24:25]
	v_mov_b32_e32 v5, 0
	s_and_saveexec_b64 s[24:25], s[20:21]
	s_cbranch_execnz .LBB14_56
	s_branch .LBB14_57
.LBB14_281:
	s_mov_b64 s[22:23], -1
	s_mov_b64 s[0:1], 0
	s_mov_b64 s[20:21], s[16:17]
                                        ; implicit-def: $vgpr2
	s_branch .LBB14_286
.LBB14_282:
	s_mov_b64 s[26:27], -1
	s_mov_b64 s[22:23], 0
	s_mov_b64 s[0:1], s[6:7]
	s_branch .LBB14_296
.LBB14_283:
	s_andn2_saveexec_b64 s[24:25], s[24:25]
	s_cbranch_execz .LBB14_68
.LBB14_284:
	s_mov_b32 s28, 0x42800000
	v_add_f32_e64 v3, |v2|, s28
	v_and_b32_e32 v3, 0xff, v3
	v_cmp_ne_u32_e32 vcc, 0, v3
	s_andn2_b64 s[20:21], s[20:21], exec
	s_and_b64 s[28:29], vcc, exec
	s_or_b64 s[20:21], s[20:21], s[28:29]
	s_or_b64 exec, exec, s[24:25]
	v_mov_b32_e32 v5, 0
	s_and_saveexec_b64 s[24:25], s[20:21]
	s_cbranch_execnz .LBB14_69
	s_branch .LBB14_70
.LBB14_285:
	s_mov_b64 s[20:21], -1
                                        ; implicit-def: $vgpr2
	s_mov_b64 s[0:1], 0
.LBB14_286:
	s_and_b64 vcc, exec, s[22:23]
	s_cbranch_vccz .LBB14_402
; %bb.287:
	s_cmp_eq_u32 s28, 44
	s_cbranch_scc0 .LBB14_401
; %bb.288:
	global_load_ubyte v2, v[0:1], off
	s_movk_i32 s20, 0xff
	v_mov_b32_e32 v3, 0x7f800001
	v_mov_b32_e32 v5, 0x400000
	s_mov_b64 s[0:1], -1
	s_waitcnt vmcnt(0)
	v_lshlrev_b32_e32 v6, 23, v2
	v_cmp_ne_u32_e32 vcc, s20, v2
	v_cndmask_b32_e32 v3, v3, v6, vcc
	v_cmp_ne_u32_e32 vcc, 0, v2
	v_cndmask_b32_e32 v2, v5, v3, vcc
	s_mov_b64 s[20:21], 0
	s_branch .LBB14_402
.LBB14_289:
	s_mov_b64 s[26:27], -1
	s_mov_b64 s[22:23], 0
	s_mov_b64 s[0:1], s[6:7]
.LBB14_290:
	s_and_b64 vcc, exec, s[26:27]
	s_cbranch_vccz .LBB14_295
; %bb.291:
	s_cmp_eq_u32 s31, 44
	s_mov_b64 s[0:1], -1
	s_cbranch_scc0 .LBB14_295
; %bb.292:
	v_bfe_u32 v3, v2, 23, 8
	s_movk_i32 s0, 0xff
	v_cmp_ne_u32_e32 vcc, s0, v3
	v_mov_b32_e32 v5, 0xff
	s_and_saveexec_b64 s[22:23], vcc
; %bb.293:
	s_mov_b32 s0, 0x3fffff
	v_and_b32_e32 v6, 0x400000, v2
	v_and_or_b32 v3, v2, s0, v3
	v_cmp_ne_u32_e32 vcc, 0, v6
	v_cmp_ne_u32_e64 s[0:1], 0, v3
	s_and_b64 s[0:1], vcc, s[0:1]
	v_lshrrev_b32_e32 v5, 23, v2
	v_cndmask_b32_e64 v3, 0, 1, s[0:1]
	v_add_u32_e32 v5, v5, v3
; %bb.294:
	s_or_b64 exec, exec, s[22:23]
	s_mov_b64 s[22:23], -1
	s_mov_b64 s[0:1], 0
	global_store_byte v[0:1], v5, off
.LBB14_295:
	s_mov_b64 s[26:27], 0
.LBB14_296:
	s_and_b64 vcc, exec, s[26:27]
	s_cbranch_vccz .LBB14_299
; %bb.297:
	s_cmp_eq_u32 s31, 29
	s_mov_b64 s[0:1], -1
	s_cbranch_scc0 .LBB14_299
; %bb.298:
	v_trunc_f32_e32 v3, v2
	v_mul_f32_e32 v5, 0x2f800000, v3
	v_floor_f32_e32 v5, v5
	v_fmac_f32_e32 v3, 0xcf800000, v5
	v_cvt_u32_f32_e32 v6, v5
	v_cvt_u32_f32_e32 v5, v3
	s_mov_b64 s[22:23], -1
	s_mov_b64 s[0:1], 0
	s_mov_b64 s[26:27], 0
	global_store_dwordx2 v[0:1], v[5:6], off
	s_branch .LBB14_300
.LBB14_299:
	s_mov_b64 s[26:27], 0
.LBB14_300:
	s_and_b64 vcc, exec, s[26:27]
	s_cbranch_vccz .LBB14_316
; %bb.301:
	s_cmp_lt_i32 s31, 27
	s_mov_b64 s[22:23], -1
	s_cbranch_scc1 .LBB14_307
; %bb.302:
	v_cvt_u32_f32_e32 v3, v2
	s_cmp_gt_i32 s31, 27
	s_cbranch_scc0 .LBB14_304
; %bb.303:
	s_mov_b64 s[22:23], 0
	global_store_dword v[0:1], v3, off
.LBB14_304:
	s_andn2_b64 vcc, exec, s[22:23]
	s_cbranch_vccnz .LBB14_306
; %bb.305:
	global_store_short v[0:1], v3, off
.LBB14_306:
	s_mov_b64 s[22:23], 0
.LBB14_307:
	s_andn2_b64 vcc, exec, s[22:23]
	s_cbranch_vccnz .LBB14_315
; %bb.308:
	v_and_b32_e32 v3, 0x7fffffff, v2
	s_mov_b32 s22, 0x43800000
	v_cmp_gt_u32_e32 vcc, s22, v3
	v_mov_b32_e32 v5, 0x80
	s_and_saveexec_b64 s[22:23], vcc
	s_cbranch_execz .LBB14_314
; %bb.309:
	s_mov_b32 s26, 0x3bffffff
	v_cmp_lt_u32_e32 vcc, s26, v3
	s_mov_b64 s[26:27], 0
                                        ; implicit-def: $vgpr3
	s_and_saveexec_b64 s[28:29], vcc
	s_xor_b64 s[28:29], exec, s[28:29]
	s_cbranch_execz .LBB14_526
; %bb.310:
	v_bfe_u32 v3, v2, 20, 1
	s_mov_b32 s34, 0x487ffff
	v_add3_u32 v3, v2, v3, s34
	s_mov_b64 s[26:27], exec
	v_lshrrev_b32_e32 v3, 20, v3
	s_andn2_saveexec_b64 s[28:29], s[28:29]
	s_cbranch_execnz .LBB14_527
.LBB14_311:
	s_or_b64 exec, exec, s[28:29]
	v_mov_b32_e32 v5, 0
	s_and_saveexec_b64 s[28:29], s[26:27]
.LBB14_312:
	v_lshrrev_b32_e32 v5, 24, v2
	s_movk_i32 s26, 0x80
	v_and_or_b32 v5, v5, s26, v3
.LBB14_313:
	s_or_b64 exec, exec, s[28:29]
.LBB14_314:
	s_or_b64 exec, exec, s[22:23]
	global_store_byte v[0:1], v5, off
.LBB14_315:
	s_mov_b64 s[22:23], -1
.LBB14_316:
	s_mov_b64 s[26:27], 0
.LBB14_317:
	s_and_b64 vcc, exec, s[26:27]
	s_cbranch_vccz .LBB14_358
; %bb.318:
	s_cmp_gt_i32 s31, 22
	s_mov_b64 s[26:27], -1
	s_cbranch_scc0 .LBB14_350
; %bb.319:
	s_cmp_lt_i32 s31, 24
	s_mov_b64 s[22:23], -1
	s_cbranch_scc1 .LBB14_339
; %bb.320:
	s_cmp_gt_i32 s31, 24
	s_cbranch_scc0 .LBB14_328
; %bb.321:
	v_and_b32_e32 v3, 0x7fffffff, v2
	s_mov_b32 s22, 0x47800000
	v_cmp_gt_u32_e32 vcc, s22, v3
	v_mov_b32_e32 v5, 0x80
	s_and_saveexec_b64 s[22:23], vcc
	s_cbranch_execz .LBB14_327
; %bb.322:
	s_mov_b32 s26, 0x37ffffff
	v_cmp_lt_u32_e32 vcc, s26, v3
	s_mov_b64 s[26:27], 0
                                        ; implicit-def: $vgpr3
	s_and_saveexec_b64 s[28:29], vcc
	s_xor_b64 s[28:29], exec, s[28:29]
	s_cbranch_execz .LBB14_529
; %bb.323:
	v_bfe_u32 v3, v2, 21, 1
	s_mov_b32 s34, 0x88fffff
	v_add3_u32 v3, v2, v3, s34
	s_mov_b64 s[26:27], exec
	v_lshrrev_b32_e32 v3, 21, v3
	s_andn2_saveexec_b64 s[28:29], s[28:29]
	s_cbranch_execnz .LBB14_530
.LBB14_324:
	s_or_b64 exec, exec, s[28:29]
	v_mov_b32_e32 v5, 0
	s_and_saveexec_b64 s[28:29], s[26:27]
.LBB14_325:
	v_lshrrev_b32_e32 v5, 24, v2
	s_movk_i32 s26, 0x80
	v_and_or_b32 v5, v5, s26, v3
.LBB14_326:
	s_or_b64 exec, exec, s[28:29]
.LBB14_327:
	s_or_b64 exec, exec, s[22:23]
	s_mov_b64 s[22:23], 0
	global_store_byte v[0:1], v5, off
.LBB14_328:
	s_and_b64 vcc, exec, s[22:23]
	s_cbranch_vccz .LBB14_338
; %bb.329:
	v_and_b32_e32 v5, 0x7fffffff, v2
	s_mov_b32 s22, 0x43f00000
	v_cmp_gt_u32_e32 vcc, s22, v5
                                        ; implicit-def: $vgpr3
	s_and_saveexec_b64 s[22:23], vcc
	s_xor_b64 s[22:23], exec, s[22:23]
	s_cbranch_execz .LBB14_335
; %bb.330:
	s_mov_b32 s26, 0x3c7fffff
	v_cmp_lt_u32_e32 vcc, s26, v5
                                        ; implicit-def: $vgpr3
	s_and_saveexec_b64 s[26:27], vcc
	s_xor_b64 s[26:27], exec, s[26:27]
; %bb.331:
	v_bfe_u32 v3, v2, 20, 1
	s_mov_b32 s28, 0x407ffff
	v_add3_u32 v3, v2, v3, s28
	v_lshrrev_b32_e32 v5, 20, v3
	v_and_b32_e32 v3, 0xff00000, v3
	s_mov_b32 s28, 0x7f00000
	v_mov_b32_e32 v6, 0x7e
	v_cmp_ne_u32_e32 vcc, s28, v3
	v_cndmask_b32_e32 v3, v6, v5, vcc
; %bb.332:
	s_andn2_saveexec_b64 s[26:27], s[26:27]
; %bb.333:
	s_mov_b32 s28, 0x46800000
	v_add_f32_e64 v3, |v2|, s28
; %bb.334:
	s_or_b64 exec, exec, s[26:27]
                                        ; implicit-def: $vgpr5
.LBB14_335:
	s_andn2_saveexec_b64 s[22:23], s[22:23]
; %bb.336:
	s_mov_b32 s26, 0x7f800000
	v_mov_b32_e32 v3, 0x7e
	v_mov_b32_e32 v6, 0x7f
	v_cmp_lt_u32_e32 vcc, s26, v5
	v_cndmask_b32_e32 v3, v3, v6, vcc
; %bb.337:
	s_or_b64 exec, exec, s[22:23]
	v_lshrrev_b32_e32 v5, 24, v2
	s_movk_i32 s22, 0x80
	v_and_or_b32 v3, v5, s22, v3
	global_store_byte v[0:1], v3, off
.LBB14_338:
	s_mov_b64 s[22:23], 0
.LBB14_339:
	s_andn2_b64 vcc, exec, s[22:23]
	s_cbranch_vccnz .LBB14_349
; %bb.340:
	v_and_b32_e32 v5, 0x7fffffff, v2
	s_mov_b32 s22, 0x47800000
	v_cmp_gt_u32_e32 vcc, s22, v5
                                        ; implicit-def: $vgpr3
	s_and_saveexec_b64 s[22:23], vcc
	s_xor_b64 s[22:23], exec, s[22:23]
	s_cbranch_execz .LBB14_346
; %bb.341:
	s_mov_b32 s26, 0x387fffff
	v_cmp_lt_u32_e32 vcc, s26, v5
                                        ; implicit-def: $vgpr3
	s_and_saveexec_b64 s[26:27], vcc
	s_xor_b64 s[26:27], exec, s[26:27]
; %bb.342:
	v_bfe_u32 v3, v2, 21, 1
	s_mov_b32 s28, 0x80fffff
	v_add3_u32 v3, v2, v3, s28
	v_lshrrev_b32_e32 v3, 21, v3
; %bb.343:
	s_andn2_saveexec_b64 s[26:27], s[26:27]
; %bb.344:
	s_mov_b32 s28, 0x43000000
	v_add_f32_e64 v3, |v2|, s28
; %bb.345:
	s_or_b64 exec, exec, s[26:27]
                                        ; implicit-def: $vgpr5
.LBB14_346:
	s_andn2_saveexec_b64 s[22:23], s[22:23]
; %bb.347:
	s_mov_b32 s26, 0x7f800000
	v_mov_b32_e32 v3, 0x7c
	v_mov_b32_e32 v6, 0x7f
	v_cmp_lt_u32_e32 vcc, s26, v5
	v_cndmask_b32_e32 v3, v3, v6, vcc
; %bb.348:
	s_or_b64 exec, exec, s[22:23]
	v_lshrrev_b32_e32 v5, 24, v2
	s_movk_i32 s22, 0x80
	v_and_or_b32 v3, v5, s22, v3
	global_store_byte v[0:1], v3, off
.LBB14_349:
	s_mov_b64 s[26:27], 0
	s_mov_b64 s[22:23], -1
.LBB14_350:
	s_andn2_b64 vcc, exec, s[26:27]
	s_cbranch_vccnz .LBB14_358
; %bb.351:
	s_cmp_gt_i32 s31, 14
	s_mov_b64 s[26:27], -1
	s_cbranch_scc0 .LBB14_355
; %bb.352:
	s_cmp_eq_u32 s31, 15
	s_mov_b64 s[0:1], -1
	s_cbranch_scc0 .LBB14_354
; %bb.353:
	v_bfe_u32 v3, v2, 16, 1
	s_movk_i32 s0, 0x7fff
	v_add3_u32 v3, v2, v3, s0
	v_cmp_o_f32_e32 vcc, v2, v2
	v_mov_b32_e32 v5, 0x7fc0
	v_cndmask_b32_sdwa v3, v5, v3, vcc dst_sel:DWORD dst_unused:UNUSED_PAD src0_sel:DWORD src1_sel:WORD_1
	global_store_short v[0:1], v3, off
	s_mov_b64 s[22:23], -1
	s_mov_b64 s[0:1], 0
.LBB14_354:
	s_mov_b64 s[26:27], 0
.LBB14_355:
	s_and_b64 vcc, exec, s[26:27]
	s_cbranch_vccz .LBB14_358
; %bb.356:
	s_cmp_eq_u32 s31, 11
	s_mov_b64 s[0:1], -1
	s_cbranch_scc0 .LBB14_358
; %bb.357:
	v_cmp_neq_f32_e32 vcc, 0, v2
	v_cndmask_b32_e64 v3, 0, 1, vcc
	s_mov_b64 s[22:23], -1
	s_mov_b64 s[0:1], 0
	global_store_byte v[0:1], v3, off
.LBB14_358:
	s_mov_b64 s[26:27], 0
.LBB14_359:
	s_and_b64 vcc, exec, s[26:27]
	s_cbranch_vccz .LBB14_398
; %bb.360:
	s_and_b32 s26, 0xffff, s30
	s_cmp_lt_i32 s26, 5
	s_mov_b64 s[22:23], -1
	s_cbranch_scc1 .LBB14_381
; %bb.361:
	s_cmp_lt_i32 s26, 8
	s_cbranch_scc1 .LBB14_371
; %bb.362:
	s_cmp_lt_i32 s26, 9
	s_cbranch_scc1 .LBB14_368
; %bb.363:
	s_cmp_gt_i32 s26, 9
	s_cbranch_scc0 .LBB14_365
; %bb.364:
	v_cvt_f64_f32_e32 v[5:6], v2
	v_mov_b32_e32 v7, 0
	v_mov_b32_e32 v8, v7
	s_mov_b64 s[22:23], 0
	global_store_dwordx4 v[0:1], v[5:8], off
.LBB14_365:
	s_andn2_b64 vcc, exec, s[22:23]
	s_cbranch_vccnz .LBB14_367
; %bb.366:
	v_mov_b32_e32 v3, 0
	global_store_dwordx2 v[0:1], v[2:3], off
.LBB14_367:
	s_mov_b64 s[22:23], 0
.LBB14_368:
	s_andn2_b64 vcc, exec, s[22:23]
	s_cbranch_vccnz .LBB14_370
; %bb.369:
	v_cvt_f16_f32_e32 v3, v2
	global_store_dword v[0:1], v3, off
.LBB14_370:
	s_mov_b64 s[22:23], 0
.LBB14_371:
	s_andn2_b64 vcc, exec, s[22:23]
	s_cbranch_vccnz .LBB14_380
; %bb.372:
	s_cmp_lt_i32 s26, 6
	s_mov_b64 s[22:23], -1
	s_cbranch_scc1 .LBB14_378
; %bb.373:
	s_cmp_gt_i32 s26, 6
	s_cbranch_scc0 .LBB14_375
; %bb.374:
	v_cvt_f64_f32_e32 v[5:6], v2
	s_mov_b64 s[22:23], 0
	global_store_dwordx2 v[0:1], v[5:6], off
.LBB14_375:
	s_andn2_b64 vcc, exec, s[22:23]
	s_cbranch_vccnz .LBB14_377
; %bb.376:
	global_store_dword v[0:1], v2, off
.LBB14_377:
	s_mov_b64 s[22:23], 0
.LBB14_378:
	s_andn2_b64 vcc, exec, s[22:23]
	s_cbranch_vccnz .LBB14_380
; %bb.379:
	v_cvt_f16_f32_e32 v3, v2
	global_store_short v[0:1], v3, off
.LBB14_380:
	s_mov_b64 s[22:23], 0
.LBB14_381:
	s_andn2_b64 vcc, exec, s[22:23]
	s_cbranch_vccnz .LBB14_397
; %bb.382:
	s_cmp_lt_i32 s26, 2
	s_mov_b64 s[22:23], -1
	s_cbranch_scc1 .LBB14_392
; %bb.383:
	s_cmp_lt_i32 s26, 3
	s_cbranch_scc1 .LBB14_389
; %bb.384:
	s_cmp_gt_i32 s26, 3
	s_cbranch_scc0 .LBB14_386
; %bb.385:
	v_trunc_f32_e32 v3, v2
	s_mov_b32 s22, 0x2f800000
	v_mul_f32_e64 v5, |v3|, s22
	v_floor_f32_e32 v5, v5
	s_mov_b32 s22, 0xcf800000
	v_cvt_u32_f32_e32 v6, v5
	v_fma_f32 v5, v5, s22, |v3|
	v_cvt_u32_f32_e32 v5, v5
	v_ashrrev_i32_e32 v3, 31, v3
	v_xor_b32_e32 v6, v6, v3
	s_mov_b64 s[22:23], 0
	v_xor_b32_e32 v5, v5, v3
	v_sub_co_u32_e32 v5, vcc, v5, v3
	v_subb_co_u32_e32 v6, vcc, v6, v3, vcc
	global_store_dwordx2 v[0:1], v[5:6], off
.LBB14_386:
	s_andn2_b64 vcc, exec, s[22:23]
	s_cbranch_vccnz .LBB14_388
; %bb.387:
	v_cvt_i32_f32_e32 v3, v2
	global_store_dword v[0:1], v3, off
.LBB14_388:
	s_mov_b64 s[22:23], 0
.LBB14_389:
	s_andn2_b64 vcc, exec, s[22:23]
	s_cbranch_vccnz .LBB14_391
; %bb.390:
	v_cvt_i32_f32_e32 v3, v2
	global_store_short v[0:1], v3, off
.LBB14_391:
	s_mov_b64 s[22:23], 0
.LBB14_392:
	s_andn2_b64 vcc, exec, s[22:23]
	s_cbranch_vccnz .LBB14_397
; %bb.393:
	s_cmp_gt_i32 s26, 0
	s_mov_b64 s[22:23], -1
	s_cbranch_scc0 .LBB14_395
; %bb.394:
	v_cvt_i32_f32_e32 v3, v2
	s_mov_b64 s[22:23], 0
	global_store_byte v[0:1], v3, off
.LBB14_395:
	s_andn2_b64 vcc, exec, s[22:23]
	s_cbranch_vccnz .LBB14_397
; %bb.396:
	v_trunc_f32_e32 v2, v2
	s_mov_b32 s22, 0x2f800000
	v_mul_f32_e64 v3, |v2|, s22
	v_floor_f32_e32 v3, v3
	s_mov_b32 s22, 0xcf800000
	v_fma_f32 v3, v3, s22, |v2|
	v_cvt_u32_f32_e32 v3, v3
	v_ashrrev_i32_e32 v2, 31, v2
	v_xor_b32_e32 v3, v3, v2
	v_sub_u32_e32 v2, v3, v2
	global_store_byte v[0:1], v2, off
.LBB14_397:
	s_mov_b64 s[22:23], -1
.LBB14_398:
	s_andn2_b64 vcc, exec, s[22:23]
	s_cbranch_vccnz .LBB14_400
; %bb.399:
	v_add_u32_e32 v4, 0x80, v4
	s_mov_b64 s[26:27], -1
	s_branch .LBB14_512
.LBB14_400:
	s_mov_b64 s[26:27], 0
                                        ; implicit-def: $vgpr4
	s_branch .LBB14_512
.LBB14_401:
	s_mov_b64 s[20:21], -1
                                        ; implicit-def: $vgpr2
.LBB14_402:
	s_mov_b64 s[22:23], 0
.LBB14_403:
	s_and_b64 vcc, exec, s[22:23]
	s_cbranch_vccz .LBB14_407
; %bb.404:
	s_cmp_eq_u32 s28, 29
	s_cbranch_scc0 .LBB14_406
; %bb.405:
	global_load_dwordx2 v[2:3], v[0:1], off
	s_mov_b64 s[0:1], -1
	s_mov_b64 s[20:21], 0
	s_mov_b64 s[22:23], 0
	s_waitcnt vmcnt(0)
	v_ffbh_u32_e32 v5, v3
	v_min_u32_e32 v5, 32, v5
	v_lshlrev_b64 v[2:3], v5, v[2:3]
	v_min_u32_e32 v2, 1, v2
	v_or_b32_e32 v2, v3, v2
	v_cvt_f32_u32_e32 v2, v2
	v_sub_u32_e32 v3, 32, v5
	v_ldexp_f32 v2, v2, v3
	s_branch .LBB14_408
.LBB14_406:
	s_mov_b64 s[20:21], -1
                                        ; implicit-def: $vgpr2
.LBB14_407:
	s_mov_b64 s[22:23], 0
.LBB14_408:
	s_and_b64 vcc, exec, s[22:23]
	s_cbranch_vccz .LBB14_426
; %bb.409:
	s_cmp_lt_i32 s28, 27
	s_cbranch_scc1 .LBB14_412
; %bb.410:
	s_cmp_gt_i32 s28, 27
	s_cbranch_scc0 .LBB14_413
; %bb.411:
	global_load_dword v2, v[0:1], off
	s_mov_b64 s[0:1], 0
	s_waitcnt vmcnt(0)
	v_cvt_f32_u32_e32 v2, v2
	s_branch .LBB14_414
.LBB14_412:
	s_mov_b64 s[0:1], -1
                                        ; implicit-def: $vgpr2
	s_branch .LBB14_417
.LBB14_413:
	s_mov_b64 s[0:1], -1
                                        ; implicit-def: $vgpr2
.LBB14_414:
	s_andn2_b64 vcc, exec, s[0:1]
	s_cbranch_vccnz .LBB14_416
; %bb.415:
	global_load_ushort v2, v[0:1], off
	s_waitcnt vmcnt(0)
	v_cvt_f32_u32_e32 v2, v2
.LBB14_416:
	s_mov_b64 s[0:1], 0
.LBB14_417:
	s_andn2_b64 vcc, exec, s[0:1]
	s_cbranch_vccnz .LBB14_425
; %bb.418:
	global_load_ubyte v3, v[0:1], off
	s_movk_i32 s0, 0x7f
	s_waitcnt vmcnt(0)
	v_cmp_lt_i16_e32 vcc, s0, v3
	s_mov_b64 s[0:1], 0
	s_and_saveexec_b64 s[22:23], vcc
	s_xor_b64 s[22:23], exec, s[22:23]
	s_cbranch_execz .LBB14_439
; %bb.419:
	s_movk_i32 s0, 0x80
	v_cmp_eq_u16_e32 vcc, s0, v3
	s_mov_b64 s[0:1], -1
	s_and_saveexec_b64 s[26:27], vcc
; %bb.420:
	s_xor_b64 s[0:1], exec, -1
; %bb.421:
	s_or_b64 exec, exec, s[26:27]
	s_and_b64 s[0:1], s[0:1], exec
	s_or_saveexec_b64 s[22:23], s[22:23]
	v_mov_b32_e32 v2, 0x7f800001
	s_xor_b64 exec, exec, s[22:23]
	s_cbranch_execnz .LBB14_440
.LBB14_422:
	s_or_b64 exec, exec, s[22:23]
	s_and_saveexec_b64 s[22:23], s[0:1]
	s_cbranch_execz .LBB14_424
.LBB14_423:
	v_lshlrev_b32_e32 v2, 24, v3
	v_and_b32_e32 v3, 0xffff, v3
	v_and_b32_e32 v5, 7, v3
	v_ffbh_u32_e32 v7, v5
	v_min_u32_e32 v7, 32, v7
	v_subrev_u32_e32 v8, 28, v7
	v_bfe_u32 v6, v3, 3, 4
	v_lshlrev_b32_e32 v3, v8, v3
	v_sub_u32_e32 v7, 29, v7
	v_and_b32_e32 v3, 7, v3
	v_cmp_eq_u32_e32 vcc, 0, v6
	v_cndmask_b32_e32 v6, v6, v7, vcc
	v_cndmask_b32_e32 v3, v5, v3, vcc
	v_mov_b32_e32 v5, 0x3b800000
	v_lshlrev_b32_e32 v3, 20, v3
	v_and_b32_e32 v2, 0x80000000, v2
	v_lshl_add_u32 v5, v6, 23, v5
	v_or3_b32 v2, v2, v5, v3
.LBB14_424:
	s_or_b64 exec, exec, s[22:23]
.LBB14_425:
	s_mov_b64 s[0:1], -1
.LBB14_426:
	s_mov_b64 s[22:23], 0
.LBB14_427:
	s_and_b64 vcc, exec, s[22:23]
	s_cbranch_vccz .LBB14_462
; %bb.428:
	s_cmp_gt_i32 s28, 22
	s_cbranch_scc0 .LBB14_438
; %bb.429:
	s_cmp_lt_i32 s28, 24
	s_cbranch_scc1 .LBB14_441
; %bb.430:
	s_cmp_gt_i32 s28, 24
	s_cbranch_scc0 .LBB14_442
; %bb.431:
	global_load_ubyte v3, v[0:1], off
	s_movk_i32 s0, 0x7f
	s_waitcnt vmcnt(0)
	v_cmp_lt_i16_e32 vcc, s0, v3
	s_mov_b64 s[0:1], 0
	s_and_saveexec_b64 s[22:23], vcc
	s_xor_b64 s[22:23], exec, s[22:23]
	s_cbranch_execz .LBB14_454
; %bb.432:
	s_movk_i32 s0, 0x80
	v_cmp_eq_u16_e32 vcc, s0, v3
	s_mov_b64 s[0:1], -1
	s_and_saveexec_b64 s[26:27], vcc
; %bb.433:
	s_xor_b64 s[0:1], exec, -1
; %bb.434:
	s_or_b64 exec, exec, s[26:27]
	s_and_b64 s[0:1], s[0:1], exec
	s_or_saveexec_b64 s[22:23], s[22:23]
	v_mov_b32_e32 v2, 0x7f800001
	s_xor_b64 exec, exec, s[22:23]
	s_cbranch_execnz .LBB14_455
.LBB14_435:
	s_or_b64 exec, exec, s[22:23]
	s_and_saveexec_b64 s[22:23], s[0:1]
	s_cbranch_execz .LBB14_437
.LBB14_436:
	v_lshlrev_b32_e32 v2, 24, v3
	v_and_b32_e32 v3, 0xffff, v3
	v_and_b32_e32 v5, 3, v3
	v_ffbh_u32_e32 v7, v5
	v_min_u32_e32 v7, 32, v7
	v_subrev_u32_e32 v8, 29, v7
	v_bfe_u32 v6, v3, 2, 5
	v_lshlrev_b32_e32 v3, v8, v3
	v_sub_u32_e32 v7, 30, v7
	v_and_b32_e32 v3, 3, v3
	v_cmp_eq_u32_e32 vcc, 0, v6
	v_cndmask_b32_e32 v6, v6, v7, vcc
	v_cndmask_b32_e32 v3, v5, v3, vcc
	v_mov_b32_e32 v5, 0x37800000
	v_lshlrev_b32_e32 v3, 21, v3
	v_and_b32_e32 v2, 0x80000000, v2
	v_lshl_add_u32 v5, v6, 23, v5
	v_or3_b32 v2, v2, v5, v3
.LBB14_437:
	s_or_b64 exec, exec, s[22:23]
	s_mov_b64 s[0:1], 0
	s_branch .LBB14_443
.LBB14_438:
	s_mov_b64 s[22:23], -1
                                        ; implicit-def: $vgpr2
	s_branch .LBB14_449
.LBB14_439:
	s_or_saveexec_b64 s[22:23], s[22:23]
	v_mov_b32_e32 v2, 0x7f800001
	s_xor_b64 exec, exec, s[22:23]
	s_cbranch_execz .LBB14_422
.LBB14_440:
	v_cmp_ne_u16_e32 vcc, 0, v3
	s_andn2_b64 s[0:1], s[0:1], exec
	s_and_b64 s[26:27], vcc, exec
	v_mov_b32_e32 v2, 0
	s_or_b64 s[0:1], s[0:1], s[26:27]
	s_or_b64 exec, exec, s[22:23]
	s_and_saveexec_b64 s[22:23], s[0:1]
	s_cbranch_execnz .LBB14_423
	s_branch .LBB14_424
.LBB14_441:
	s_mov_b64 s[0:1], -1
                                        ; implicit-def: $vgpr2
	s_branch .LBB14_446
.LBB14_442:
	s_mov_b64 s[0:1], -1
                                        ; implicit-def: $vgpr2
.LBB14_443:
	s_and_b64 vcc, exec, s[0:1]
	s_cbranch_vccz .LBB14_445
; %bb.444:
	global_load_ubyte v2, v[0:1], off
	s_mov_b32 s0, 0x7f800000
	s_waitcnt vmcnt(0)
	v_lshlrev_b32_e32 v2, 24, v2
	v_and_b32_e32 v3, 0x7f000000, v2
	v_ffbh_u32_e32 v5, v3
	v_min_u32_e32 v5, 32, v5
	v_sub_u32_e64 v5, v5, 4 clamp
	v_lshlrev_b32_e32 v7, v5, v3
	v_lshlrev_b32_e32 v5, 23, v5
	v_lshrrev_b32_e32 v7, 4, v7
	v_add_u32_e32 v6, 0x1000000, v3
	v_sub_u32_e32 v5, v7, v5
	v_ashrrev_i32_e32 v6, 8, v6
	v_add_u32_e32 v5, 0x3c000000, v5
	v_and_or_b32 v5, v6, s0, v5
	v_cmp_ne_u32_e32 vcc, 0, v3
	v_cndmask_b32_e32 v3, 0, v5, vcc
	s_brev_b32 s0, 1
	v_and_or_b32 v2, v2, s0, v3
.LBB14_445:
	s_mov_b64 s[0:1], 0
.LBB14_446:
	s_andn2_b64 vcc, exec, s[0:1]
	s_cbranch_vccnz .LBB14_448
; %bb.447:
	global_load_ubyte v2, v[0:1], off
	s_movk_i32 s0, 0x7f00
	s_brev_b32 s1, 16
	s_waitcnt vmcnt(0)
	v_lshlrev_b16_e32 v3, 8, v2
	v_lshlrev_b32_e32 v2, 25, v2
	v_lshrrev_b32_e32 v5, 4, v2
	v_and_or_b32 v6, v3, s0, 0.5
	v_or_b32_e32 v5, 0x70000000, v5
	v_add_f32_e32 v6, -0.5, v6
	v_mul_f32_e32 v5, 0x7800000, v5
	v_cmp_gt_u32_e32 vcc, s1, v2
	v_bfe_i32 v3, v3, 0, 16
	v_cndmask_b32_e32 v2, v5, v6, vcc
	s_brev_b32 s0, 1
	v_and_or_b32 v2, v3, s0, v2
.LBB14_448:
	s_mov_b64 s[22:23], 0
	s_mov_b64 s[0:1], -1
.LBB14_449:
	s_andn2_b64 vcc, exec, s[22:23]
	s_cbranch_vccnz .LBB14_462
; %bb.450:
	s_cmp_gt_i32 s28, 14
	s_cbranch_scc0 .LBB14_453
; %bb.451:
	s_cmp_eq_u32 s28, 15
	s_cbranch_scc0 .LBB14_456
; %bb.452:
	global_load_ushort v2, v[0:1], off
	s_mov_b64 s[0:1], -1
	s_mov_b64 s[20:21], 0
	s_waitcnt vmcnt(0)
	v_lshlrev_b32_e32 v2, 16, v2
	s_branch .LBB14_457
.LBB14_453:
	s_mov_b64 s[22:23], -1
                                        ; implicit-def: $vgpr2
	s_branch .LBB14_458
.LBB14_454:
	s_or_saveexec_b64 s[22:23], s[22:23]
	v_mov_b32_e32 v2, 0x7f800001
	s_xor_b64 exec, exec, s[22:23]
	s_cbranch_execz .LBB14_435
.LBB14_455:
	v_cmp_ne_u16_e32 vcc, 0, v3
	s_andn2_b64 s[0:1], s[0:1], exec
	s_and_b64 s[26:27], vcc, exec
	v_mov_b32_e32 v2, 0
	s_or_b64 s[0:1], s[0:1], s[26:27]
	s_or_b64 exec, exec, s[22:23]
	s_and_saveexec_b64 s[22:23], s[0:1]
	s_cbranch_execnz .LBB14_436
	s_branch .LBB14_437
.LBB14_456:
	s_mov_b64 s[20:21], -1
                                        ; implicit-def: $vgpr2
.LBB14_457:
	s_mov_b64 s[22:23], 0
.LBB14_458:
	s_and_b64 vcc, exec, s[22:23]
	s_cbranch_vccz .LBB14_462
; %bb.459:
	s_cmp_eq_u32 s28, 11
	s_cbranch_scc0 .LBB14_461
; %bb.460:
	global_load_ubyte v2, v[0:1], off
	s_mov_b64 s[0:1], -1
	s_mov_b64 s[20:21], 0
	s_waitcnt vmcnt(0)
	v_cmp_ne_u16_e32 vcc, 0, v2
	v_cndmask_b32_e64 v2, 0, 1.0, vcc
	s_branch .LBB14_462
.LBB14_461:
	s_mov_b64 s[20:21], -1
                                        ; implicit-def: $vgpr2
.LBB14_462:
	s_branch .LBB14_265
.LBB14_463:
	s_cmp_lt_i32 s28, 5
	s_cbranch_scc1 .LBB14_468
; %bb.464:
	s_cmp_lt_i32 s28, 8
	s_cbranch_scc1 .LBB14_469
; %bb.465:
	;; [unrolled: 3-line block ×3, first 2 shown]
	s_cmp_gt_i32 s28, 9
	s_cbranch_scc0 .LBB14_471
; %bb.467:
	global_load_dwordx2 v[2:3], v[0:1], off
	s_mov_b64 s[0:1], 0
	s_waitcnt vmcnt(0)
	v_cvt_f32_f64_e32 v2, v[2:3]
	s_branch .LBB14_472
.LBB14_468:
	s_mov_b64 s[0:1], -1
                                        ; implicit-def: $vgpr2
	s_branch .LBB14_490
.LBB14_469:
	s_mov_b64 s[0:1], -1
                                        ; implicit-def: $vgpr2
	s_branch .LBB14_478
.LBB14_470:
	s_mov_b64 s[0:1], -1
                                        ; implicit-def: $vgpr2
	s_branch .LBB14_475
.LBB14_471:
	s_mov_b64 s[0:1], -1
                                        ; implicit-def: $vgpr2
.LBB14_472:
	s_andn2_b64 vcc, exec, s[0:1]
	s_cbranch_vccnz .LBB14_474
; %bb.473:
	global_load_dword v2, v[0:1], off
.LBB14_474:
	s_mov_b64 s[0:1], 0
.LBB14_475:
	s_andn2_b64 vcc, exec, s[0:1]
	s_cbranch_vccnz .LBB14_477
; %bb.476:
	global_load_dword v2, v[0:1], off
	s_waitcnt vmcnt(0)
	v_cvt_f32_f16_e32 v2, v2
.LBB14_477:
	s_mov_b64 s[0:1], 0
.LBB14_478:
	s_andn2_b64 vcc, exec, s[0:1]
	s_cbranch_vccnz .LBB14_489
; %bb.479:
	s_cmp_lt_i32 s28, 6
	s_cbranch_scc1 .LBB14_482
; %bb.480:
	s_cmp_gt_i32 s28, 6
	s_cbranch_scc0 .LBB14_483
; %bb.481:
	global_load_dwordx2 v[2:3], v[0:1], off
	s_mov_b64 s[0:1], 0
	s_waitcnt vmcnt(0)
	v_cvt_f32_f64_e32 v2, v[2:3]
	s_branch .LBB14_484
.LBB14_482:
	s_mov_b64 s[0:1], -1
                                        ; implicit-def: $vgpr2
	s_branch .LBB14_487
.LBB14_483:
	s_mov_b64 s[0:1], -1
                                        ; implicit-def: $vgpr2
.LBB14_484:
	s_andn2_b64 vcc, exec, s[0:1]
	s_cbranch_vccnz .LBB14_486
; %bb.485:
	global_load_dword v2, v[0:1], off
.LBB14_486:
	s_mov_b64 s[0:1], 0
.LBB14_487:
	s_andn2_b64 vcc, exec, s[0:1]
	s_cbranch_vccnz .LBB14_489
; %bb.488:
	global_load_ushort v2, v[0:1], off
	s_waitcnt vmcnt(0)
	v_cvt_f32_f16_e32 v2, v2
.LBB14_489:
	s_mov_b64 s[0:1], 0
.LBB14_490:
	s_andn2_b64 vcc, exec, s[0:1]
	s_cbranch_vccnz .LBB14_510
; %bb.491:
	s_cmp_lt_i32 s28, 2
	s_cbranch_scc1 .LBB14_495
; %bb.492:
	s_cmp_lt_i32 s28, 3
	s_cbranch_scc1 .LBB14_496
; %bb.493:
	s_cmp_gt_i32 s28, 3
	s_cbranch_scc0 .LBB14_497
; %bb.494:
	global_load_dwordx2 v[2:3], v[0:1], off
	s_mov_b64 s[0:1], 0
	s_waitcnt vmcnt(0)
	v_xor_b32_e32 v6, v2, v3
	v_ffbh_i32_e32 v5, v3
	v_ashrrev_i32_e32 v6, 31, v6
	v_add_u32_e32 v5, -1, v5
	v_add_u32_e32 v6, 32, v6
	v_min_u32_e32 v5, v5, v6
	v_lshlrev_b64 v[2:3], v5, v[2:3]
	v_min_u32_e32 v2, 1, v2
	v_or_b32_e32 v2, v3, v2
	v_cvt_f32_i32_e32 v2, v2
	v_sub_u32_e32 v3, 32, v5
	v_ldexp_f32 v2, v2, v3
	s_branch .LBB14_498
.LBB14_495:
	s_mov_b64 s[0:1], -1
                                        ; implicit-def: $vgpr2
	s_branch .LBB14_504
.LBB14_496:
	s_mov_b64 s[0:1], -1
                                        ; implicit-def: $vgpr2
	s_branch .LBB14_501
.LBB14_497:
	s_mov_b64 s[0:1], -1
                                        ; implicit-def: $vgpr2
.LBB14_498:
	s_andn2_b64 vcc, exec, s[0:1]
	s_cbranch_vccnz .LBB14_500
; %bb.499:
	global_load_dword v2, v[0:1], off
	s_waitcnt vmcnt(0)
	v_cvt_f32_i32_e32 v2, v2
.LBB14_500:
	s_mov_b64 s[0:1], 0
.LBB14_501:
	s_andn2_b64 vcc, exec, s[0:1]
	s_cbranch_vccnz .LBB14_503
; %bb.502:
	global_load_sshort v2, v[0:1], off
	s_waitcnt vmcnt(0)
	v_cvt_f32_i32_e32 v2, v2
.LBB14_503:
	s_mov_b64 s[0:1], 0
.LBB14_504:
	s_andn2_b64 vcc, exec, s[0:1]
	s_cbranch_vccnz .LBB14_510
; %bb.505:
	s_cmp_gt_i32 s28, 0
	s_cbranch_scc0 .LBB14_507
; %bb.506:
	global_load_sbyte v2, v[0:1], off
	s_mov_b64 s[0:1], 0
	s_waitcnt vmcnt(0)
	v_cvt_f32_i32_e32 v2, v2
	s_branch .LBB14_508
.LBB14_507:
	s_mov_b64 s[0:1], -1
                                        ; implicit-def: $vgpr2
.LBB14_508:
	s_andn2_b64 vcc, exec, s[0:1]
	s_cbranch_vccnz .LBB14_510
; %bb.509:
	global_load_ubyte v0, v[0:1], off
	s_waitcnt vmcnt(0)
	v_cvt_f32_ubyte0_e32 v2, v0
.LBB14_510:
	s_branch .LBB14_266
.LBB14_511:
	s_mov_b64 s[26:27], 0
                                        ; implicit-def: $vgpr4
	s_mov_b64 s[0:1], s[6:7]
.LBB14_512:
	s_andn2_b64 s[22:23], s[6:7], exec
	s_and_b64 s[0:1], s[0:1], exec
	s_or_b64 s[22:23], s[22:23], s[0:1]
	s_andn2_b64 s[0:1], s[16:17], exec
	s_and_b64 s[20:21], s[20:21], exec
	s_or_b64 s[20:21], s[0:1], s[20:21]
	s_orn2_b64 s[0:1], s[26:27], exec
.LBB14_513:
	s_or_b64 exec, exec, s[24:25]
	s_mov_b64 s[26:27], 0
	s_mov_b64 s[28:29], 0
	;; [unrolled: 1-line block ×3, first 2 shown]
                                        ; implicit-def: $vgpr0_vgpr1
                                        ; implicit-def: $vgpr3
	s_and_saveexec_b64 s[24:25], s[0:1]
	s_cbranch_execz .LBB14_858
; %bb.514:
	v_cmp_gt_i32_e32 vcc, s40, v4
	s_mov_b64 s[36:37], -1
	s_mov_b64 s[0:1], s[20:21]
	s_mov_b64 s[30:31], s[22:23]
	s_and_saveexec_b64 s[26:27], vcc
	s_cbranch_execz .LBB14_772
; %bb.515:
	v_mul_lo_u32 v0, v4, s13
	v_mov_b32_e32 v1, s11
	s_and_b32 s36, 0xffff, s15
	s_cmp_lt_i32 s36, 11
	s_waitcnt vmcnt(0)
	v_ashrrev_i32_e32 v2, 31, v0
	v_add_co_u32_e32 v0, vcc, s10, v0
	v_addc_co_u32_e32 v1, vcc, v1, v2, vcc
	s_cbranch_scc1 .LBB14_522
; %bb.516:
	s_cmp_gt_i32 s36, 25
	s_cbranch_scc0 .LBB14_523
; %bb.517:
	s_cmp_gt_i32 s36, 28
	s_cbranch_scc0 .LBB14_524
	;; [unrolled: 3-line block ×4, first 2 shown]
; %bb.520:
	s_cmp_eq_u32 s36, 46
	s_mov_b64 s[30:31], 0
	s_cbranch_scc0 .LBB14_531
; %bb.521:
	global_load_dword v2, v[0:1], off
	s_mov_b64 s[0:1], -1
	s_waitcnt vmcnt(0)
	v_lshlrev_b32_e32 v2, 16, v2
	s_branch .LBB14_532
.LBB14_522:
	s_mov_b64 s[30:31], -1
	s_mov_b64 s[0:1], 0
                                        ; implicit-def: $vgpr2
	s_mov_b64 s[28:29], s[20:21]
	s_branch .LBB14_597
.LBB14_523:
	s_mov_b64 s[30:31], -1
	s_mov_b64 s[0:1], 0
	s_mov_b64 s[28:29], s[20:21]
                                        ; implicit-def: $vgpr2
	s_branch .LBB14_561
.LBB14_524:
	s_mov_b64 s[30:31], -1
	s_mov_b64 s[0:1], 0
	s_mov_b64 s[28:29], s[20:21]
                                        ; implicit-def: $vgpr2
	s_branch .LBB14_542
.LBB14_525:
	s_mov_b64 s[30:31], -1
	s_mov_b64 s[0:1], 0
	s_mov_b64 s[28:29], s[20:21]
                                        ; implicit-def: $vgpr2
	s_branch .LBB14_537
.LBB14_526:
	s_andn2_saveexec_b64 s[28:29], s[28:29]
	s_cbranch_execz .LBB14_311
.LBB14_527:
	s_mov_b32 s34, 0x46000000
	v_add_f32_e64 v3, |v2|, s34
	v_and_b32_e32 v3, 0xff, v3
	v_cmp_ne_u32_e32 vcc, 0, v3
	s_andn2_b64 s[26:27], s[26:27], exec
	s_and_b64 s[34:35], vcc, exec
	s_or_b64 s[26:27], s[26:27], s[34:35]
	s_or_b64 exec, exec, s[28:29]
	v_mov_b32_e32 v5, 0
	s_and_saveexec_b64 s[28:29], s[26:27]
	s_cbranch_execnz .LBB14_312
	s_branch .LBB14_313
.LBB14_528:
	s_mov_b64 s[30:31], -1
	s_mov_b64 s[0:1], 0
	s_mov_b64 s[28:29], s[20:21]
                                        ; implicit-def: $vgpr2
	s_branch .LBB14_532
.LBB14_529:
	s_andn2_saveexec_b64 s[28:29], s[28:29]
	s_cbranch_execz .LBB14_324
.LBB14_530:
	s_mov_b32 s34, 0x42800000
	v_add_f32_e64 v3, |v2|, s34
	v_and_b32_e32 v3, 0xff, v3
	v_cmp_ne_u32_e32 vcc, 0, v3
	s_andn2_b64 s[26:27], s[26:27], exec
	s_and_b64 s[34:35], vcc, exec
	s_or_b64 s[26:27], s[26:27], s[34:35]
	s_or_b64 exec, exec, s[28:29]
	v_mov_b32_e32 v5, 0
	s_and_saveexec_b64 s[28:29], s[26:27]
	s_cbranch_execnz .LBB14_325
	s_branch .LBB14_326
.LBB14_531:
	s_mov_b64 s[28:29], -1
                                        ; implicit-def: $vgpr2
	s_mov_b64 s[0:1], 0
.LBB14_532:
	s_and_b64 vcc, exec, s[30:31]
	s_cbranch_vccz .LBB14_536
; %bb.533:
	s_cmp_eq_u32 s36, 44
	s_cbranch_scc0 .LBB14_535
; %bb.534:
	global_load_ubyte v2, v[0:1], off
	s_movk_i32 s28, 0xff
	v_mov_b32_e32 v3, 0x7f800001
	v_mov_b32_e32 v5, 0x400000
	s_mov_b64 s[0:1], -1
	s_waitcnt vmcnt(0)
	v_lshlrev_b32_e32 v6, 23, v2
	v_cmp_ne_u32_e32 vcc, s28, v2
	v_cndmask_b32_e32 v3, v3, v6, vcc
	v_cmp_ne_u32_e32 vcc, 0, v2
	v_cndmask_b32_e32 v2, v5, v3, vcc
	s_mov_b64 s[28:29], 0
	s_branch .LBB14_536
.LBB14_535:
	s_mov_b64 s[28:29], -1
                                        ; implicit-def: $vgpr2
.LBB14_536:
	s_mov_b64 s[30:31], 0
.LBB14_537:
	s_and_b64 vcc, exec, s[30:31]
	s_cbranch_vccz .LBB14_541
; %bb.538:
	s_cmp_eq_u32 s36, 29
	s_cbranch_scc0 .LBB14_540
; %bb.539:
	global_load_dwordx2 v[2:3], v[0:1], off
	s_mov_b64 s[0:1], -1
	s_mov_b64 s[28:29], 0
	s_mov_b64 s[30:31], 0
	s_waitcnt vmcnt(0)
	v_ffbh_u32_e32 v5, v3
	v_min_u32_e32 v5, 32, v5
	v_lshlrev_b64 v[2:3], v5, v[2:3]
	v_min_u32_e32 v2, 1, v2
	v_or_b32_e32 v2, v3, v2
	v_cvt_f32_u32_e32 v2, v2
	v_sub_u32_e32 v3, 32, v5
	v_ldexp_f32 v2, v2, v3
	s_branch .LBB14_542
.LBB14_540:
	s_mov_b64 s[28:29], -1
                                        ; implicit-def: $vgpr2
.LBB14_541:
	s_mov_b64 s[30:31], 0
.LBB14_542:
	s_and_b64 vcc, exec, s[30:31]
	s_cbranch_vccz .LBB14_560
; %bb.543:
	s_cmp_lt_i32 s36, 27
	s_cbranch_scc1 .LBB14_546
; %bb.544:
	s_cmp_gt_i32 s36, 27
	s_cbranch_scc0 .LBB14_547
; %bb.545:
	global_load_dword v2, v[0:1], off
	s_mov_b64 s[0:1], 0
	s_waitcnt vmcnt(0)
	v_cvt_f32_u32_e32 v2, v2
	s_branch .LBB14_548
.LBB14_546:
	s_mov_b64 s[0:1], -1
                                        ; implicit-def: $vgpr2
	s_branch .LBB14_551
.LBB14_547:
	s_mov_b64 s[0:1], -1
                                        ; implicit-def: $vgpr2
.LBB14_548:
	s_andn2_b64 vcc, exec, s[0:1]
	s_cbranch_vccnz .LBB14_550
; %bb.549:
	global_load_ushort v2, v[0:1], off
	s_waitcnt vmcnt(0)
	v_cvt_f32_u32_e32 v2, v2
.LBB14_550:
	s_mov_b64 s[0:1], 0
.LBB14_551:
	s_andn2_b64 vcc, exec, s[0:1]
	s_cbranch_vccnz .LBB14_559
; %bb.552:
	global_load_ubyte v3, v[0:1], off
	s_movk_i32 s0, 0x7f
	s_waitcnt vmcnt(0)
	v_cmp_lt_i16_e32 vcc, s0, v3
	s_mov_b64 s[0:1], 0
	s_and_saveexec_b64 s[30:31], vcc
	s_xor_b64 s[30:31], exec, s[30:31]
	s_cbranch_execz .LBB14_573
; %bb.553:
	s_movk_i32 s0, 0x80
	v_cmp_eq_u16_e32 vcc, s0, v3
	s_mov_b64 s[0:1], -1
	s_and_saveexec_b64 s[34:35], vcc
; %bb.554:
	s_xor_b64 s[0:1], exec, -1
; %bb.555:
	s_or_b64 exec, exec, s[34:35]
	s_and_b64 s[0:1], s[0:1], exec
	s_or_saveexec_b64 s[30:31], s[30:31]
	v_mov_b32_e32 v2, 0x7f800001
	s_xor_b64 exec, exec, s[30:31]
	s_cbranch_execnz .LBB14_574
.LBB14_556:
	s_or_b64 exec, exec, s[30:31]
	s_and_saveexec_b64 s[30:31], s[0:1]
	s_cbranch_execz .LBB14_558
.LBB14_557:
	v_lshlrev_b32_e32 v2, 24, v3
	v_and_b32_e32 v3, 0xffff, v3
	v_and_b32_e32 v5, 7, v3
	v_ffbh_u32_e32 v7, v5
	v_min_u32_e32 v7, 32, v7
	v_subrev_u32_e32 v8, 28, v7
	v_bfe_u32 v6, v3, 3, 4
	v_lshlrev_b32_e32 v3, v8, v3
	v_sub_u32_e32 v7, 29, v7
	v_and_b32_e32 v3, 7, v3
	v_cmp_eq_u32_e32 vcc, 0, v6
	v_cndmask_b32_e32 v6, v6, v7, vcc
	v_cndmask_b32_e32 v3, v5, v3, vcc
	v_mov_b32_e32 v5, 0x3b800000
	v_lshlrev_b32_e32 v3, 20, v3
	v_and_b32_e32 v2, 0x80000000, v2
	v_lshl_add_u32 v5, v6, 23, v5
	v_or3_b32 v2, v2, v5, v3
.LBB14_558:
	s_or_b64 exec, exec, s[30:31]
.LBB14_559:
	s_mov_b64 s[0:1], -1
.LBB14_560:
	s_mov_b64 s[30:31], 0
.LBB14_561:
	s_and_b64 vcc, exec, s[30:31]
	s_cbranch_vccz .LBB14_596
; %bb.562:
	s_cmp_gt_i32 s36, 22
	s_cbranch_scc0 .LBB14_572
; %bb.563:
	s_cmp_lt_i32 s36, 24
	s_cbranch_scc1 .LBB14_575
; %bb.564:
	s_cmp_gt_i32 s36, 24
	s_cbranch_scc0 .LBB14_576
; %bb.565:
	global_load_ubyte v3, v[0:1], off
	s_movk_i32 s0, 0x7f
	s_waitcnt vmcnt(0)
	v_cmp_lt_i16_e32 vcc, s0, v3
	s_mov_b64 s[0:1], 0
	s_and_saveexec_b64 s[30:31], vcc
	s_xor_b64 s[30:31], exec, s[30:31]
	s_cbranch_execz .LBB14_588
; %bb.566:
	s_movk_i32 s0, 0x80
	v_cmp_eq_u16_e32 vcc, s0, v3
	s_mov_b64 s[0:1], -1
	s_and_saveexec_b64 s[34:35], vcc
; %bb.567:
	s_xor_b64 s[0:1], exec, -1
; %bb.568:
	s_or_b64 exec, exec, s[34:35]
	s_and_b64 s[0:1], s[0:1], exec
	s_or_saveexec_b64 s[30:31], s[30:31]
	v_mov_b32_e32 v2, 0x7f800001
	s_xor_b64 exec, exec, s[30:31]
	s_cbranch_execnz .LBB14_589
.LBB14_569:
	s_or_b64 exec, exec, s[30:31]
	s_and_saveexec_b64 s[30:31], s[0:1]
	s_cbranch_execz .LBB14_571
.LBB14_570:
	v_lshlrev_b32_e32 v2, 24, v3
	v_and_b32_e32 v3, 0xffff, v3
	v_and_b32_e32 v5, 3, v3
	v_ffbh_u32_e32 v7, v5
	v_min_u32_e32 v7, 32, v7
	v_subrev_u32_e32 v8, 29, v7
	v_bfe_u32 v6, v3, 2, 5
	v_lshlrev_b32_e32 v3, v8, v3
	v_sub_u32_e32 v7, 30, v7
	v_and_b32_e32 v3, 3, v3
	v_cmp_eq_u32_e32 vcc, 0, v6
	v_cndmask_b32_e32 v6, v6, v7, vcc
	v_cndmask_b32_e32 v3, v5, v3, vcc
	v_mov_b32_e32 v5, 0x37800000
	v_lshlrev_b32_e32 v3, 21, v3
	v_and_b32_e32 v2, 0x80000000, v2
	v_lshl_add_u32 v5, v6, 23, v5
	v_or3_b32 v2, v2, v5, v3
.LBB14_571:
	s_or_b64 exec, exec, s[30:31]
	s_mov_b64 s[0:1], 0
	s_branch .LBB14_577
.LBB14_572:
	s_mov_b64 s[30:31], -1
                                        ; implicit-def: $vgpr2
	s_branch .LBB14_583
.LBB14_573:
	s_or_saveexec_b64 s[30:31], s[30:31]
	v_mov_b32_e32 v2, 0x7f800001
	s_xor_b64 exec, exec, s[30:31]
	s_cbranch_execz .LBB14_556
.LBB14_574:
	v_cmp_ne_u16_e32 vcc, 0, v3
	s_andn2_b64 s[0:1], s[0:1], exec
	s_and_b64 s[34:35], vcc, exec
	v_mov_b32_e32 v2, 0
	s_or_b64 s[0:1], s[0:1], s[34:35]
	s_or_b64 exec, exec, s[30:31]
	s_and_saveexec_b64 s[30:31], s[0:1]
	s_cbranch_execnz .LBB14_557
	s_branch .LBB14_558
.LBB14_575:
	s_mov_b64 s[0:1], -1
                                        ; implicit-def: $vgpr2
	s_branch .LBB14_580
.LBB14_576:
	s_mov_b64 s[0:1], -1
                                        ; implicit-def: $vgpr2
.LBB14_577:
	s_and_b64 vcc, exec, s[0:1]
	s_cbranch_vccz .LBB14_579
; %bb.578:
	global_load_ubyte v2, v[0:1], off
	s_mov_b32 s0, 0x7f800000
	s_waitcnt vmcnt(0)
	v_lshlrev_b32_e32 v2, 24, v2
	v_and_b32_e32 v3, 0x7f000000, v2
	v_ffbh_u32_e32 v5, v3
	v_min_u32_e32 v5, 32, v5
	v_sub_u32_e64 v5, v5, 4 clamp
	v_lshlrev_b32_e32 v7, v5, v3
	v_lshlrev_b32_e32 v5, 23, v5
	v_lshrrev_b32_e32 v7, 4, v7
	v_add_u32_e32 v6, 0x1000000, v3
	v_sub_u32_e32 v5, v7, v5
	v_ashrrev_i32_e32 v6, 8, v6
	v_add_u32_e32 v5, 0x3c000000, v5
	v_and_or_b32 v5, v6, s0, v5
	v_cmp_ne_u32_e32 vcc, 0, v3
	v_cndmask_b32_e32 v3, 0, v5, vcc
	s_brev_b32 s0, 1
	v_and_or_b32 v2, v2, s0, v3
.LBB14_579:
	s_mov_b64 s[0:1], 0
.LBB14_580:
	s_andn2_b64 vcc, exec, s[0:1]
	s_cbranch_vccnz .LBB14_582
; %bb.581:
	global_load_ubyte v2, v[0:1], off
	s_movk_i32 s0, 0x7f00
	s_brev_b32 s1, 16
	s_waitcnt vmcnt(0)
	v_lshlrev_b16_e32 v3, 8, v2
	v_lshlrev_b32_e32 v2, 25, v2
	v_lshrrev_b32_e32 v5, 4, v2
	v_and_or_b32 v6, v3, s0, 0.5
	v_or_b32_e32 v5, 0x70000000, v5
	v_add_f32_e32 v6, -0.5, v6
	v_mul_f32_e32 v5, 0x7800000, v5
	v_cmp_gt_u32_e32 vcc, s1, v2
	v_bfe_i32 v3, v3, 0, 16
	v_cndmask_b32_e32 v2, v5, v6, vcc
	s_brev_b32 s0, 1
	v_and_or_b32 v2, v3, s0, v2
.LBB14_582:
	s_mov_b64 s[30:31], 0
	s_mov_b64 s[0:1], -1
.LBB14_583:
	s_andn2_b64 vcc, exec, s[30:31]
	s_cbranch_vccnz .LBB14_596
; %bb.584:
	s_cmp_gt_i32 s36, 14
	s_cbranch_scc0 .LBB14_587
; %bb.585:
	s_cmp_eq_u32 s36, 15
	s_cbranch_scc0 .LBB14_590
; %bb.586:
	global_load_ushort v2, v[0:1], off
	s_mov_b64 s[0:1], -1
	s_mov_b64 s[28:29], 0
	s_waitcnt vmcnt(0)
	v_lshlrev_b32_e32 v2, 16, v2
	s_branch .LBB14_591
.LBB14_587:
	s_mov_b64 s[30:31], -1
                                        ; implicit-def: $vgpr2
	s_branch .LBB14_592
.LBB14_588:
	s_or_saveexec_b64 s[30:31], s[30:31]
	v_mov_b32_e32 v2, 0x7f800001
	s_xor_b64 exec, exec, s[30:31]
	s_cbranch_execz .LBB14_569
.LBB14_589:
	v_cmp_ne_u16_e32 vcc, 0, v3
	s_andn2_b64 s[0:1], s[0:1], exec
	s_and_b64 s[34:35], vcc, exec
	v_mov_b32_e32 v2, 0
	s_or_b64 s[0:1], s[0:1], s[34:35]
	s_or_b64 exec, exec, s[30:31]
	s_and_saveexec_b64 s[30:31], s[0:1]
	s_cbranch_execnz .LBB14_570
	s_branch .LBB14_571
.LBB14_590:
	s_mov_b64 s[28:29], -1
                                        ; implicit-def: $vgpr2
.LBB14_591:
	s_mov_b64 s[30:31], 0
.LBB14_592:
	s_and_b64 vcc, exec, s[30:31]
	s_cbranch_vccz .LBB14_596
; %bb.593:
	s_cmp_eq_u32 s36, 11
	s_cbranch_scc0 .LBB14_595
; %bb.594:
	global_load_ubyte v2, v[0:1], off
	s_mov_b64 s[0:1], -1
	s_mov_b64 s[28:29], 0
	s_waitcnt vmcnt(0)
	v_cmp_ne_u16_e32 vcc, 0, v2
	v_cndmask_b32_e64 v2, 0, 1.0, vcc
	s_branch .LBB14_596
.LBB14_595:
	s_mov_b64 s[28:29], -1
                                        ; implicit-def: $vgpr2
.LBB14_596:
	s_mov_b64 s[30:31], 0
.LBB14_597:
	s_and_b64 vcc, exec, s[30:31]
	s_cbranch_vccz .LBB14_646
; %bb.598:
	s_cmp_lt_i32 s36, 5
	s_cbranch_scc1 .LBB14_603
; %bb.599:
	s_cmp_lt_i32 s36, 8
	s_cbranch_scc1 .LBB14_604
; %bb.600:
	s_cmp_lt_i32 s36, 9
	s_cbranch_scc1 .LBB14_605
; %bb.601:
	s_cmp_gt_i32 s36, 9
	s_cbranch_scc0 .LBB14_606
; %bb.602:
	global_load_dwordx2 v[2:3], v[0:1], off
	s_mov_b64 s[0:1], 0
	s_waitcnt vmcnt(0)
	v_cvt_f32_f64_e32 v2, v[2:3]
	s_branch .LBB14_607
.LBB14_603:
	s_mov_b64 s[0:1], -1
                                        ; implicit-def: $vgpr2
	s_branch .LBB14_625
.LBB14_604:
	s_mov_b64 s[0:1], -1
                                        ; implicit-def: $vgpr2
	s_branch .LBB14_613
.LBB14_605:
	s_mov_b64 s[0:1], -1
                                        ; implicit-def: $vgpr2
	s_branch .LBB14_610
.LBB14_606:
	s_mov_b64 s[0:1], -1
                                        ; implicit-def: $vgpr2
.LBB14_607:
	s_andn2_b64 vcc, exec, s[0:1]
	s_cbranch_vccnz .LBB14_609
; %bb.608:
	global_load_dword v2, v[0:1], off
.LBB14_609:
	s_mov_b64 s[0:1], 0
.LBB14_610:
	s_andn2_b64 vcc, exec, s[0:1]
	s_cbranch_vccnz .LBB14_612
; %bb.611:
	global_load_dword v2, v[0:1], off
	s_waitcnt vmcnt(0)
	v_cvt_f32_f16_e32 v2, v2
.LBB14_612:
	s_mov_b64 s[0:1], 0
.LBB14_613:
	s_andn2_b64 vcc, exec, s[0:1]
	s_cbranch_vccnz .LBB14_624
; %bb.614:
	s_cmp_lt_i32 s36, 6
	s_cbranch_scc1 .LBB14_617
; %bb.615:
	s_cmp_gt_i32 s36, 6
	s_cbranch_scc0 .LBB14_618
; %bb.616:
	global_load_dwordx2 v[2:3], v[0:1], off
	s_mov_b64 s[0:1], 0
	s_waitcnt vmcnt(0)
	v_cvt_f32_f64_e32 v2, v[2:3]
	s_branch .LBB14_619
.LBB14_617:
	s_mov_b64 s[0:1], -1
                                        ; implicit-def: $vgpr2
	s_branch .LBB14_622
.LBB14_618:
	s_mov_b64 s[0:1], -1
                                        ; implicit-def: $vgpr2
.LBB14_619:
	s_andn2_b64 vcc, exec, s[0:1]
	s_cbranch_vccnz .LBB14_621
; %bb.620:
	global_load_dword v2, v[0:1], off
.LBB14_621:
	s_mov_b64 s[0:1], 0
.LBB14_622:
	s_andn2_b64 vcc, exec, s[0:1]
	s_cbranch_vccnz .LBB14_624
; %bb.623:
	global_load_ushort v2, v[0:1], off
	s_waitcnt vmcnt(0)
	v_cvt_f32_f16_e32 v2, v2
.LBB14_624:
	s_mov_b64 s[0:1], 0
.LBB14_625:
	s_andn2_b64 vcc, exec, s[0:1]
	s_cbranch_vccnz .LBB14_645
; %bb.626:
	s_cmp_lt_i32 s36, 2
	s_cbranch_scc1 .LBB14_630
; %bb.627:
	s_cmp_lt_i32 s36, 3
	s_cbranch_scc1 .LBB14_631
; %bb.628:
	s_cmp_gt_i32 s36, 3
	s_cbranch_scc0 .LBB14_632
; %bb.629:
	global_load_dwordx2 v[2:3], v[0:1], off
	s_mov_b64 s[0:1], 0
	s_waitcnt vmcnt(0)
	v_xor_b32_e32 v6, v2, v3
	v_ffbh_i32_e32 v5, v3
	v_ashrrev_i32_e32 v6, 31, v6
	v_add_u32_e32 v5, -1, v5
	v_add_u32_e32 v6, 32, v6
	v_min_u32_e32 v5, v5, v6
	v_lshlrev_b64 v[2:3], v5, v[2:3]
	v_min_u32_e32 v2, 1, v2
	v_or_b32_e32 v2, v3, v2
	v_cvt_f32_i32_e32 v2, v2
	v_sub_u32_e32 v3, 32, v5
	v_ldexp_f32 v2, v2, v3
	s_branch .LBB14_633
.LBB14_630:
	s_mov_b64 s[0:1], -1
                                        ; implicit-def: $vgpr2
	s_branch .LBB14_639
.LBB14_631:
	s_mov_b64 s[0:1], -1
                                        ; implicit-def: $vgpr2
	s_branch .LBB14_636
.LBB14_632:
	s_mov_b64 s[0:1], -1
                                        ; implicit-def: $vgpr2
.LBB14_633:
	s_andn2_b64 vcc, exec, s[0:1]
	s_cbranch_vccnz .LBB14_635
; %bb.634:
	global_load_dword v2, v[0:1], off
	s_waitcnt vmcnt(0)
	v_cvt_f32_i32_e32 v2, v2
.LBB14_635:
	s_mov_b64 s[0:1], 0
.LBB14_636:
	s_andn2_b64 vcc, exec, s[0:1]
	s_cbranch_vccnz .LBB14_638
; %bb.637:
	global_load_sshort v2, v[0:1], off
	s_waitcnt vmcnt(0)
	v_cvt_f32_i32_e32 v2, v2
.LBB14_638:
	s_mov_b64 s[0:1], 0
.LBB14_639:
	s_andn2_b64 vcc, exec, s[0:1]
	s_cbranch_vccnz .LBB14_645
; %bb.640:
	s_cmp_gt_i32 s36, 0
	s_cbranch_scc0 .LBB14_642
; %bb.641:
	global_load_sbyte v2, v[0:1], off
	s_mov_b64 s[0:1], 0
	s_waitcnt vmcnt(0)
	v_cvt_f32_i32_e32 v2, v2
	s_branch .LBB14_643
.LBB14_642:
	s_mov_b64 s[0:1], -1
                                        ; implicit-def: $vgpr2
.LBB14_643:
	s_andn2_b64 vcc, exec, s[0:1]
	s_cbranch_vccnz .LBB14_645
; %bb.644:
	global_load_ubyte v0, v[0:1], off
	s_waitcnt vmcnt(0)
	v_cvt_f32_ubyte0_e32 v2, v0
.LBB14_645:
	s_mov_b64 s[0:1], -1
.LBB14_646:
	s_andn2_b64 vcc, exec, s[0:1]
	s_cbranch_vccnz .LBB14_654
; %bb.647:
	v_mul_lo_u32 v0, v4, s12
	s_waitcnt vmcnt(0)
	v_cmp_nge_f32_e64 s[0:1], v2, -s14
	v_cmp_nge_f32_e32 vcc, s14, v2
	s_or_b64 vcc, s[0:1], vcc
	v_cndmask_b32_e32 v2, 0, v2, vcc
	v_ashrrev_i32_e32 v1, 31, v0
	v_mov_b32_e32 v3, s9
	s_and_b32 s38, s33, 0xff
	v_add_co_u32_e32 v0, vcc, s8, v0
	s_cmp_lt_i32 s38, 11
	v_addc_co_u32_e32 v1, vcc, v3, v1, vcc
	s_cbranch_scc1 .LBB14_655
; %bb.648:
	s_and_b32 s39, 0xffff, s38
	s_cmp_gt_i32 s39, 25
	s_cbranch_scc0 .LBB14_656
; %bb.649:
	s_cmp_gt_i32 s39, 28
	s_cbranch_scc0 .LBB14_657
; %bb.650:
	s_cmp_gt_i32 s39, 43
	s_cbranch_scc0 .LBB14_658
; %bb.651:
	s_cmp_gt_i32 s39, 45
	s_cbranch_scc0 .LBB14_659
; %bb.652:
	s_mov_b64 s[34:35], 0
	s_mov_b64 s[0:1], -1
	s_cmp_eq_u32 s39, 46
	s_mov_b64 s[30:31], 0
	s_cbranch_scc0 .LBB14_660
; %bb.653:
	v_bfe_u32 v3, v2, 16, 1
	s_movk_i32 s0, 0x7fff
	v_add3_u32 v3, v2, v3, s0
	v_cmp_o_f32_e32 vcc, v2, v2
	v_mov_b32_e32 v5, 0x7fc0
	v_cndmask_b32_sdwa v3, v5, v3, vcc dst_sel:DWORD dst_unused:UNUSED_PAD src0_sel:DWORD src1_sel:WORD_1
	global_store_dword v[0:1], v3, off
	s_mov_b64 s[30:31], -1
	s_mov_b64 s[0:1], 0
	s_branch .LBB14_660
.LBB14_654:
	s_mov_b64 s[34:35], 0
                                        ; implicit-def: $vgpr4
	s_mov_b64 s[0:1], s[22:23]
	s_branch .LBB14_771
.LBB14_655:
	s_mov_b64 s[34:35], -1
	s_mov_b64 s[30:31], 0
	s_mov_b64 s[0:1], s[22:23]
	s_branch .LBB14_729
.LBB14_656:
	s_mov_b64 s[34:35], -1
	s_mov_b64 s[30:31], 0
	s_mov_b64 s[0:1], s[22:23]
	s_branch .LBB14_687
.LBB14_657:
	s_mov_b64 s[34:35], -1
	s_mov_b64 s[30:31], 0
	s_mov_b64 s[0:1], s[22:23]
	s_branch .LBB14_670
.LBB14_658:
	s_mov_b64 s[34:35], -1
	s_mov_b64 s[30:31], 0
	s_mov_b64 s[0:1], s[22:23]
	s_branch .LBB14_666
.LBB14_659:
	s_mov_b64 s[34:35], -1
	s_mov_b64 s[30:31], 0
	s_mov_b64 s[0:1], s[22:23]
.LBB14_660:
	s_and_b64 vcc, exec, s[34:35]
	s_cbranch_vccz .LBB14_665
; %bb.661:
	s_cmp_eq_u32 s39, 44
	s_mov_b64 s[0:1], -1
	s_cbranch_scc0 .LBB14_665
; %bb.662:
	v_bfe_u32 v3, v2, 23, 8
	s_movk_i32 s0, 0xff
	v_cmp_ne_u32_e32 vcc, s0, v3
	v_mov_b32_e32 v5, 0xff
	s_and_saveexec_b64 s[30:31], vcc
; %bb.663:
	s_mov_b32 s0, 0x3fffff
	v_and_b32_e32 v6, 0x400000, v2
	v_and_or_b32 v3, v2, s0, v3
	v_cmp_ne_u32_e32 vcc, 0, v6
	v_cmp_ne_u32_e64 s[0:1], 0, v3
	s_and_b64 s[0:1], vcc, s[0:1]
	v_lshrrev_b32_e32 v5, 23, v2
	v_cndmask_b32_e64 v3, 0, 1, s[0:1]
	v_add_u32_e32 v5, v5, v3
; %bb.664:
	s_or_b64 exec, exec, s[30:31]
	s_mov_b64 s[30:31], -1
	s_mov_b64 s[0:1], 0
	global_store_byte v[0:1], v5, off
.LBB14_665:
	s_mov_b64 s[34:35], 0
.LBB14_666:
	s_and_b64 vcc, exec, s[34:35]
	s_cbranch_vccz .LBB14_669
; %bb.667:
	s_cmp_eq_u32 s39, 29
	s_mov_b64 s[0:1], -1
	s_cbranch_scc0 .LBB14_669
; %bb.668:
	v_trunc_f32_e32 v3, v2
	v_mul_f32_e32 v5, 0x2f800000, v3
	v_floor_f32_e32 v5, v5
	v_fmac_f32_e32 v3, 0xcf800000, v5
	v_cvt_u32_f32_e32 v6, v5
	v_cvt_u32_f32_e32 v5, v3
	s_mov_b64 s[30:31], -1
	s_mov_b64 s[0:1], 0
	s_mov_b64 s[34:35], 0
	global_store_dwordx2 v[0:1], v[5:6], off
	s_branch .LBB14_670
.LBB14_669:
	s_mov_b64 s[34:35], 0
.LBB14_670:
	s_and_b64 vcc, exec, s[34:35]
	s_cbranch_vccz .LBB14_686
; %bb.671:
	s_cmp_lt_i32 s39, 27
	s_mov_b64 s[30:31], -1
	s_cbranch_scc1 .LBB14_677
; %bb.672:
	v_cvt_u32_f32_e32 v3, v2
	s_cmp_gt_i32 s39, 27
	s_cbranch_scc0 .LBB14_674
; %bb.673:
	s_mov_b64 s[30:31], 0
	global_store_dword v[0:1], v3, off
.LBB14_674:
	s_andn2_b64 vcc, exec, s[30:31]
	s_cbranch_vccnz .LBB14_676
; %bb.675:
	global_store_short v[0:1], v3, off
.LBB14_676:
	s_mov_b64 s[30:31], 0
.LBB14_677:
	s_andn2_b64 vcc, exec, s[30:31]
	s_cbranch_vccnz .LBB14_685
; %bb.678:
	v_and_b32_e32 v3, 0x7fffffff, v2
	s_mov_b32 s30, 0x43800000
	v_cmp_gt_u32_e32 vcc, s30, v3
	v_mov_b32_e32 v5, 0x80
	s_and_saveexec_b64 s[30:31], vcc
	s_cbranch_execz .LBB14_684
; %bb.679:
	s_mov_b32 s34, 0x3bffffff
	v_cmp_lt_u32_e32 vcc, s34, v3
	s_mov_b64 s[34:35], 0
                                        ; implicit-def: $vgpr3
	s_and_saveexec_b64 s[36:37], vcc
	s_xor_b64 s[36:37], exec, s[36:37]
	s_cbranch_execz .LBB14_785
; %bb.680:
	v_bfe_u32 v3, v2, 20, 1
	s_mov_b32 s41, 0x487ffff
	v_add3_u32 v3, v2, v3, s41
	s_mov_b64 s[34:35], exec
	v_lshrrev_b32_e32 v3, 20, v3
	s_andn2_saveexec_b64 s[36:37], s[36:37]
	s_cbranch_execnz .LBB14_786
.LBB14_681:
	s_or_b64 exec, exec, s[36:37]
	v_mov_b32_e32 v5, 0
	s_and_saveexec_b64 s[36:37], s[34:35]
.LBB14_682:
	v_lshrrev_b32_e32 v5, 24, v2
	s_movk_i32 s34, 0x80
	v_and_or_b32 v5, v5, s34, v3
.LBB14_683:
	s_or_b64 exec, exec, s[36:37]
.LBB14_684:
	s_or_b64 exec, exec, s[30:31]
	global_store_byte v[0:1], v5, off
.LBB14_685:
	s_mov_b64 s[30:31], -1
.LBB14_686:
	s_mov_b64 s[34:35], 0
.LBB14_687:
	s_and_b64 vcc, exec, s[34:35]
	s_cbranch_vccz .LBB14_728
; %bb.688:
	s_cmp_gt_i32 s39, 22
	s_mov_b64 s[34:35], -1
	s_cbranch_scc0 .LBB14_720
; %bb.689:
	s_cmp_lt_i32 s39, 24
	s_mov_b64 s[30:31], -1
	s_cbranch_scc1 .LBB14_709
; %bb.690:
	s_cmp_gt_i32 s39, 24
	s_cbranch_scc0 .LBB14_698
; %bb.691:
	v_and_b32_e32 v3, 0x7fffffff, v2
	s_mov_b32 s30, 0x47800000
	v_cmp_gt_u32_e32 vcc, s30, v3
	v_mov_b32_e32 v5, 0x80
	s_and_saveexec_b64 s[30:31], vcc
	s_cbranch_execz .LBB14_697
; %bb.692:
	s_mov_b32 s34, 0x37ffffff
	v_cmp_lt_u32_e32 vcc, s34, v3
	s_mov_b64 s[34:35], 0
                                        ; implicit-def: $vgpr3
	s_and_saveexec_b64 s[36:37], vcc
	s_xor_b64 s[36:37], exec, s[36:37]
	s_cbranch_execz .LBB14_788
; %bb.693:
	v_bfe_u32 v3, v2, 21, 1
	s_mov_b32 s41, 0x88fffff
	v_add3_u32 v3, v2, v3, s41
	s_mov_b64 s[34:35], exec
	v_lshrrev_b32_e32 v3, 21, v3
	s_andn2_saveexec_b64 s[36:37], s[36:37]
	s_cbranch_execnz .LBB14_789
.LBB14_694:
	s_or_b64 exec, exec, s[36:37]
	v_mov_b32_e32 v5, 0
	s_and_saveexec_b64 s[36:37], s[34:35]
.LBB14_695:
	v_lshrrev_b32_e32 v5, 24, v2
	s_movk_i32 s34, 0x80
	v_and_or_b32 v5, v5, s34, v3
.LBB14_696:
	s_or_b64 exec, exec, s[36:37]
.LBB14_697:
	s_or_b64 exec, exec, s[30:31]
	s_mov_b64 s[30:31], 0
	global_store_byte v[0:1], v5, off
.LBB14_698:
	s_and_b64 vcc, exec, s[30:31]
	s_cbranch_vccz .LBB14_708
; %bb.699:
	v_and_b32_e32 v5, 0x7fffffff, v2
	s_mov_b32 s30, 0x43f00000
	v_cmp_gt_u32_e32 vcc, s30, v5
                                        ; implicit-def: $vgpr3
	s_and_saveexec_b64 s[30:31], vcc
	s_xor_b64 s[30:31], exec, s[30:31]
	s_cbranch_execz .LBB14_705
; %bb.700:
	s_mov_b32 s34, 0x3c7fffff
	v_cmp_lt_u32_e32 vcc, s34, v5
                                        ; implicit-def: $vgpr3
	s_and_saveexec_b64 s[34:35], vcc
	s_xor_b64 s[34:35], exec, s[34:35]
; %bb.701:
	v_bfe_u32 v3, v2, 20, 1
	s_mov_b32 s36, 0x407ffff
	v_add3_u32 v3, v2, v3, s36
	v_lshrrev_b32_e32 v5, 20, v3
	v_and_b32_e32 v3, 0xff00000, v3
	s_mov_b32 s36, 0x7f00000
	v_mov_b32_e32 v6, 0x7e
	v_cmp_ne_u32_e32 vcc, s36, v3
	v_cndmask_b32_e32 v3, v6, v5, vcc
; %bb.702:
	s_andn2_saveexec_b64 s[34:35], s[34:35]
; %bb.703:
	s_mov_b32 s36, 0x46800000
	v_add_f32_e64 v3, |v2|, s36
; %bb.704:
	s_or_b64 exec, exec, s[34:35]
                                        ; implicit-def: $vgpr5
.LBB14_705:
	s_andn2_saveexec_b64 s[30:31], s[30:31]
; %bb.706:
	s_mov_b32 s34, 0x7f800000
	v_mov_b32_e32 v3, 0x7e
	v_mov_b32_e32 v6, 0x7f
	v_cmp_lt_u32_e32 vcc, s34, v5
	v_cndmask_b32_e32 v3, v3, v6, vcc
; %bb.707:
	s_or_b64 exec, exec, s[30:31]
	v_lshrrev_b32_e32 v5, 24, v2
	s_movk_i32 s30, 0x80
	v_and_or_b32 v3, v5, s30, v3
	global_store_byte v[0:1], v3, off
.LBB14_708:
	s_mov_b64 s[30:31], 0
.LBB14_709:
	s_andn2_b64 vcc, exec, s[30:31]
	s_cbranch_vccnz .LBB14_719
; %bb.710:
	v_and_b32_e32 v5, 0x7fffffff, v2
	s_mov_b32 s30, 0x47800000
	v_cmp_gt_u32_e32 vcc, s30, v5
                                        ; implicit-def: $vgpr3
	s_and_saveexec_b64 s[30:31], vcc
	s_xor_b64 s[30:31], exec, s[30:31]
	s_cbranch_execz .LBB14_716
; %bb.711:
	s_mov_b32 s34, 0x387fffff
	v_cmp_lt_u32_e32 vcc, s34, v5
                                        ; implicit-def: $vgpr3
	s_and_saveexec_b64 s[34:35], vcc
	s_xor_b64 s[34:35], exec, s[34:35]
; %bb.712:
	v_bfe_u32 v3, v2, 21, 1
	s_mov_b32 s36, 0x80fffff
	v_add3_u32 v3, v2, v3, s36
	v_lshrrev_b32_e32 v3, 21, v3
; %bb.713:
	s_andn2_saveexec_b64 s[34:35], s[34:35]
; %bb.714:
	s_mov_b32 s36, 0x43000000
	v_add_f32_e64 v3, |v2|, s36
; %bb.715:
	s_or_b64 exec, exec, s[34:35]
                                        ; implicit-def: $vgpr5
.LBB14_716:
	s_andn2_saveexec_b64 s[30:31], s[30:31]
; %bb.717:
	s_mov_b32 s34, 0x7f800000
	v_mov_b32_e32 v3, 0x7c
	v_mov_b32_e32 v6, 0x7f
	v_cmp_lt_u32_e32 vcc, s34, v5
	v_cndmask_b32_e32 v3, v3, v6, vcc
; %bb.718:
	s_or_b64 exec, exec, s[30:31]
	v_lshrrev_b32_e32 v5, 24, v2
	s_movk_i32 s30, 0x80
	v_and_or_b32 v3, v5, s30, v3
	global_store_byte v[0:1], v3, off
.LBB14_719:
	s_mov_b64 s[34:35], 0
	s_mov_b64 s[30:31], -1
.LBB14_720:
	s_andn2_b64 vcc, exec, s[34:35]
	s_cbranch_vccnz .LBB14_728
; %bb.721:
	s_cmp_gt_i32 s39, 14
	s_mov_b64 s[34:35], -1
	s_cbranch_scc0 .LBB14_725
; %bb.722:
	s_cmp_eq_u32 s39, 15
	s_mov_b64 s[0:1], -1
	s_cbranch_scc0 .LBB14_724
; %bb.723:
	v_bfe_u32 v3, v2, 16, 1
	s_movk_i32 s0, 0x7fff
	v_add3_u32 v3, v2, v3, s0
	v_cmp_o_f32_e32 vcc, v2, v2
	v_mov_b32_e32 v5, 0x7fc0
	v_cndmask_b32_sdwa v3, v5, v3, vcc dst_sel:DWORD dst_unused:UNUSED_PAD src0_sel:DWORD src1_sel:WORD_1
	global_store_short v[0:1], v3, off
	s_mov_b64 s[30:31], -1
	s_mov_b64 s[0:1], 0
.LBB14_724:
	s_mov_b64 s[34:35], 0
.LBB14_725:
	s_and_b64 vcc, exec, s[34:35]
	s_cbranch_vccz .LBB14_728
; %bb.726:
	s_cmp_eq_u32 s39, 11
	s_mov_b64 s[0:1], -1
	s_cbranch_scc0 .LBB14_728
; %bb.727:
	v_cmp_neq_f32_e32 vcc, 0, v2
	v_cndmask_b32_e64 v3, 0, 1, vcc
	s_mov_b64 s[30:31], -1
	s_mov_b64 s[0:1], 0
	global_store_byte v[0:1], v3, off
.LBB14_728:
	s_mov_b64 s[34:35], 0
.LBB14_729:
	s_and_b64 vcc, exec, s[34:35]
	s_cbranch_vccz .LBB14_768
; %bb.730:
	s_and_b32 s34, 0xffff, s38
	s_cmp_lt_i32 s34, 5
	s_mov_b64 s[30:31], -1
	s_cbranch_scc1 .LBB14_751
; %bb.731:
	s_cmp_lt_i32 s34, 8
	s_cbranch_scc1 .LBB14_741
; %bb.732:
	s_cmp_lt_i32 s34, 9
	s_cbranch_scc1 .LBB14_738
; %bb.733:
	s_cmp_gt_i32 s34, 9
	s_cbranch_scc0 .LBB14_735
; %bb.734:
	v_cvt_f64_f32_e32 v[5:6], v2
	v_mov_b32_e32 v7, 0
	v_mov_b32_e32 v8, v7
	s_mov_b64 s[30:31], 0
	global_store_dwordx4 v[0:1], v[5:8], off
.LBB14_735:
	s_andn2_b64 vcc, exec, s[30:31]
	s_cbranch_vccnz .LBB14_737
; %bb.736:
	v_mov_b32_e32 v3, 0
	global_store_dwordx2 v[0:1], v[2:3], off
.LBB14_737:
	s_mov_b64 s[30:31], 0
.LBB14_738:
	s_andn2_b64 vcc, exec, s[30:31]
	s_cbranch_vccnz .LBB14_740
; %bb.739:
	v_cvt_f16_f32_e32 v3, v2
	global_store_dword v[0:1], v3, off
.LBB14_740:
	s_mov_b64 s[30:31], 0
.LBB14_741:
	s_andn2_b64 vcc, exec, s[30:31]
	s_cbranch_vccnz .LBB14_750
; %bb.742:
	s_cmp_lt_i32 s34, 6
	s_mov_b64 s[30:31], -1
	s_cbranch_scc1 .LBB14_748
; %bb.743:
	s_cmp_gt_i32 s34, 6
	s_cbranch_scc0 .LBB14_745
; %bb.744:
	v_cvt_f64_f32_e32 v[5:6], v2
	s_mov_b64 s[30:31], 0
	global_store_dwordx2 v[0:1], v[5:6], off
.LBB14_745:
	s_andn2_b64 vcc, exec, s[30:31]
	s_cbranch_vccnz .LBB14_747
; %bb.746:
	global_store_dword v[0:1], v2, off
.LBB14_747:
	s_mov_b64 s[30:31], 0
.LBB14_748:
	s_andn2_b64 vcc, exec, s[30:31]
	s_cbranch_vccnz .LBB14_750
; %bb.749:
	v_cvt_f16_f32_e32 v3, v2
	global_store_short v[0:1], v3, off
.LBB14_750:
	s_mov_b64 s[30:31], 0
.LBB14_751:
	s_andn2_b64 vcc, exec, s[30:31]
	s_cbranch_vccnz .LBB14_767
; %bb.752:
	s_cmp_lt_i32 s34, 2
	s_mov_b64 s[30:31], -1
	s_cbranch_scc1 .LBB14_762
; %bb.753:
	s_cmp_lt_i32 s34, 3
	s_cbranch_scc1 .LBB14_759
; %bb.754:
	s_cmp_gt_i32 s34, 3
	s_cbranch_scc0 .LBB14_756
; %bb.755:
	v_trunc_f32_e32 v3, v2
	s_mov_b32 s30, 0x2f800000
	v_mul_f32_e64 v5, |v3|, s30
	v_floor_f32_e32 v5, v5
	s_mov_b32 s30, 0xcf800000
	v_cvt_u32_f32_e32 v6, v5
	v_fma_f32 v5, v5, s30, |v3|
	v_cvt_u32_f32_e32 v5, v5
	v_ashrrev_i32_e32 v3, 31, v3
	v_xor_b32_e32 v6, v6, v3
	s_mov_b64 s[30:31], 0
	v_xor_b32_e32 v5, v5, v3
	v_sub_co_u32_e32 v5, vcc, v5, v3
	v_subb_co_u32_e32 v6, vcc, v6, v3, vcc
	global_store_dwordx2 v[0:1], v[5:6], off
.LBB14_756:
	s_andn2_b64 vcc, exec, s[30:31]
	s_cbranch_vccnz .LBB14_758
; %bb.757:
	v_cvt_i32_f32_e32 v3, v2
	global_store_dword v[0:1], v3, off
.LBB14_758:
	s_mov_b64 s[30:31], 0
.LBB14_759:
	s_andn2_b64 vcc, exec, s[30:31]
	s_cbranch_vccnz .LBB14_761
; %bb.760:
	v_cvt_i32_f32_e32 v3, v2
	global_store_short v[0:1], v3, off
.LBB14_761:
	s_mov_b64 s[30:31], 0
.LBB14_762:
	s_andn2_b64 vcc, exec, s[30:31]
	s_cbranch_vccnz .LBB14_767
; %bb.763:
	s_cmp_gt_i32 s34, 0
	s_mov_b64 s[30:31], -1
	s_cbranch_scc0 .LBB14_765
; %bb.764:
	v_cvt_i32_f32_e32 v3, v2
	s_mov_b64 s[30:31], 0
	global_store_byte v[0:1], v3, off
.LBB14_765:
	s_andn2_b64 vcc, exec, s[30:31]
	s_cbranch_vccnz .LBB14_767
; %bb.766:
	v_trunc_f32_e32 v2, v2
	s_mov_b32 s30, 0x2f800000
	v_mul_f32_e64 v3, |v2|, s30
	v_floor_f32_e32 v3, v3
	s_mov_b32 s30, 0xcf800000
	v_fma_f32 v3, v3, s30, |v2|
	v_cvt_u32_f32_e32 v3, v3
	v_ashrrev_i32_e32 v2, 31, v2
	v_xor_b32_e32 v3, v3, v2
	v_sub_u32_e32 v2, v3, v2
	global_store_byte v[0:1], v2, off
.LBB14_767:
	s_mov_b64 s[30:31], -1
.LBB14_768:
	s_andn2_b64 vcc, exec, s[30:31]
	s_cbranch_vccnz .LBB14_770
; %bb.769:
	v_add_u32_e32 v4, 0x80, v4
	s_mov_b64 s[34:35], -1
	s_branch .LBB14_771
.LBB14_770:
	s_mov_b64 s[34:35], 0
                                        ; implicit-def: $vgpr4
.LBB14_771:
	s_andn2_b64 s[30:31], s[22:23], exec
	s_and_b64 s[0:1], s[0:1], exec
	s_or_b64 s[30:31], s[30:31], s[0:1]
	s_andn2_b64 s[0:1], s[20:21], exec
	s_and_b64 s[28:29], s[28:29], exec
	s_or_b64 s[0:1], s[0:1], s[28:29]
	s_orn2_b64 s[36:37], s[34:35], exec
.LBB14_772:
	s_or_b64 exec, exec, s[26:27]
	s_mov_b64 s[34:35], 0
	s_mov_b64 s[28:29], 0
	;; [unrolled: 1-line block ×3, first 2 shown]
                                        ; implicit-def: $vgpr0_vgpr1
                                        ; implicit-def: $vgpr3
	s_and_saveexec_b64 s[26:27], s[36:37]
	s_cbranch_execz .LBB14_857
; %bb.773:
	v_cmp_gt_i32_e32 vcc, s40, v4
	s_mov_b64 s[36:37], 0
	s_mov_b64 s[40:41], s[0:1]
	;; [unrolled: 1-line block ×3, first 2 shown]
                                        ; implicit-def: $vgpr0_vgpr1
                                        ; implicit-def: $vgpr3
	s_and_saveexec_b64 s[28:29], vcc
	s_cbranch_execz .LBB14_856
; %bb.774:
	v_mul_lo_u32 v0, v4, s13
	v_mov_b32_e32 v1, s11
	s_and_b32 s44, 0xffff, s15
	s_cmp_lt_i32 s44, 11
	s_waitcnt vmcnt(0)
	v_ashrrev_i32_e32 v2, 31, v0
	v_add_co_u32_e32 v0, vcc, s10, v0
	v_addc_co_u32_e32 v1, vcc, v1, v2, vcc
	s_cbranch_scc1 .LBB14_781
; %bb.775:
	s_cmp_gt_i32 s44, 25
	s_cbranch_scc0 .LBB14_782
; %bb.776:
	s_cmp_gt_i32 s44, 28
	s_cbranch_scc0 .LBB14_783
	;; [unrolled: 3-line block ×4, first 2 shown]
; %bb.779:
	s_cmp_eq_u32 s44, 46
	s_mov_b64 s[40:41], 0
	s_cbranch_scc0 .LBB14_790
; %bb.780:
	global_load_dword v2, v[0:1], off
	s_mov_b64 s[38:39], -1
	s_waitcnt vmcnt(0)
	v_lshlrev_b32_e32 v3, 16, v2
	s_branch .LBB14_792
.LBB14_781:
	s_mov_b64 s[40:41], -1
                                        ; implicit-def: $vgpr3
	s_mov_b64 s[34:35], s[0:1]
	s_branch .LBB14_855
.LBB14_782:
	s_mov_b64 s[40:41], -1
	s_mov_b64 s[34:35], s[0:1]
                                        ; implicit-def: $vgpr3
	s_branch .LBB14_821
.LBB14_783:
	s_mov_b64 s[40:41], -1
	s_mov_b64 s[34:35], s[0:1]
                                        ; implicit-def: $vgpr3
	s_branch .LBB14_802
.LBB14_784:
	s_mov_b64 s[40:41], -1
	s_mov_b64 s[34:35], s[0:1]
                                        ; implicit-def: $vgpr3
	s_branch .LBB14_797
.LBB14_785:
	s_andn2_saveexec_b64 s[36:37], s[36:37]
	s_cbranch_execz .LBB14_681
.LBB14_786:
	s_mov_b32 s41, 0x46000000
	v_add_f32_e64 v3, |v2|, s41
	v_and_b32_e32 v3, 0xff, v3
	v_cmp_ne_u32_e32 vcc, 0, v3
	s_andn2_b64 s[34:35], s[34:35], exec
	s_and_b64 s[42:43], vcc, exec
	s_or_b64 s[34:35], s[34:35], s[42:43]
	s_or_b64 exec, exec, s[36:37]
	v_mov_b32_e32 v5, 0
	s_and_saveexec_b64 s[36:37], s[34:35]
	s_cbranch_execnz .LBB14_682
	s_branch .LBB14_683
.LBB14_787:
	s_mov_b64 s[40:41], -1
	s_mov_b64 s[34:35], s[0:1]
	s_branch .LBB14_791
.LBB14_788:
	s_andn2_saveexec_b64 s[36:37], s[36:37]
	s_cbranch_execz .LBB14_694
.LBB14_789:
	s_mov_b32 s41, 0x42800000
	v_add_f32_e64 v3, |v2|, s41
	v_and_b32_e32 v3, 0xff, v3
	v_cmp_ne_u32_e32 vcc, 0, v3
	s_andn2_b64 s[34:35], s[34:35], exec
	s_and_b64 s[42:43], vcc, exec
	s_or_b64 s[34:35], s[34:35], s[42:43]
	s_or_b64 exec, exec, s[36:37]
	v_mov_b32_e32 v5, 0
	s_and_saveexec_b64 s[36:37], s[34:35]
	s_cbranch_execnz .LBB14_695
	s_branch .LBB14_696
.LBB14_790:
	s_mov_b64 s[34:35], -1
.LBB14_791:
                                        ; implicit-def: $vgpr3
.LBB14_792:
	s_and_b64 vcc, exec, s[40:41]
	s_cbranch_vccz .LBB14_796
; %bb.793:
	s_cmp_eq_u32 s44, 44
	s_cbranch_scc0 .LBB14_795
; %bb.794:
	global_load_ubyte v2, v[0:1], off
	s_movk_i32 s38, 0xff
	v_mov_b32_e32 v3, 0x7f800001
	v_mov_b32_e32 v5, 0x400000
	s_mov_b64 s[34:35], 0
	s_waitcnt vmcnt(0)
	v_lshlrev_b32_e32 v6, 23, v2
	v_cmp_ne_u32_e32 vcc, s38, v2
	v_cndmask_b32_e32 v3, v3, v6, vcc
	v_cmp_ne_u32_e32 vcc, 0, v2
	v_cndmask_b32_e32 v3, v5, v3, vcc
	s_mov_b64 s[38:39], -1
	s_branch .LBB14_796
.LBB14_795:
	s_mov_b64 s[34:35], -1
                                        ; implicit-def: $vgpr3
.LBB14_796:
	s_mov_b64 s[40:41], 0
.LBB14_797:
	s_and_b64 vcc, exec, s[40:41]
	s_cbranch_vccz .LBB14_801
; %bb.798:
	s_cmp_eq_u32 s44, 29
	s_cbranch_scc0 .LBB14_800
; %bb.799:
	global_load_dwordx2 v[2:3], v[0:1], off
	s_mov_b64 s[34:35], 0
	s_mov_b64 s[38:39], -1
	s_mov_b64 s[40:41], 0
	s_waitcnt vmcnt(0)
	v_ffbh_u32_e32 v5, v3
	v_min_u32_e32 v5, 32, v5
	v_lshlrev_b64 v[2:3], v5, v[2:3]
	v_min_u32_e32 v2, 1, v2
	v_or_b32_e32 v2, v3, v2
	v_cvt_f32_u32_e32 v2, v2
	v_sub_u32_e32 v3, 32, v5
	v_ldexp_f32 v3, v2, v3
	s_branch .LBB14_802
.LBB14_800:
	s_mov_b64 s[34:35], -1
                                        ; implicit-def: $vgpr3
.LBB14_801:
	s_mov_b64 s[40:41], 0
.LBB14_802:
	s_and_b64 vcc, exec, s[40:41]
	s_cbranch_vccz .LBB14_820
; %bb.803:
	s_cmp_lt_i32 s44, 27
	s_cbranch_scc1 .LBB14_806
; %bb.804:
	s_cmp_gt_i32 s44, 27
	s_cbranch_scc0 .LBB14_807
; %bb.805:
	global_load_dword v2, v[0:1], off
	s_mov_b64 s[38:39], 0
	s_waitcnt vmcnt(0)
	v_cvt_f32_u32_e32 v3, v2
	s_branch .LBB14_808
.LBB14_806:
	s_mov_b64 s[38:39], -1
                                        ; implicit-def: $vgpr3
	s_branch .LBB14_811
.LBB14_807:
	s_mov_b64 s[38:39], -1
                                        ; implicit-def: $vgpr3
.LBB14_808:
	s_andn2_b64 vcc, exec, s[38:39]
	s_cbranch_vccnz .LBB14_810
; %bb.809:
	global_load_ushort v2, v[0:1], off
	s_waitcnt vmcnt(0)
	v_cvt_f32_u32_e32 v3, v2
.LBB14_810:
	s_mov_b64 s[38:39], 0
.LBB14_811:
	s_andn2_b64 vcc, exec, s[38:39]
	s_cbranch_vccnz .LBB14_819
; %bb.812:
	global_load_ubyte v2, v[0:1], off
	s_movk_i32 s38, 0x7f
	s_waitcnt vmcnt(0)
	v_cmp_lt_i16_e32 vcc, s38, v2
	s_mov_b64 s[38:39], 0
	s_and_saveexec_b64 s[40:41], vcc
	s_xor_b64 s[40:41], exec, s[40:41]
	s_cbranch_execz .LBB14_833
; %bb.813:
	s_movk_i32 s38, 0x80
	v_cmp_eq_u16_e32 vcc, s38, v2
	s_mov_b64 s[38:39], -1
	s_and_saveexec_b64 s[42:43], vcc
; %bb.814:
	s_xor_b64 s[38:39], exec, -1
; %bb.815:
	s_or_b64 exec, exec, s[42:43]
	s_and_b64 s[38:39], s[38:39], exec
	s_or_saveexec_b64 s[40:41], s[40:41]
	v_mov_b32_e32 v3, 0x7f800001
	s_xor_b64 exec, exec, s[40:41]
	s_cbranch_execnz .LBB14_834
.LBB14_816:
	s_or_b64 exec, exec, s[40:41]
	s_and_saveexec_b64 s[40:41], s[38:39]
	s_cbranch_execz .LBB14_818
.LBB14_817:
	v_lshlrev_b32_e32 v3, 24, v2
	v_and_b32_e32 v2, 0xffff, v2
	v_and_b32_e32 v5, 7, v2
	v_ffbh_u32_e32 v7, v5
	v_min_u32_e32 v7, 32, v7
	v_subrev_u32_e32 v8, 28, v7
	v_bfe_u32 v6, v2, 3, 4
	v_lshlrev_b32_e32 v2, v8, v2
	v_sub_u32_e32 v7, 29, v7
	v_and_b32_e32 v2, 7, v2
	v_cmp_eq_u32_e32 vcc, 0, v6
	v_cndmask_b32_e32 v6, v6, v7, vcc
	v_cndmask_b32_e32 v2, v5, v2, vcc
	v_mov_b32_e32 v5, 0x3b800000
	v_lshlrev_b32_e32 v2, 20, v2
	v_and_b32_e32 v3, 0x80000000, v3
	v_lshl_add_u32 v5, v6, 23, v5
	v_or3_b32 v3, v3, v5, v2
.LBB14_818:
	s_or_b64 exec, exec, s[40:41]
.LBB14_819:
	s_mov_b64 s[38:39], -1
.LBB14_820:
	s_mov_b64 s[40:41], 0
.LBB14_821:
	s_and_b64 vcc, exec, s[40:41]
	s_cbranch_vccz .LBB14_854
; %bb.822:
	s_cmp_gt_i32 s44, 22
	s_cbranch_scc0 .LBB14_832
; %bb.823:
	s_cmp_lt_i32 s44, 24
	s_cbranch_scc1 .LBB14_835
; %bb.824:
	s_cmp_gt_i32 s44, 24
	s_cbranch_scc0 .LBB14_836
; %bb.825:
	global_load_ubyte v2, v[0:1], off
	s_movk_i32 s36, 0x7f
	s_waitcnt vmcnt(0)
	v_cmp_lt_i16_e32 vcc, s36, v2
	s_mov_b64 s[36:37], 0
	s_and_saveexec_b64 s[38:39], vcc
	s_xor_b64 s[38:39], exec, s[38:39]
	s_cbranch_execz .LBB14_848
; %bb.826:
	s_movk_i32 s36, 0x80
	v_cmp_eq_u16_e32 vcc, s36, v2
	s_mov_b64 s[36:37], -1
	s_and_saveexec_b64 s[40:41], vcc
; %bb.827:
	s_xor_b64 s[36:37], exec, -1
; %bb.828:
	s_or_b64 exec, exec, s[40:41]
	s_and_b64 s[36:37], s[36:37], exec
	s_or_saveexec_b64 s[38:39], s[38:39]
	v_mov_b32_e32 v3, 0x7f800001
	s_xor_b64 exec, exec, s[38:39]
	s_cbranch_execnz .LBB14_849
.LBB14_829:
	s_or_b64 exec, exec, s[38:39]
	s_and_saveexec_b64 s[38:39], s[36:37]
	s_cbranch_execz .LBB14_831
.LBB14_830:
	v_lshlrev_b32_e32 v3, 24, v2
	v_and_b32_e32 v2, 0xffff, v2
	v_and_b32_e32 v5, 3, v2
	v_ffbh_u32_e32 v7, v5
	v_min_u32_e32 v7, 32, v7
	v_subrev_u32_e32 v8, 29, v7
	v_bfe_u32 v6, v2, 2, 5
	v_lshlrev_b32_e32 v2, v8, v2
	v_sub_u32_e32 v7, 30, v7
	v_and_b32_e32 v2, 3, v2
	v_cmp_eq_u32_e32 vcc, 0, v6
	v_cndmask_b32_e32 v6, v6, v7, vcc
	v_cndmask_b32_e32 v2, v5, v2, vcc
	v_mov_b32_e32 v5, 0x37800000
	v_lshlrev_b32_e32 v2, 21, v2
	v_and_b32_e32 v3, 0x80000000, v3
	v_lshl_add_u32 v5, v6, 23, v5
	v_or3_b32 v3, v3, v5, v2
.LBB14_831:
	s_or_b64 exec, exec, s[38:39]
	s_mov_b64 s[36:37], 0
	s_branch .LBB14_837
.LBB14_832:
	s_mov_b64 s[36:37], -1
                                        ; implicit-def: $vgpr3
	s_branch .LBB14_843
.LBB14_833:
	s_or_saveexec_b64 s[40:41], s[40:41]
	v_mov_b32_e32 v3, 0x7f800001
	s_xor_b64 exec, exec, s[40:41]
	s_cbranch_execz .LBB14_816
.LBB14_834:
	v_cmp_ne_u16_e32 vcc, 0, v2
	s_andn2_b64 s[38:39], s[38:39], exec
	s_and_b64 s[42:43], vcc, exec
	v_mov_b32_e32 v3, 0
	s_or_b64 s[38:39], s[38:39], s[42:43]
	s_or_b64 exec, exec, s[40:41]
	s_and_saveexec_b64 s[40:41], s[38:39]
	s_cbranch_execnz .LBB14_817
	s_branch .LBB14_818
.LBB14_835:
	s_mov_b64 s[36:37], -1
                                        ; implicit-def: $vgpr3
	s_branch .LBB14_840
.LBB14_836:
	s_mov_b64 s[36:37], -1
                                        ; implicit-def: $vgpr3
.LBB14_837:
	s_and_b64 vcc, exec, s[36:37]
	s_cbranch_vccz .LBB14_839
; %bb.838:
	global_load_ubyte v2, v[0:1], off
	s_mov_b32 s36, 0x7f800000
	s_waitcnt vmcnt(0)
	v_lshlrev_b32_e32 v2, 24, v2
	v_and_b32_e32 v3, 0x7f000000, v2
	v_ffbh_u32_e32 v5, v3
	v_min_u32_e32 v5, 32, v5
	v_sub_u32_e64 v5, v5, 4 clamp
	v_lshlrev_b32_e32 v7, v5, v3
	v_lshlrev_b32_e32 v5, 23, v5
	v_lshrrev_b32_e32 v7, 4, v7
	v_add_u32_e32 v6, 0x1000000, v3
	v_sub_u32_e32 v5, v7, v5
	v_ashrrev_i32_e32 v6, 8, v6
	v_add_u32_e32 v5, 0x3c000000, v5
	v_and_or_b32 v5, v6, s36, v5
	v_cmp_ne_u32_e32 vcc, 0, v3
	v_cndmask_b32_e32 v3, 0, v5, vcc
	s_brev_b32 s36, 1
	v_and_or_b32 v3, v2, s36, v3
.LBB14_839:
	s_mov_b64 s[36:37], 0
.LBB14_840:
	s_andn2_b64 vcc, exec, s[36:37]
	s_cbranch_vccnz .LBB14_842
; %bb.841:
	global_load_ubyte v2, v[0:1], off
	s_movk_i32 s36, 0x7f00
	s_brev_b32 s37, 16
	s_waitcnt vmcnt(0)
	v_lshlrev_b16_e32 v3, 8, v2
	v_lshlrev_b32_e32 v2, 25, v2
	v_lshrrev_b32_e32 v5, 4, v2
	v_and_or_b32 v6, v3, s36, 0.5
	v_or_b32_e32 v5, 0x70000000, v5
	v_add_f32_e32 v6, -0.5, v6
	v_mul_f32_e32 v5, 0x7800000, v5
	v_cmp_gt_u32_e32 vcc, s37, v2
	v_bfe_i32 v3, v3, 0, 16
	v_cndmask_b32_e32 v2, v5, v6, vcc
	s_brev_b32 s36, 1
	v_and_or_b32 v3, v3, s36, v2
.LBB14_842:
	s_mov_b64 s[36:37], 0
	s_mov_b64 s[38:39], -1
.LBB14_843:
	s_andn2_b64 vcc, exec, s[36:37]
	s_mov_b64 s[36:37], 0
	s_cbranch_vccnz .LBB14_854
; %bb.844:
	s_cmp_gt_i32 s44, 14
	s_cbranch_scc0 .LBB14_847
; %bb.845:
	s_cmp_eq_u32 s44, 15
	s_cbranch_scc0 .LBB14_850
; %bb.846:
	global_load_ushort v2, v[0:1], off
	s_mov_b64 s[34:35], 0
	s_mov_b64 s[38:39], -1
	s_waitcnt vmcnt(0)
	v_lshlrev_b32_e32 v3, 16, v2
	s_branch .LBB14_851
.LBB14_847:
	s_mov_b64 s[40:41], -1
                                        ; implicit-def: $vgpr3
	s_branch .LBB14_852
.LBB14_848:
	s_or_saveexec_b64 s[38:39], s[38:39]
	v_mov_b32_e32 v3, 0x7f800001
	s_xor_b64 exec, exec, s[38:39]
	s_cbranch_execz .LBB14_829
.LBB14_849:
	v_cmp_ne_u16_e32 vcc, 0, v2
	s_andn2_b64 s[36:37], s[36:37], exec
	s_and_b64 s[40:41], vcc, exec
	v_mov_b32_e32 v3, 0
	s_or_b64 s[36:37], s[36:37], s[40:41]
	s_or_b64 exec, exec, s[38:39]
	s_and_saveexec_b64 s[38:39], s[36:37]
	s_cbranch_execnz .LBB14_830
	s_branch .LBB14_831
.LBB14_850:
	s_mov_b64 s[34:35], -1
                                        ; implicit-def: $vgpr3
.LBB14_851:
	s_mov_b64 s[40:41], 0
.LBB14_852:
	s_and_b64 vcc, exec, s[40:41]
	s_cbranch_vccz .LBB14_854
; %bb.853:
	s_cmp_lg_u32 s44, 11
	s_cselect_b64 s[40:41], -1, 0
	s_andn2_b64 s[34:35], s[34:35], exec
	s_and_b64 s[40:41], s[40:41], exec
	s_mov_b64 s[36:37], -1
	s_or_b64 s[34:35], s[34:35], s[40:41]
.LBB14_854:
	s_mov_b64 s[40:41], 0
.LBB14_855:
	s_and_b64 s[42:43], s[40:41], exec
	s_andn2_b64 s[40:41], s[0:1], exec
	s_and_b64 s[34:35], s[34:35], exec
	s_and_b64 s[38:39], s[38:39], exec
	;; [unrolled: 1-line block ×3, first 2 shown]
	s_or_b64 s[40:41], s[40:41], s[34:35]
.LBB14_856:
	s_or_b64 exec, exec, s[28:29]
	s_and_b64 s[34:35], s[36:37], exec
	s_andn2_b64 s[0:1], s[0:1], exec
	s_and_b64 s[36:37], s[40:41], exec
	s_and_b64 s[38:39], s[38:39], exec
	;; [unrolled: 1-line block ×3, first 2 shown]
	s_or_b64 s[0:1], s[0:1], s[36:37]
.LBB14_857:
	s_or_b64 exec, exec, s[26:27]
	s_andn2_b64 s[22:23], s[22:23], exec
	s_and_b64 s[26:27], s[30:31], exec
	s_andn2_b64 s[20:21], s[20:21], exec
	s_and_b64 s[0:1], s[0:1], exec
	s_or_b64 s[22:23], s[22:23], s[26:27]
	s_and_b64 s[30:31], s[38:39], exec
	s_and_b64 s[28:29], s[28:29], exec
	;; [unrolled: 1-line block ×3, first 2 shown]
	s_or_b64 s[20:21], s[20:21], s[0:1]
.LBB14_858:
	s_or_b64 exec, exec, s[24:25]
	s_andn2_b64 s[0:1], s[6:7], exec
	s_and_b64 s[6:7], s[22:23], exec
	s_andn2_b64 s[16:17], s[16:17], exec
	s_and_b64 s[20:21], s[20:21], exec
	s_or_b64 s[6:7], s[0:1], s[6:7]
	s_and_b64 s[0:1], s[30:31], exec
	s_and_b64 s[24:25], s[28:29], exec
	;; [unrolled: 1-line block ×3, first 2 shown]
	s_or_b64 s[16:17], s[16:17], s[20:21]
	s_or_b64 exec, exec, s[18:19]
	s_mov_b64 s[18:19], 0
	s_and_saveexec_b64 s[20:21], s[16:17]
	s_cbranch_execz .LBB14_262
.LBB14_859:
	s_mov_b64 s[18:19], exec
	s_andn2_b64 s[22:23], s[22:23], exec
	s_trap 2
	s_or_b64 exec, exec, s[20:21]
	s_and_saveexec_b64 s[16:17], s[22:23]
	s_xor_b64 s[16:17], exec, s[16:17]
	s_cbranch_execnz .LBB14_263
.LBB14_860:
	s_or_b64 exec, exec, s[16:17]
	s_and_saveexec_b64 s[16:17], s[24:25]
	s_cbranch_execz .LBB14_906
.LBB14_861:
	s_sext_i32_i16 s20, s15
	s_cmp_lt_i32 s20, 5
	s_cbranch_scc1 .LBB14_866
; %bb.862:
	s_cmp_lt_i32 s20, 8
	s_cbranch_scc1 .LBB14_867
; %bb.863:
	;; [unrolled: 3-line block ×3, first 2 shown]
	s_cmp_gt_i32 s20, 9
	s_cbranch_scc0 .LBB14_869
; %bb.865:
	global_load_dwordx2 v[2:3], v[0:1], off
	s_mov_b64 s[20:21], 0
	s_waitcnt vmcnt(0)
	v_cvt_f32_f64_e32 v3, v[2:3]
	s_branch .LBB14_870
.LBB14_866:
                                        ; implicit-def: $vgpr3
	s_branch .LBB14_887
.LBB14_867:
                                        ; implicit-def: $vgpr3
	s_branch .LBB14_876
.LBB14_868:
	s_mov_b64 s[20:21], -1
                                        ; implicit-def: $vgpr3
	s_branch .LBB14_873
.LBB14_869:
	s_mov_b64 s[20:21], -1
                                        ; implicit-def: $vgpr3
.LBB14_870:
	s_andn2_b64 vcc, exec, s[20:21]
	s_cbranch_vccnz .LBB14_872
; %bb.871:
	global_load_dword v3, v[0:1], off
.LBB14_872:
	s_mov_b64 s[20:21], 0
.LBB14_873:
	s_andn2_b64 vcc, exec, s[20:21]
	s_cbranch_vccnz .LBB14_875
; %bb.874:
	global_load_dword v2, v[0:1], off
	s_waitcnt vmcnt(0)
	v_cvt_f32_f16_e32 v3, v2
.LBB14_875:
	s_cbranch_execnz .LBB14_886
.LBB14_876:
	s_sext_i32_i16 s20, s15
	s_cmp_lt_i32 s20, 6
	s_cbranch_scc1 .LBB14_879
; %bb.877:
	s_cmp_gt_i32 s20, 6
	s_cbranch_scc0 .LBB14_880
; %bb.878:
	global_load_dwordx2 v[2:3], v[0:1], off
	s_mov_b64 s[20:21], 0
	s_waitcnt vmcnt(0)
	v_cvt_f32_f64_e32 v3, v[2:3]
	s_branch .LBB14_881
.LBB14_879:
	s_mov_b64 s[20:21], -1
                                        ; implicit-def: $vgpr3
	s_branch .LBB14_884
.LBB14_880:
	s_mov_b64 s[20:21], -1
                                        ; implicit-def: $vgpr3
.LBB14_881:
	s_andn2_b64 vcc, exec, s[20:21]
	s_cbranch_vccnz .LBB14_883
; %bb.882:
	global_load_dword v3, v[0:1], off
.LBB14_883:
	s_mov_b64 s[20:21], 0
.LBB14_884:
	s_andn2_b64 vcc, exec, s[20:21]
	s_cbranch_vccnz .LBB14_886
; %bb.885:
	global_load_ushort v2, v[0:1], off
	s_waitcnt vmcnt(0)
	v_cvt_f32_f16_e32 v3, v2
.LBB14_886:
	s_cbranch_execnz .LBB14_905
.LBB14_887:
	s_sext_i32_i16 s20, s15
	s_cmp_lt_i32 s20, 2
	s_cbranch_scc1 .LBB14_891
; %bb.888:
	s_cmp_lt_i32 s20, 3
	s_cbranch_scc1 .LBB14_892
; %bb.889:
	s_cmp_gt_i32 s20, 3
	s_cbranch_scc0 .LBB14_893
; %bb.890:
	global_load_dwordx2 v[2:3], v[0:1], off
	s_mov_b64 s[20:21], 0
	s_waitcnt vmcnt(0)
	v_xor_b32_e32 v6, v2, v3
	v_ffbh_i32_e32 v5, v3
	v_ashrrev_i32_e32 v6, 31, v6
	v_add_u32_e32 v5, -1, v5
	v_add_u32_e32 v6, 32, v6
	v_min_u32_e32 v5, v5, v6
	v_lshlrev_b64 v[2:3], v5, v[2:3]
	v_min_u32_e32 v2, 1, v2
	v_or_b32_e32 v2, v3, v2
	v_cvt_f32_i32_e32 v2, v2
	v_sub_u32_e32 v3, 32, v5
	v_ldexp_f32 v3, v2, v3
	s_branch .LBB14_894
.LBB14_891:
                                        ; implicit-def: $vgpr3
	s_branch .LBB14_900
.LBB14_892:
	s_mov_b64 s[20:21], -1
                                        ; implicit-def: $vgpr3
	s_branch .LBB14_897
.LBB14_893:
	s_mov_b64 s[20:21], -1
                                        ; implicit-def: $vgpr3
.LBB14_894:
	s_andn2_b64 vcc, exec, s[20:21]
	s_cbranch_vccnz .LBB14_896
; %bb.895:
	global_load_dword v2, v[0:1], off
	s_waitcnt vmcnt(0)
	v_cvt_f32_i32_e32 v3, v2
.LBB14_896:
	s_mov_b64 s[20:21], 0
.LBB14_897:
	s_andn2_b64 vcc, exec, s[20:21]
	s_cbranch_vccnz .LBB14_899
; %bb.898:
	global_load_sshort v2, v[0:1], off
	s_waitcnt vmcnt(0)
	v_cvt_f32_i32_e32 v3, v2
.LBB14_899:
	s_cbranch_execnz .LBB14_905
.LBB14_900:
	s_sext_i32_i16 s20, s15
	s_cmp_gt_i32 s20, 0
	s_cbranch_scc0 .LBB14_902
; %bb.901:
	global_load_sbyte v2, v[0:1], off
	s_mov_b64 s[20:21], 0
	s_waitcnt vmcnt(0)
	v_cvt_f32_i32_e32 v3, v2
	s_branch .LBB14_903
.LBB14_902:
	s_mov_b64 s[20:21], -1
                                        ; implicit-def: $vgpr3
.LBB14_903:
	s_andn2_b64 vcc, exec, s[20:21]
	s_cbranch_vccnz .LBB14_905
; %bb.904:
	global_load_ubyte v0, v[0:1], off
	s_waitcnt vmcnt(0)
	v_cvt_f32_ubyte0_e32 v3, v0
.LBB14_905:
	s_or_b64 s[0:1], s[0:1], exec
.LBB14_906:
	s_or_b64 exec, exec, s[16:17]
	s_mov_b64 s[22:23], 0
	s_mov_b64 s[20:21], 0
                                        ; implicit-def: $sgpr28
                                        ; implicit-def: $vgpr0_vgpr1
                                        ; implicit-def: $vgpr2
	s_and_saveexec_b64 s[16:17], s[0:1]
	s_cbranch_execz .LBB14_924
; %bb.907:
	v_mul_lo_u32 v0, v4, s12
	s_waitcnt vmcnt(0)
	v_cmp_nge_f32_e64 s[0:1], v3, -s14
	v_cmp_nge_f32_e32 vcc, s14, v3
	s_or_b64 vcc, s[0:1], vcc
	v_cndmask_b32_e32 v2, 0, v3, vcc
	v_ashrrev_i32_e32 v1, 31, v0
	v_mov_b32_e32 v3, s9
	s_and_b32 s28, s33, 0xff
	v_add_co_u32_e32 v0, vcc, s8, v0
	s_cmp_lt_i32 s28, 11
	v_addc_co_u32_e32 v1, vcc, v3, v1, vcc
	s_cbranch_scc1 .LBB14_927
; %bb.908:
	s_and_b32 s29, 0xffff, s28
	s_mov_b64 s[22:23], -1
	s_cmp_gt_i32 s29, 25
	s_mov_b64 s[0:1], s[6:7]
	s_cbranch_scc0 .LBB14_945
; %bb.909:
	s_mov_b64 s[20:21], -1
	s_cmp_gt_i32 s29, 28
	s_mov_b64 s[0:1], s[6:7]
	s_cbranch_scc0 .LBB14_929
; %bb.910:
	s_cmp_gt_i32 s29, 43
	s_mov_b64 s[0:1], s[6:7]
	s_cbranch_scc0 .LBB14_921
; %bb.911:
	;; [unrolled: 4-line block ×3, first 2 shown]
	s_cmp_eq_u32 s29, 46
	s_mov_b64 s[0:1], -1
	s_cbranch_scc0 .LBB14_914
; %bb.913:
	v_bfe_u32 v3, v2, 16, 1
	s_movk_i32 s0, 0x7fff
	v_add3_u32 v3, v2, v3, s0
	v_cmp_o_f32_e32 vcc, v2, v2
	v_mov_b32_e32 v4, 0x7fc0
	v_cndmask_b32_sdwa v3, v4, v3, vcc dst_sel:DWORD dst_unused:UNUSED_PAD src0_sel:DWORD src1_sel:WORD_1
	global_store_dword v[0:1], v3, off
	s_mov_b64 s[0:1], 0
.LBB14_914:
	s_mov_b64 s[20:21], 0
.LBB14_915:
	s_and_b64 vcc, exec, s[20:21]
	s_cbranch_vccz .LBB14_920
; %bb.916:
	s_cmp_eq_u32 s29, 44
	s_mov_b64 s[0:1], -1
	s_cbranch_scc0 .LBB14_920
; %bb.917:
	v_bfe_u32 v3, v2, 23, 8
	s_movk_i32 s0, 0xff
	v_cmp_ne_u32_e32 vcc, s0, v3
	v_mov_b32_e32 v4, 0xff
	s_and_saveexec_b64 s[20:21], vcc
; %bb.918:
	s_mov_b32 s0, 0x3fffff
	v_and_b32_e32 v5, 0x400000, v2
	v_and_or_b32 v3, v2, s0, v3
	v_cmp_ne_u32_e32 vcc, 0, v5
	v_cmp_ne_u32_e64 s[0:1], 0, v3
	s_and_b64 s[0:1], vcc, s[0:1]
	v_lshrrev_b32_e32 v4, 23, v2
	v_cndmask_b32_e64 v3, 0, 1, s[0:1]
	v_add_u32_e32 v4, v4, v3
; %bb.919:
	s_or_b64 exec, exec, s[20:21]
	s_mov_b64 s[0:1], 0
	global_store_byte v[0:1], v4, off
.LBB14_920:
	s_mov_b64 s[20:21], 0
.LBB14_921:
	s_and_b64 vcc, exec, s[20:21]
	s_cbranch_vccz .LBB14_928
; %bb.922:
	s_cmp_eq_u32 s29, 29
	s_mov_b64 s[0:1], -1
	s_cbranch_scc0 .LBB14_928
; %bb.923:
	v_trunc_f32_e32 v3, v2
	v_mul_f32_e32 v4, 0x2f800000, v3
	v_floor_f32_e32 v5, v4
	v_fmac_f32_e32 v3, 0xcf800000, v5
	v_cvt_u32_f32_e32 v4, v5
	v_cvt_u32_f32_e32 v3, v3
	s_mov_b64 s[0:1], 0
	s_mov_b64 s[20:21], 0
	global_store_dwordx2 v[0:1], v[3:4], off
	s_branch .LBB14_929
.LBB14_924:
	s_or_b64 exec, exec, s[16:17]
	s_and_saveexec_b64 s[0:1], s[6:7]
	s_cbranch_execnz .LBB14_987
.LBB14_925:
	s_or_b64 exec, exec, s[0:1]
	s_and_saveexec_b64 s[0:1], s[22:23]
	s_xor_b64 s[0:1], exec, s[0:1]
	s_cbranch_execz .LBB14_988
.LBB14_926:
	s_waitcnt vmcnt(0)
	v_cmp_neq_f32_e32 vcc, 0, v2
	v_cndmask_b32_e64 v3, 0, 1, vcc
	global_store_byte v[0:1], v3, off
	s_or_b64 exec, exec, s[0:1]
	s_and_saveexec_b64 s[0:1], s[20:21]
	s_xor_b64 s[0:1], exec, s[0:1]
	s_cbranch_execz .LBB14_1026
	s_branch .LBB14_989
.LBB14_927:
	s_mov_b64 s[20:21], -1
	s_mov_b64 s[0:1], s[6:7]
	s_branch .LBB14_986
.LBB14_928:
	s_mov_b64 s[20:21], 0
.LBB14_929:
	s_and_b64 vcc, exec, s[20:21]
	s_cbranch_vccz .LBB14_944
; %bb.930:
	s_cmp_lt_i32 s29, 27
	s_mov_b64 s[20:21], -1
	s_cbranch_scc1 .LBB14_936
; %bb.931:
	v_cvt_u32_f32_e32 v3, v2
	s_cmp_gt_i32 s29, 27
	s_cbranch_scc0 .LBB14_933
; %bb.932:
	s_mov_b64 s[20:21], 0
	global_store_dword v[0:1], v3, off
.LBB14_933:
	s_andn2_b64 vcc, exec, s[20:21]
	s_cbranch_vccnz .LBB14_935
; %bb.934:
	global_store_short v[0:1], v3, off
.LBB14_935:
	s_mov_b64 s[20:21], 0
.LBB14_936:
	s_andn2_b64 vcc, exec, s[20:21]
	s_cbranch_vccnz .LBB14_944
; %bb.937:
	v_and_b32_e32 v3, 0x7fffffff, v2
	s_mov_b32 s20, 0x43800000
	v_cmp_gt_u32_e32 vcc, s20, v3
	v_mov_b32_e32 v4, 0x80
	s_and_saveexec_b64 s[20:21], vcc
	s_cbranch_execz .LBB14_943
; %bb.938:
	s_mov_b32 s22, 0x3bffffff
	v_cmp_lt_u32_e32 vcc, s22, v3
	s_mov_b64 s[22:23], 0
                                        ; implicit-def: $vgpr3
	s_and_saveexec_b64 s[24:25], vcc
	s_xor_b64 s[24:25], exec, s[24:25]
	s_cbranch_execz .LBB14_1041
; %bb.939:
	v_bfe_u32 v3, v2, 20, 1
	s_mov_b32 s26, 0x487ffff
	v_add3_u32 v3, v2, v3, s26
	s_mov_b64 s[22:23], exec
	v_lshrrev_b32_e32 v3, 20, v3
	s_andn2_saveexec_b64 s[24:25], s[24:25]
	s_cbranch_execnz .LBB14_1042
.LBB14_940:
	s_or_b64 exec, exec, s[24:25]
	v_mov_b32_e32 v4, 0
	s_and_saveexec_b64 s[24:25], s[22:23]
.LBB14_941:
	v_lshrrev_b32_e32 v4, 24, v2
	s_movk_i32 s22, 0x80
	v_and_or_b32 v4, v4, s22, v3
.LBB14_942:
	s_or_b64 exec, exec, s[24:25]
.LBB14_943:
	s_or_b64 exec, exec, s[20:21]
	global_store_byte v[0:1], v4, off
.LBB14_944:
	s_mov_b64 s[22:23], 0
.LBB14_945:
	s_mov_b64 s[20:21], 0
	s_and_b64 vcc, exec, s[22:23]
	s_cbranch_vccz .LBB14_985
; %bb.946:
	s_cmp_gt_i32 s29, 22
	s_mov_b64 s[22:23], -1
	s_cbranch_scc0 .LBB14_978
; %bb.947:
	s_cmp_lt_i32 s29, 24
	s_cbranch_scc1 .LBB14_967
; %bb.948:
	s_cmp_gt_i32 s29, 24
	s_cbranch_scc0 .LBB14_956
; %bb.949:
	v_and_b32_e32 v3, 0x7fffffff, v2
	s_mov_b32 s22, 0x47800000
	v_cmp_gt_u32_e32 vcc, s22, v3
	v_mov_b32_e32 v4, 0x80
	s_and_saveexec_b64 s[22:23], vcc
	s_cbranch_execz .LBB14_955
; %bb.950:
	s_mov_b32 s24, 0x37ffffff
	v_cmp_lt_u32_e32 vcc, s24, v3
	s_mov_b64 s[24:25], 0
                                        ; implicit-def: $vgpr3
	s_and_saveexec_b64 s[26:27], vcc
	s_xor_b64 s[26:27], exec, s[26:27]
	s_cbranch_execz .LBB14_1166
; %bb.951:
	v_bfe_u32 v3, v2, 21, 1
	s_mov_b32 s30, 0x88fffff
	v_add3_u32 v3, v2, v3, s30
	s_mov_b64 s[24:25], exec
	v_lshrrev_b32_e32 v3, 21, v3
	s_andn2_saveexec_b64 s[26:27], s[26:27]
	s_cbranch_execnz .LBB14_1167
.LBB14_952:
	s_or_b64 exec, exec, s[26:27]
	v_mov_b32_e32 v4, 0
	s_and_saveexec_b64 s[26:27], s[24:25]
.LBB14_953:
	v_lshrrev_b32_e32 v4, 24, v2
	s_movk_i32 s24, 0x80
	v_and_or_b32 v4, v4, s24, v3
.LBB14_954:
	s_or_b64 exec, exec, s[26:27]
.LBB14_955:
	s_or_b64 exec, exec, s[22:23]
	s_mov_b64 s[22:23], 0
	global_store_byte v[0:1], v4, off
.LBB14_956:
	s_and_b64 vcc, exec, s[22:23]
	s_cbranch_vccz .LBB14_966
; %bb.957:
	v_and_b32_e32 v4, 0x7fffffff, v2
	s_mov_b32 s22, 0x43f00000
	v_cmp_gt_u32_e32 vcc, s22, v4
                                        ; implicit-def: $vgpr3
	s_and_saveexec_b64 s[22:23], vcc
	s_xor_b64 s[22:23], exec, s[22:23]
	s_cbranch_execz .LBB14_963
; %bb.958:
	s_mov_b32 s24, 0x3c7fffff
	v_cmp_lt_u32_e32 vcc, s24, v4
                                        ; implicit-def: $vgpr3
	s_and_saveexec_b64 s[24:25], vcc
	s_xor_b64 s[24:25], exec, s[24:25]
; %bb.959:
	v_bfe_u32 v3, v2, 20, 1
	s_mov_b32 s26, 0x407ffff
	v_add3_u32 v3, v2, v3, s26
	v_lshrrev_b32_e32 v4, 20, v3
	v_and_b32_e32 v3, 0xff00000, v3
	s_mov_b32 s26, 0x7f00000
	v_mov_b32_e32 v5, 0x7e
	v_cmp_ne_u32_e32 vcc, s26, v3
	v_cndmask_b32_e32 v3, v5, v4, vcc
; %bb.960:
	s_andn2_saveexec_b64 s[24:25], s[24:25]
; %bb.961:
	s_mov_b32 s26, 0x46800000
	v_add_f32_e64 v3, |v2|, s26
; %bb.962:
	s_or_b64 exec, exec, s[24:25]
                                        ; implicit-def: $vgpr4
.LBB14_963:
	s_andn2_saveexec_b64 s[22:23], s[22:23]
; %bb.964:
	s_mov_b32 s24, 0x7f800000
	v_mov_b32_e32 v3, 0x7e
	v_mov_b32_e32 v5, 0x7f
	v_cmp_lt_u32_e32 vcc, s24, v4
	v_cndmask_b32_e32 v3, v3, v5, vcc
; %bb.965:
	s_or_b64 exec, exec, s[22:23]
	v_lshrrev_b32_e32 v4, 24, v2
	s_movk_i32 s22, 0x80
	v_and_or_b32 v3, v4, s22, v3
	global_store_byte v[0:1], v3, off
.LBB14_966:
	s_mov_b64 s[22:23], 0
.LBB14_967:
	s_andn2_b64 vcc, exec, s[22:23]
	s_cbranch_vccnz .LBB14_977
; %bb.968:
	v_and_b32_e32 v4, 0x7fffffff, v2
	s_mov_b32 s22, 0x47800000
	v_cmp_gt_u32_e32 vcc, s22, v4
                                        ; implicit-def: $vgpr3
	s_and_saveexec_b64 s[22:23], vcc
	s_xor_b64 s[22:23], exec, s[22:23]
	s_cbranch_execz .LBB14_974
; %bb.969:
	s_mov_b32 s24, 0x387fffff
	v_cmp_lt_u32_e32 vcc, s24, v4
                                        ; implicit-def: $vgpr3
	s_and_saveexec_b64 s[24:25], vcc
	s_xor_b64 s[24:25], exec, s[24:25]
; %bb.970:
	v_bfe_u32 v3, v2, 21, 1
	s_mov_b32 s26, 0x80fffff
	v_add3_u32 v3, v2, v3, s26
	v_lshrrev_b32_e32 v3, 21, v3
; %bb.971:
	s_andn2_saveexec_b64 s[24:25], s[24:25]
; %bb.972:
	s_mov_b32 s26, 0x43000000
	v_add_f32_e64 v3, |v2|, s26
; %bb.973:
	s_or_b64 exec, exec, s[24:25]
                                        ; implicit-def: $vgpr4
.LBB14_974:
	s_andn2_saveexec_b64 s[22:23], s[22:23]
; %bb.975:
	s_mov_b32 s24, 0x7f800000
	v_mov_b32_e32 v3, 0x7c
	v_mov_b32_e32 v5, 0x7f
	v_cmp_lt_u32_e32 vcc, s24, v4
	v_cndmask_b32_e32 v3, v3, v5, vcc
; %bb.976:
	s_or_b64 exec, exec, s[22:23]
	v_lshrrev_b32_e32 v4, 24, v2
	s_movk_i32 s22, 0x80
	v_and_or_b32 v3, v4, s22, v3
	global_store_byte v[0:1], v3, off
.LBB14_977:
	s_mov_b64 s[22:23], 0
.LBB14_978:
	s_andn2_b64 vcc, exec, s[22:23]
	s_mov_b64 s[22:23], 0
	s_cbranch_vccnz .LBB14_986
; %bb.979:
	s_cmp_gt_i32 s29, 14
	s_mov_b64 s[24:25], -1
	s_cbranch_scc0 .LBB14_983
; %bb.980:
	s_cmp_eq_u32 s29, 15
	s_mov_b64 s[0:1], -1
	s_cbranch_scc0 .LBB14_982
; %bb.981:
	v_bfe_u32 v3, v2, 16, 1
	s_movk_i32 s0, 0x7fff
	v_add3_u32 v3, v2, v3, s0
	v_cmp_o_f32_e32 vcc, v2, v2
	v_mov_b32_e32 v4, 0x7fc0
	v_cndmask_b32_sdwa v3, v4, v3, vcc dst_sel:DWORD dst_unused:UNUSED_PAD src0_sel:DWORD src1_sel:WORD_1
	global_store_short v[0:1], v3, off
	s_mov_b64 s[0:1], 0
.LBB14_982:
	s_mov_b64 s[24:25], 0
.LBB14_983:
	s_and_b64 vcc, exec, s[24:25]
	s_cbranch_vccz .LBB14_986
; %bb.984:
	s_cmp_lg_u32 s29, 11
	s_cselect_b64 s[24:25], -1, 0
	s_andn2_b64 s[0:1], s[0:1], exec
	s_and_b64 s[24:25], s[24:25], exec
	s_mov_b64 s[22:23], -1
	s_or_b64 s[0:1], s[0:1], s[24:25]
	s_branch .LBB14_986
.LBB14_985:
	s_mov_b64 s[22:23], 0
.LBB14_986:
	s_andn2_b64 s[6:7], s[6:7], exec
	s_and_b64 s[0:1], s[0:1], exec
	s_and_b64 s[20:21], s[20:21], exec
	;; [unrolled: 1-line block ×3, first 2 shown]
	s_or_b64 s[6:7], s[6:7], s[0:1]
	s_or_b64 exec, exec, s[16:17]
	s_and_saveexec_b64 s[0:1], s[6:7]
	s_cbranch_execz .LBB14_925
.LBB14_987:
	s_or_b64 s[18:19], s[18:19], exec
	s_andn2_b64 s[22:23], s[22:23], exec
	s_trap 2
	s_or_b64 exec, exec, s[0:1]
	s_and_saveexec_b64 s[0:1], s[22:23]
	s_xor_b64 s[0:1], exec, s[0:1]
	s_cbranch_execnz .LBB14_926
.LBB14_988:
	s_or_b64 exec, exec, s[0:1]
	s_and_saveexec_b64 s[0:1], s[20:21]
	s_xor_b64 s[0:1], exec, s[0:1]
	s_cbranch_execz .LBB14_1026
.LBB14_989:
	s_sext_i32_i16 s16, s28
	s_cmp_lt_i32 s16, 5
	s_mov_b64 s[6:7], -1
	s_cbranch_scc1 .LBB14_1010
; %bb.990:
	s_cmp_lt_i32 s16, 8
	s_cbranch_scc1 .LBB14_1000
; %bb.991:
	s_cmp_lt_i32 s16, 9
	s_cbranch_scc1 .LBB14_997
; %bb.992:
	s_cmp_gt_i32 s16, 9
	s_cbranch_scc0 .LBB14_994
; %bb.993:
	s_waitcnt vmcnt(0)
	v_cvt_f64_f32_e32 v[3:4], v2
	v_mov_b32_e32 v5, 0
	v_mov_b32_e32 v6, v5
	s_mov_b64 s[6:7], 0
	global_store_dwordx4 v[0:1], v[3:6], off
.LBB14_994:
	s_andn2_b64 vcc, exec, s[6:7]
	s_cbranch_vccnz .LBB14_996
; %bb.995:
	s_waitcnt vmcnt(0)
	v_mov_b32_e32 v3, 0
	global_store_dwordx2 v[0:1], v[2:3], off
.LBB14_996:
	s_mov_b64 s[6:7], 0
.LBB14_997:
	s_andn2_b64 vcc, exec, s[6:7]
	s_cbranch_vccnz .LBB14_999
; %bb.998:
	s_waitcnt vmcnt(0)
	v_cvt_f16_f32_e32 v3, v2
	global_store_dword v[0:1], v3, off
.LBB14_999:
	s_mov_b64 s[6:7], 0
.LBB14_1000:
	s_andn2_b64 vcc, exec, s[6:7]
	s_cbranch_vccnz .LBB14_1009
; %bb.1001:
	s_sext_i32_i16 s16, s28
	s_cmp_lt_i32 s16, 6
	s_mov_b64 s[6:7], -1
	s_cbranch_scc1 .LBB14_1007
; %bb.1002:
	s_cmp_gt_i32 s16, 6
	s_cbranch_scc0 .LBB14_1004
; %bb.1003:
	s_waitcnt vmcnt(0)
	v_cvt_f64_f32_e32 v[3:4], v2
	s_mov_b64 s[6:7], 0
	global_store_dwordx2 v[0:1], v[3:4], off
.LBB14_1004:
	s_andn2_b64 vcc, exec, s[6:7]
	s_cbranch_vccnz .LBB14_1006
; %bb.1005:
	s_waitcnt vmcnt(0)
	global_store_dword v[0:1], v2, off
.LBB14_1006:
	s_mov_b64 s[6:7], 0
.LBB14_1007:
	s_andn2_b64 vcc, exec, s[6:7]
	s_cbranch_vccnz .LBB14_1009
; %bb.1008:
	s_waitcnt vmcnt(0)
	v_cvt_f16_f32_e32 v3, v2
	global_store_short v[0:1], v3, off
.LBB14_1009:
	s_mov_b64 s[6:7], 0
.LBB14_1010:
	s_andn2_b64 vcc, exec, s[6:7]
	s_cbranch_vccnz .LBB14_1026
; %bb.1011:
	s_sext_i32_i16 s16, s28
	s_cmp_lt_i32 s16, 2
	s_mov_b64 s[6:7], -1
	s_cbranch_scc1 .LBB14_1021
; %bb.1012:
	s_cmp_lt_i32 s16, 3
	s_cbranch_scc1 .LBB14_1018
; %bb.1013:
	s_cmp_gt_i32 s16, 3
	s_cbranch_scc0 .LBB14_1015
; %bb.1014:
	s_waitcnt vmcnt(0)
	v_trunc_f32_e32 v3, v2
	s_mov_b32 s6, 0x2f800000
	v_mul_f32_e64 v4, |v3|, s6
	v_floor_f32_e32 v4, v4
	s_mov_b32 s6, 0xcf800000
	v_cvt_u32_f32_e32 v5, v4
	v_fma_f32 v4, v4, s6, |v3|
	v_cvt_u32_f32_e32 v4, v4
	v_ashrrev_i32_e32 v6, 31, v3
	v_xor_b32_e32 v5, v5, v6
	s_mov_b64 s[6:7], 0
	v_xor_b32_e32 v3, v4, v6
	v_sub_co_u32_e32 v3, vcc, v3, v6
	v_subb_co_u32_e32 v4, vcc, v5, v6, vcc
	global_store_dwordx2 v[0:1], v[3:4], off
.LBB14_1015:
	s_andn2_b64 vcc, exec, s[6:7]
	s_cbranch_vccnz .LBB14_1017
; %bb.1016:
	s_waitcnt vmcnt(0)
	v_cvt_i32_f32_e32 v3, v2
	global_store_dword v[0:1], v3, off
.LBB14_1017:
	s_mov_b64 s[6:7], 0
.LBB14_1018:
	s_andn2_b64 vcc, exec, s[6:7]
	s_cbranch_vccnz .LBB14_1020
; %bb.1019:
	s_waitcnt vmcnt(0)
	v_cvt_i32_f32_e32 v3, v2
	global_store_short v[0:1], v3, off
.LBB14_1020:
	s_mov_b64 s[6:7], 0
.LBB14_1021:
	s_andn2_b64 vcc, exec, s[6:7]
	s_cbranch_vccnz .LBB14_1026
; %bb.1022:
	s_sext_i32_i16 s6, s28
	s_cmp_gt_i32 s6, 0
	s_mov_b64 s[6:7], -1
	s_cbranch_scc0 .LBB14_1024
; %bb.1023:
	s_waitcnt vmcnt(0)
	v_cvt_i32_f32_e32 v3, v2
	s_mov_b64 s[6:7], 0
	global_store_byte v[0:1], v3, off
.LBB14_1024:
	s_andn2_b64 vcc, exec, s[6:7]
	s_cbranch_vccnz .LBB14_1026
; %bb.1025:
	s_waitcnt vmcnt(0)
	v_trunc_f32_e32 v2, v2
	s_mov_b32 s6, 0x2f800000
	v_mul_f32_e64 v3, |v2|, s6
	v_floor_f32_e32 v3, v3
	s_mov_b32 s6, 0xcf800000
	v_fma_f32 v3, v3, s6, |v2|
	v_cvt_u32_f32_e32 v3, v3
	v_ashrrev_i32_e32 v2, 31, v2
	v_xor_b32_e32 v3, v3, v2
	v_sub_u32_e32 v2, v3, v2
	global_store_byte v[0:1], v2, off
.LBB14_1026:
	s_or_b64 exec, exec, s[0:1]
	s_and_b64 s[6:7], s[18:19], exec
                                        ; implicit-def: $vgpr4
.LBB14_1027:
	s_or_saveexec_b64 s[4:5], s[4:5]
	s_mov_b64 s[0:1], 0
                                        ; implicit-def: $sgpr22
                                        ; implicit-def: $vgpr0_vgpr1
                                        ; implicit-def: $vgpr2
	s_xor_b64 exec, exec, s[4:5]
	s_cbranch_execz .LBB14_1975
; %bb.1028:
	s_waitcnt vmcnt(0)
	v_mul_lo_u32 v3, s13, v4
	v_mov_b32_e32 v1, s11
	s_and_b32 s15, 0xffff, s15
	s_cmp_lt_i32 s15, 11
	v_ashrrev_i32_e32 v2, 31, v3
	v_add_co_u32_e32 v0, vcc, s10, v3
	v_addc_co_u32_e32 v1, vcc, v1, v2, vcc
	s_cbranch_scc1 .LBB14_1035
; %bb.1029:
	s_cmp_gt_i32 s15, 25
	s_cbranch_scc0 .LBB14_1037
; %bb.1030:
	s_cmp_gt_i32 s15, 28
	s_cbranch_scc0 .LBB14_1038
	;; [unrolled: 3-line block ×4, first 2 shown]
; %bb.1033:
	s_cmp_eq_u32 s15, 46
	s_mov_b64 s[16:17], 0
	s_cbranch_scc0 .LBB14_1043
; %bb.1034:
	global_load_dword v2, v[0:1], off
	s_mov_b64 s[18:19], -1
	s_waitcnt vmcnt(0)
	v_lshlrev_b32_e32 v2, 16, v2
	s_branch .LBB14_1044
.LBB14_1035:
	s_mov_b64 s[18:19], 0
                                        ; implicit-def: $vgpr2
	s_mov_b64 s[16:17], s[6:7]
	s_cbranch_execnz .LBB14_1107
.LBB14_1036:
	s_andn2_b64 vcc, exec, s[18:19]
	s_cbranch_vccz .LBB14_1152
	s_branch .LBB14_1973
.LBB14_1037:
	s_mov_b64 s[18:19], 0
                                        ; implicit-def: $vgpr2
	s_cbranch_execnz .LBB14_1072
	s_branch .LBB14_1103
.LBB14_1038:
	s_mov_b64 s[16:17], -1
	s_mov_b64 s[18:19], 0
                                        ; implicit-def: $vgpr2
	s_branch .LBB14_1053
.LBB14_1039:
	s_mov_b64 s[18:19], 0
                                        ; implicit-def: $vgpr2
	s_cbranch_execnz .LBB14_1049
	s_branch .LBB14_1052
.LBB14_1040:
	s_mov_b64 s[16:17], -1
	s_mov_b64 s[18:19], 0
                                        ; implicit-def: $vgpr2
	s_branch .LBB14_1044
.LBB14_1041:
	s_andn2_saveexec_b64 s[24:25], s[24:25]
	s_cbranch_execz .LBB14_940
.LBB14_1042:
	s_mov_b32 s26, 0x46000000
	v_add_f32_e64 v3, |v2|, s26
	v_and_b32_e32 v3, 0xff, v3
	v_cmp_ne_u32_e32 vcc, 0, v3
	s_andn2_b64 s[22:23], s[22:23], exec
	s_and_b64 s[26:27], vcc, exec
	s_or_b64 s[22:23], s[22:23], s[26:27]
	s_or_b64 exec, exec, s[24:25]
	v_mov_b32_e32 v4, 0
	s_and_saveexec_b64 s[24:25], s[22:23]
	s_cbranch_execnz .LBB14_941
	s_branch .LBB14_942
.LBB14_1043:
	s_mov_b64 s[0:1], -1
                                        ; implicit-def: $vgpr2
	s_mov_b64 s[18:19], 0
.LBB14_1044:
	s_and_b64 vcc, exec, s[16:17]
	s_cbranch_vccz .LBB14_1047
; %bb.1045:
	s_cmp_eq_u32 s15, 44
	s_cbranch_scc0 .LBB14_1048
; %bb.1046:
	global_load_ubyte v2, v[0:1], off
	s_movk_i32 s16, 0xff
	v_mov_b32_e32 v5, 0x7f800001
	v_mov_b32_e32 v6, 0x400000
	s_mov_b64 s[0:1], 0
	s_mov_b64 s[18:19], -1
	s_waitcnt vmcnt(0)
	v_lshlrev_b32_e32 v7, 23, v2
	v_cmp_ne_u32_e32 vcc, s16, v2
	v_cndmask_b32_e32 v5, v5, v7, vcc
	v_cmp_ne_u32_e32 vcc, 0, v2
	v_cndmask_b32_e32 v2, v6, v5, vcc
.LBB14_1047:
	s_branch .LBB14_1052
.LBB14_1048:
	s_mov_b64 s[0:1], -1
                                        ; implicit-def: $vgpr2
	s_branch .LBB14_1052
.LBB14_1049:
	s_cmp_eq_u32 s15, 29
	s_cbranch_scc0 .LBB14_1051
; %bb.1050:
	global_load_dwordx2 v[5:6], v[0:1], off
	s_mov_b64 s[0:1], 0
	s_mov_b64 s[18:19], -1
	s_mov_b64 s[16:17], 0
	s_waitcnt vmcnt(0)
	v_ffbh_u32_e32 v2, v6
	v_min_u32_e32 v2, 32, v2
	v_lshlrev_b64 v[5:6], v2, v[5:6]
	v_sub_u32_e32 v2, 32, v2
	v_min_u32_e32 v5, 1, v5
	v_or_b32_e32 v5, v6, v5
	v_cvt_f32_u32_e32 v5, v5
	v_ldexp_f32 v2, v5, v2
	s_branch .LBB14_1053
.LBB14_1051:
	s_mov_b64 s[0:1], -1
                                        ; implicit-def: $vgpr2
.LBB14_1052:
	s_mov_b64 s[16:17], 0
.LBB14_1053:
	s_and_b64 vcc, exec, s[16:17]
	s_cbranch_vccz .LBB14_1071
; %bb.1054:
	s_cmp_lt_i32 s15, 27
	s_cbranch_scc1 .LBB14_1057
; %bb.1055:
	s_cmp_gt_i32 s15, 27
	s_cbranch_scc0 .LBB14_1058
; %bb.1056:
	global_load_dword v2, v[0:1], off
	s_mov_b64 s[16:17], 0
	s_waitcnt vmcnt(0)
	v_cvt_f32_u32_e32 v2, v2
	s_branch .LBB14_1059
.LBB14_1057:
	s_mov_b64 s[16:17], -1
                                        ; implicit-def: $vgpr2
	s_branch .LBB14_1062
.LBB14_1058:
	s_mov_b64 s[16:17], -1
                                        ; implicit-def: $vgpr2
.LBB14_1059:
	s_andn2_b64 vcc, exec, s[16:17]
	s_cbranch_vccnz .LBB14_1061
; %bb.1060:
	global_load_ushort v2, v[0:1], off
	s_waitcnt vmcnt(0)
	v_cvt_f32_u32_e32 v2, v2
.LBB14_1061:
	s_mov_b64 s[16:17], 0
.LBB14_1062:
	s_andn2_b64 vcc, exec, s[16:17]
	s_cbranch_vccnz .LBB14_1070
; %bb.1063:
	global_load_ubyte v5, v[0:1], off
	s_movk_i32 s16, 0x7f
	s_waitcnt vmcnt(0)
	v_cmp_lt_i16_e32 vcc, s16, v5
	s_mov_b64 s[16:17], 0
	s_and_saveexec_b64 s[18:19], vcc
	s_xor_b64 s[18:19], exec, s[18:19]
	s_cbranch_execz .LBB14_1083
; %bb.1064:
	s_movk_i32 s16, 0x80
	v_cmp_eq_u16_e32 vcc, s16, v5
	s_mov_b64 s[16:17], -1
	s_and_saveexec_b64 s[20:21], vcc
; %bb.1065:
	s_xor_b64 s[16:17], exec, -1
; %bb.1066:
	s_or_b64 exec, exec, s[20:21]
	s_and_b64 s[16:17], s[16:17], exec
	s_or_saveexec_b64 s[18:19], s[18:19]
	v_mov_b32_e32 v2, 0x7f800001
	s_xor_b64 exec, exec, s[18:19]
	s_cbranch_execnz .LBB14_1084
.LBB14_1067:
	s_or_b64 exec, exec, s[18:19]
	s_and_saveexec_b64 s[18:19], s[16:17]
	s_cbranch_execz .LBB14_1069
.LBB14_1068:
	v_lshlrev_b32_e32 v2, 24, v5
	v_and_b32_e32 v5, 0xffff, v5
	v_and_b32_e32 v6, 7, v5
	v_ffbh_u32_e32 v8, v6
	v_min_u32_e32 v8, 32, v8
	v_subrev_u32_e32 v9, 28, v8
	v_bfe_u32 v7, v5, 3, 4
	v_lshlrev_b32_e32 v5, v9, v5
	v_sub_u32_e32 v8, 29, v8
	v_and_b32_e32 v5, 7, v5
	v_cmp_eq_u32_e32 vcc, 0, v7
	v_cndmask_b32_e32 v7, v7, v8, vcc
	v_cndmask_b32_e32 v5, v6, v5, vcc
	v_mov_b32_e32 v6, 0x3b800000
	v_lshlrev_b32_e32 v5, 20, v5
	v_and_b32_e32 v2, 0x80000000, v2
	v_lshl_add_u32 v6, v7, 23, v6
	v_or3_b32 v2, v2, v6, v5
.LBB14_1069:
	s_or_b64 exec, exec, s[18:19]
.LBB14_1070:
	s_mov_b64 s[18:19], -1
.LBB14_1071:
	s_branch .LBB14_1103
.LBB14_1072:
	s_cmp_gt_i32 s15, 22
	s_cbranch_scc0 .LBB14_1082
; %bb.1073:
	s_cmp_lt_i32 s15, 24
	s_cbranch_scc1 .LBB14_1085
; %bb.1074:
	s_cmp_gt_i32 s15, 24
	s_cbranch_scc0 .LBB14_1086
; %bb.1075:
	global_load_ubyte v5, v[0:1], off
	s_movk_i32 s2, 0x7f
	s_waitcnt vmcnt(0)
	v_cmp_lt_i16_e32 vcc, s2, v5
	s_mov_b64 s[2:3], 0
	s_and_saveexec_b64 s[16:17], vcc
	s_xor_b64 s[16:17], exec, s[16:17]
	s_cbranch_execz .LBB14_1097
; %bb.1076:
	s_movk_i32 s2, 0x80
	v_cmp_eq_u16_e32 vcc, s2, v5
	s_mov_b64 s[2:3], -1
	s_and_saveexec_b64 s[18:19], vcc
; %bb.1077:
	s_xor_b64 s[2:3], exec, -1
; %bb.1078:
	s_or_b64 exec, exec, s[18:19]
	s_and_b64 s[2:3], s[2:3], exec
	s_or_saveexec_b64 s[16:17], s[16:17]
	v_mov_b32_e32 v2, 0x7f800001
	s_xor_b64 exec, exec, s[16:17]
	s_cbranch_execnz .LBB14_1098
.LBB14_1079:
	s_or_b64 exec, exec, s[16:17]
	s_and_saveexec_b64 s[16:17], s[2:3]
	s_cbranch_execz .LBB14_1081
.LBB14_1080:
	v_lshlrev_b32_e32 v2, 24, v5
	v_and_b32_e32 v5, 0xffff, v5
	v_and_b32_e32 v6, 3, v5
	v_ffbh_u32_e32 v8, v6
	v_min_u32_e32 v8, 32, v8
	v_subrev_u32_e32 v9, 29, v8
	v_bfe_u32 v7, v5, 2, 5
	v_lshlrev_b32_e32 v5, v9, v5
	v_sub_u32_e32 v8, 30, v8
	v_and_b32_e32 v5, 3, v5
	v_cmp_eq_u32_e32 vcc, 0, v7
	v_cndmask_b32_e32 v7, v7, v8, vcc
	v_cndmask_b32_e32 v5, v6, v5, vcc
	v_mov_b32_e32 v6, 0x37800000
	v_lshlrev_b32_e32 v5, 21, v5
	v_and_b32_e32 v2, 0x80000000, v2
	v_lshl_add_u32 v6, v7, 23, v6
	v_or3_b32 v2, v2, v6, v5
.LBB14_1081:
	s_or_b64 exec, exec, s[16:17]
	s_mov_b64 s[2:3], 0
	s_branch .LBB14_1087
.LBB14_1082:
                                        ; implicit-def: $vgpr2
	s_mov_b64 s[2:3], 0
	s_branch .LBB14_1093
.LBB14_1083:
	s_or_saveexec_b64 s[18:19], s[18:19]
	v_mov_b32_e32 v2, 0x7f800001
	s_xor_b64 exec, exec, s[18:19]
	s_cbranch_execz .LBB14_1067
.LBB14_1084:
	v_cmp_ne_u16_e32 vcc, 0, v5
	s_andn2_b64 s[16:17], s[16:17], exec
	s_and_b64 s[20:21], vcc, exec
	v_mov_b32_e32 v2, 0
	s_or_b64 s[16:17], s[16:17], s[20:21]
	s_or_b64 exec, exec, s[18:19]
	s_and_saveexec_b64 s[18:19], s[16:17]
	s_cbranch_execnz .LBB14_1068
	s_branch .LBB14_1069
.LBB14_1085:
	s_mov_b64 s[2:3], -1
                                        ; implicit-def: $vgpr2
	s_branch .LBB14_1090
.LBB14_1086:
	s_mov_b64 s[2:3], -1
                                        ; implicit-def: $vgpr2
.LBB14_1087:
	s_and_b64 vcc, exec, s[2:3]
	s_cbranch_vccz .LBB14_1089
; %bb.1088:
	global_load_ubyte v2, v[0:1], off
	s_mov_b32 s2, 0x7f800000
	s_waitcnt vmcnt(0)
	v_lshlrev_b32_e32 v2, 24, v2
	v_and_b32_e32 v5, 0x7f000000, v2
	v_ffbh_u32_e32 v6, v5
	v_min_u32_e32 v6, 32, v6
	v_sub_u32_e64 v6, v6, 4 clamp
	v_lshlrev_b32_e32 v8, v6, v5
	v_lshlrev_b32_e32 v6, 23, v6
	v_lshrrev_b32_e32 v8, 4, v8
	v_add_u32_e32 v7, 0x1000000, v5
	v_sub_u32_e32 v6, v8, v6
	v_ashrrev_i32_e32 v7, 8, v7
	v_add_u32_e32 v6, 0x3c000000, v6
	v_and_or_b32 v6, v7, s2, v6
	v_cmp_ne_u32_e32 vcc, 0, v5
	v_cndmask_b32_e32 v5, 0, v6, vcc
	s_brev_b32 s2, 1
	v_and_or_b32 v2, v2, s2, v5
.LBB14_1089:
	s_mov_b64 s[2:3], 0
.LBB14_1090:
	s_andn2_b64 vcc, exec, s[2:3]
	s_cbranch_vccnz .LBB14_1092
; %bb.1091:
	global_load_ubyte v2, v[0:1], off
	s_movk_i32 s2, 0x7f00
	s_brev_b32 s3, 16
	s_waitcnt vmcnt(0)
	v_lshlrev_b16_e32 v5, 8, v2
	v_lshlrev_b32_e32 v2, 25, v2
	v_lshrrev_b32_e32 v6, 4, v2
	v_and_or_b32 v7, v5, s2, 0.5
	v_or_b32_e32 v6, 0x70000000, v6
	v_add_f32_e32 v7, -0.5, v7
	v_mul_f32_e32 v6, 0x7800000, v6
	v_cmp_gt_u32_e32 vcc, s3, v2
	v_bfe_i32 v5, v5, 0, 16
	v_cndmask_b32_e32 v2, v6, v7, vcc
	s_brev_b32 s2, 1
	v_and_or_b32 v2, v5, s2, v2
.LBB14_1092:
	s_mov_b64 s[18:19], -1
	s_mov_b64 s[2:3], 0
	s_cbranch_execnz .LBB14_1103
.LBB14_1093:
	s_cmp_gt_i32 s15, 14
	s_cbranch_scc0 .LBB14_1096
; %bb.1094:
	s_cmp_eq_u32 s15, 15
	s_cbranch_scc0 .LBB14_1099
; %bb.1095:
	global_load_ushort v2, v[0:1], off
	s_mov_b64 s[0:1], 0
	s_mov_b64 s[18:19], -1
	s_waitcnt vmcnt(0)
	v_lshlrev_b32_e32 v2, 16, v2
	s_branch .LBB14_1100
.LBB14_1096:
	s_mov_b64 s[16:17], -1
                                        ; implicit-def: $vgpr2
	s_branch .LBB14_1101
.LBB14_1097:
	s_or_saveexec_b64 s[16:17], s[16:17]
	v_mov_b32_e32 v2, 0x7f800001
	s_xor_b64 exec, exec, s[16:17]
	s_cbranch_execz .LBB14_1079
.LBB14_1098:
	v_cmp_ne_u16_e32 vcc, 0, v5
	s_andn2_b64 s[2:3], s[2:3], exec
	s_and_b64 s[18:19], vcc, exec
	v_mov_b32_e32 v2, 0
	s_or_b64 s[2:3], s[2:3], s[18:19]
	s_or_b64 exec, exec, s[16:17]
	s_and_saveexec_b64 s[16:17], s[2:3]
	s_cbranch_execnz .LBB14_1080
	s_branch .LBB14_1081
.LBB14_1099:
	s_mov_b64 s[0:1], -1
                                        ; implicit-def: $vgpr2
.LBB14_1100:
	s_mov_b64 s[16:17], 0
.LBB14_1101:
	s_and_b64 vcc, exec, s[16:17]
	s_cbranch_vccz .LBB14_1103
; %bb.1102:
	s_cmp_lg_u32 s15, 11
	s_mov_b64 s[2:3], -1
	s_cselect_b64 s[0:1], -1, 0
.LBB14_1103:
	s_and_b64 vcc, exec, s[0:1]
	s_mov_b64 s[16:17], s[6:7]
	s_cbranch_vccnz .LBB14_1164
; %bb.1104:
	s_andn2_b64 vcc, exec, s[2:3]
	s_cbranch_vccnz .LBB14_1106
.LBB14_1105:
	global_load_ubyte v2, v[0:1], off
	s_mov_b64 s[18:19], -1
	s_waitcnt vmcnt(0)
	v_cmp_ne_u16_e32 vcc, 0, v2
	v_cndmask_b32_e64 v2, 0, 1.0, vcc
.LBB14_1106:
	s_branch .LBB14_1036
.LBB14_1107:
	s_cmp_lt_i32 s15, 5
	s_cbranch_scc1 .LBB14_1112
; %bb.1108:
	s_cmp_lt_i32 s15, 8
	s_cbranch_scc1 .LBB14_1113
; %bb.1109:
	;; [unrolled: 3-line block ×3, first 2 shown]
	s_cmp_gt_i32 s15, 9
	s_cbranch_scc0 .LBB14_1115
; %bb.1111:
	global_load_dwordx2 v[5:6], v[0:1], off
	s_mov_b64 s[0:1], 0
	s_waitcnt vmcnt(0)
	v_cvt_f32_f64_e32 v2, v[5:6]
	s_branch .LBB14_1116
.LBB14_1112:
                                        ; implicit-def: $vgpr2
	s_branch .LBB14_1133
.LBB14_1113:
                                        ; implicit-def: $vgpr2
	s_branch .LBB14_1122
.LBB14_1114:
	s_mov_b64 s[0:1], -1
                                        ; implicit-def: $vgpr2
	s_branch .LBB14_1119
.LBB14_1115:
	s_mov_b64 s[0:1], -1
                                        ; implicit-def: $vgpr2
.LBB14_1116:
	s_andn2_b64 vcc, exec, s[0:1]
	s_cbranch_vccnz .LBB14_1118
; %bb.1117:
	global_load_dword v2, v[0:1], off
.LBB14_1118:
	s_mov_b64 s[0:1], 0
.LBB14_1119:
	s_andn2_b64 vcc, exec, s[0:1]
	s_cbranch_vccnz .LBB14_1121
; %bb.1120:
	global_load_dword v2, v[0:1], off
	s_waitcnt vmcnt(0)
	v_cvt_f32_f16_e32 v2, v2
.LBB14_1121:
	s_cbranch_execnz .LBB14_1132
.LBB14_1122:
	s_cmp_lt_i32 s15, 6
	s_cbranch_scc1 .LBB14_1125
; %bb.1123:
	s_cmp_gt_i32 s15, 6
	s_cbranch_scc0 .LBB14_1126
; %bb.1124:
	global_load_dwordx2 v[5:6], v[0:1], off
	s_mov_b64 s[0:1], 0
	s_waitcnt vmcnt(0)
	v_cvt_f32_f64_e32 v2, v[5:6]
	s_branch .LBB14_1127
.LBB14_1125:
	s_mov_b64 s[0:1], -1
                                        ; implicit-def: $vgpr2
	s_branch .LBB14_1130
.LBB14_1126:
	s_mov_b64 s[0:1], -1
                                        ; implicit-def: $vgpr2
.LBB14_1127:
	s_andn2_b64 vcc, exec, s[0:1]
	s_cbranch_vccnz .LBB14_1129
; %bb.1128:
	global_load_dword v2, v[0:1], off
.LBB14_1129:
	s_mov_b64 s[0:1], 0
.LBB14_1130:
	s_andn2_b64 vcc, exec, s[0:1]
	s_cbranch_vccnz .LBB14_1132
; %bb.1131:
	global_load_ushort v2, v[0:1], off
	s_waitcnt vmcnt(0)
	v_cvt_f32_f16_e32 v2, v2
.LBB14_1132:
	s_cbranch_execnz .LBB14_1151
.LBB14_1133:
	s_cmp_lt_i32 s15, 2
	s_cbranch_scc1 .LBB14_1137
; %bb.1134:
	s_cmp_lt_i32 s15, 3
	s_cbranch_scc1 .LBB14_1138
; %bb.1135:
	s_cmp_gt_i32 s15, 3
	s_cbranch_scc0 .LBB14_1139
; %bb.1136:
	global_load_dwordx2 v[5:6], v[0:1], off
	s_mov_b64 s[0:1], 0
	s_waitcnt vmcnt(0)
	v_xor_b32_e32 v7, v5, v6
	v_ffbh_i32_e32 v2, v6
	v_ashrrev_i32_e32 v7, 31, v7
	v_add_u32_e32 v2, -1, v2
	v_add_u32_e32 v7, 32, v7
	v_min_u32_e32 v2, v2, v7
	v_lshlrev_b64 v[5:6], v2, v[5:6]
	v_sub_u32_e32 v2, 32, v2
	v_min_u32_e32 v5, 1, v5
	v_or_b32_e32 v5, v6, v5
	v_cvt_f32_i32_e32 v5, v5
	v_ldexp_f32 v2, v5, v2
	s_branch .LBB14_1140
.LBB14_1137:
                                        ; implicit-def: $vgpr2
	s_branch .LBB14_1146
.LBB14_1138:
	s_mov_b64 s[0:1], -1
                                        ; implicit-def: $vgpr2
	s_branch .LBB14_1143
.LBB14_1139:
	s_mov_b64 s[0:1], -1
                                        ; implicit-def: $vgpr2
.LBB14_1140:
	s_andn2_b64 vcc, exec, s[0:1]
	s_cbranch_vccnz .LBB14_1142
; %bb.1141:
	global_load_dword v2, v[0:1], off
	s_waitcnt vmcnt(0)
	v_cvt_f32_i32_e32 v2, v2
.LBB14_1142:
	s_mov_b64 s[0:1], 0
.LBB14_1143:
	s_andn2_b64 vcc, exec, s[0:1]
	s_cbranch_vccnz .LBB14_1145
; %bb.1144:
	global_load_sshort v2, v[0:1], off
	s_waitcnt vmcnt(0)
	v_cvt_f32_i32_e32 v2, v2
.LBB14_1145:
	s_cbranch_execnz .LBB14_1151
.LBB14_1146:
	s_cmp_gt_i32 s15, 0
	s_cbranch_scc0 .LBB14_1148
; %bb.1147:
	global_load_sbyte v2, v[0:1], off
	s_mov_b64 s[0:1], 0
	s_waitcnt vmcnt(0)
	v_cvt_f32_i32_e32 v2, v2
	s_branch .LBB14_1149
.LBB14_1148:
	s_mov_b64 s[0:1], -1
                                        ; implicit-def: $vgpr2
.LBB14_1149:
	s_andn2_b64 vcc, exec, s[0:1]
	s_cbranch_vccnz .LBB14_1151
; %bb.1150:
	global_load_ubyte v0, v[0:1], off
	s_waitcnt vmcnt(0)
	v_cvt_f32_ubyte0_e32 v2, v0
.LBB14_1151:
.LBB14_1152:
	s_lshl_b32 s13, s13, 7
	v_add_u32_e32 v3, s13, v3
	v_ashrrev_i32_e32 v1, 31, v3
	v_mov_b32_e32 v5, s11
	v_add_co_u32_e32 v0, vcc, s10, v3
	s_cmp_lt_i32 s15, 11
	v_addc_co_u32_e32 v1, vcc, v5, v1, vcc
	s_cbranch_scc1 .LBB14_1159
; %bb.1153:
	s_cmp_gt_i32 s15, 25
	s_mov_b64 s[2:3], 0
	s_cbranch_scc0 .LBB14_1161
; %bb.1154:
	s_cmp_gt_i32 s15, 28
	s_cbranch_scc0 .LBB14_1162
; %bb.1155:
	s_cmp_gt_i32 s15, 43
	;; [unrolled: 3-line block ×3, first 2 shown]
	s_cbranch_scc0 .LBB14_1165
; %bb.1157:
	s_cmp_eq_u32 s15, 46
	s_mov_b64 s[20:21], 0
	s_cbranch_scc0 .LBB14_1168
; %bb.1158:
	global_load_dword v5, v[0:1], off
	s_mov_b64 s[0:1], 0
	s_mov_b64 s[18:19], -1
	s_waitcnt vmcnt(0)
	v_lshlrev_b32_e32 v5, 16, v5
	s_branch .LBB14_1169
.LBB14_1159:
	s_mov_b64 s[18:19], 0
                                        ; implicit-def: $vgpr5
	s_cbranch_execnz .LBB14_1234
.LBB14_1160:
	s_andn2_b64 vcc, exec, s[18:19]
	s_cbranch_vccnz .LBB14_1973
	s_branch .LBB14_1281
.LBB14_1161:
	s_mov_b64 s[18:19], 0
	s_mov_b64 s[0:1], 0
                                        ; implicit-def: $vgpr5
	s_cbranch_execnz .LBB14_1198
	s_branch .LBB14_1230
.LBB14_1162:
	s_mov_b64 s[20:21], -1
	s_mov_b64 s[18:19], 0
	s_mov_b64 s[0:1], 0
                                        ; implicit-def: $vgpr5
	s_branch .LBB14_1179
.LBB14_1163:
	s_mov_b64 s[20:21], -1
	s_mov_b64 s[18:19], 0
	s_mov_b64 s[0:1], 0
                                        ; implicit-def: $vgpr5
	s_branch .LBB14_1174
.LBB14_1164:
	s_or_b64 s[16:17], s[6:7], exec
	s_trap 2
	s_cbranch_execz .LBB14_1105
	s_branch .LBB14_1106
.LBB14_1165:
	s_mov_b64 s[20:21], -1
	s_mov_b64 s[18:19], 0
	s_mov_b64 s[0:1], 0
                                        ; implicit-def: $vgpr5
	s_branch .LBB14_1169
.LBB14_1166:
	s_andn2_saveexec_b64 s[26:27], s[26:27]
	s_cbranch_execz .LBB14_952
.LBB14_1167:
	s_mov_b32 s30, 0x42800000
	v_add_f32_e64 v3, |v2|, s30
	v_and_b32_e32 v3, 0xff, v3
	v_cmp_ne_u32_e32 vcc, 0, v3
	s_andn2_b64 s[24:25], s[24:25], exec
	s_and_b64 s[30:31], vcc, exec
	s_or_b64 s[24:25], s[24:25], s[30:31]
	s_or_b64 exec, exec, s[26:27]
	v_mov_b32_e32 v4, 0
	s_and_saveexec_b64 s[26:27], s[24:25]
	s_cbranch_execnz .LBB14_953
	s_branch .LBB14_954
.LBB14_1168:
	s_mov_b64 s[0:1], -1
                                        ; implicit-def: $vgpr5
	s_mov_b64 s[18:19], 0
.LBB14_1169:
	s_and_b64 vcc, exec, s[20:21]
	s_cbranch_vccz .LBB14_1173
; %bb.1170:
	s_cmp_eq_u32 s15, 44
	s_cbranch_scc0 .LBB14_1172
; %bb.1171:
	global_load_ubyte v5, v[0:1], off
	s_movk_i32 s18, 0xff
	v_mov_b32_e32 v6, 0x7f800001
	v_mov_b32_e32 v7, 0x400000
	s_mov_b64 s[0:1], 0
	s_waitcnt vmcnt(0)
	v_lshlrev_b32_e32 v8, 23, v5
	v_cmp_ne_u32_e32 vcc, s18, v5
	v_cndmask_b32_e32 v6, v6, v8, vcc
	v_cmp_ne_u32_e32 vcc, 0, v5
	v_cndmask_b32_e32 v5, v7, v6, vcc
	s_mov_b64 s[18:19], -1
	s_branch .LBB14_1173
.LBB14_1172:
	s_mov_b64 s[0:1], -1
                                        ; implicit-def: $vgpr5
.LBB14_1173:
	s_mov_b64 s[20:21], 0
.LBB14_1174:
	s_and_b64 vcc, exec, s[20:21]
	s_cbranch_vccz .LBB14_1178
; %bb.1175:
	s_cmp_eq_u32 s15, 29
	s_cbranch_scc0 .LBB14_1177
; %bb.1176:
	global_load_dwordx2 v[5:6], v[0:1], off
	s_mov_b64 s[0:1], 0
	s_mov_b64 s[18:19], -1
	s_mov_b64 s[20:21], 0
	s_waitcnt vmcnt(0)
	v_ffbh_u32_e32 v7, v6
	v_min_u32_e32 v7, 32, v7
	v_lshlrev_b64 v[5:6], v7, v[5:6]
	v_min_u32_e32 v5, 1, v5
	v_or_b32_e32 v5, v6, v5
	v_cvt_f32_u32_e32 v5, v5
	v_sub_u32_e32 v6, 32, v7
	v_ldexp_f32 v5, v5, v6
	s_branch .LBB14_1179
.LBB14_1177:
	s_mov_b64 s[0:1], -1
                                        ; implicit-def: $vgpr5
.LBB14_1178:
	s_mov_b64 s[20:21], 0
.LBB14_1179:
	s_and_b64 vcc, exec, s[20:21]
	s_cbranch_vccz .LBB14_1197
; %bb.1180:
	s_cmp_lt_i32 s15, 27
	s_cbranch_scc1 .LBB14_1183
; %bb.1181:
	s_cmp_gt_i32 s15, 27
	s_cbranch_scc0 .LBB14_1184
; %bb.1182:
	global_load_dword v5, v[0:1], off
	s_mov_b64 s[18:19], 0
	s_waitcnt vmcnt(0)
	v_cvt_f32_u32_e32 v5, v5
	s_branch .LBB14_1185
.LBB14_1183:
	s_mov_b64 s[18:19], -1
                                        ; implicit-def: $vgpr5
	s_branch .LBB14_1188
.LBB14_1184:
	s_mov_b64 s[18:19], -1
                                        ; implicit-def: $vgpr5
.LBB14_1185:
	s_andn2_b64 vcc, exec, s[18:19]
	s_cbranch_vccnz .LBB14_1187
; %bb.1186:
	global_load_ushort v5, v[0:1], off
	s_waitcnt vmcnt(0)
	v_cvt_f32_u32_e32 v5, v5
.LBB14_1187:
	s_mov_b64 s[18:19], 0
.LBB14_1188:
	s_andn2_b64 vcc, exec, s[18:19]
	s_cbranch_vccnz .LBB14_1196
; %bb.1189:
	global_load_ubyte v6, v[0:1], off
	s_movk_i32 s18, 0x7f
	s_waitcnt vmcnt(0)
	v_cmp_lt_i16_e32 vcc, s18, v6
	s_mov_b64 s[18:19], 0
	s_and_saveexec_b64 s[20:21], vcc
	s_xor_b64 s[20:21], exec, s[20:21]
	s_cbranch_execz .LBB14_1209
; %bb.1190:
	s_movk_i32 s18, 0x80
	v_cmp_eq_u16_e32 vcc, s18, v6
	s_mov_b64 s[18:19], -1
	s_and_saveexec_b64 s[22:23], vcc
; %bb.1191:
	s_xor_b64 s[18:19], exec, -1
; %bb.1192:
	s_or_b64 exec, exec, s[22:23]
	s_and_b64 s[18:19], s[18:19], exec
	s_or_saveexec_b64 s[20:21], s[20:21]
	v_mov_b32_e32 v5, 0x7f800001
	s_xor_b64 exec, exec, s[20:21]
	s_cbranch_execnz .LBB14_1210
.LBB14_1193:
	s_or_b64 exec, exec, s[20:21]
	s_and_saveexec_b64 s[20:21], s[18:19]
	s_cbranch_execz .LBB14_1195
.LBB14_1194:
	v_lshlrev_b32_e32 v5, 24, v6
	v_and_b32_e32 v6, 0xffff, v6
	v_and_b32_e32 v7, 7, v6
	v_ffbh_u32_e32 v9, v7
	v_min_u32_e32 v9, 32, v9
	v_subrev_u32_e32 v10, 28, v9
	v_bfe_u32 v8, v6, 3, 4
	v_lshlrev_b32_e32 v6, v10, v6
	v_sub_u32_e32 v9, 29, v9
	v_and_b32_e32 v6, 7, v6
	v_cmp_eq_u32_e32 vcc, 0, v8
	v_cndmask_b32_e32 v8, v8, v9, vcc
	v_cndmask_b32_e32 v6, v7, v6, vcc
	v_mov_b32_e32 v7, 0x3b800000
	v_lshlrev_b32_e32 v6, 20, v6
	v_and_b32_e32 v5, 0x80000000, v5
	v_lshl_add_u32 v7, v8, 23, v7
	v_or3_b32 v5, v5, v7, v6
.LBB14_1195:
	s_or_b64 exec, exec, s[20:21]
.LBB14_1196:
	s_mov_b64 s[18:19], -1
.LBB14_1197:
	s_branch .LBB14_1230
.LBB14_1198:
	s_cmp_gt_i32 s15, 22
	s_cbranch_scc0 .LBB14_1208
; %bb.1199:
	s_cmp_lt_i32 s15, 24
	s_cbranch_scc1 .LBB14_1211
; %bb.1200:
	s_cmp_gt_i32 s15, 24
	s_cbranch_scc0 .LBB14_1212
; %bb.1201:
	global_load_ubyte v6, v[0:1], off
	s_movk_i32 s2, 0x7f
	s_waitcnt vmcnt(0)
	v_cmp_lt_i16_e32 vcc, s2, v6
	s_mov_b64 s[2:3], 0
	s_and_saveexec_b64 s[18:19], vcc
	s_xor_b64 s[18:19], exec, s[18:19]
	s_cbranch_execz .LBB14_1224
; %bb.1202:
	s_movk_i32 s2, 0x80
	v_cmp_eq_u16_e32 vcc, s2, v6
	s_mov_b64 s[2:3], -1
	s_and_saveexec_b64 s[20:21], vcc
; %bb.1203:
	s_xor_b64 s[2:3], exec, -1
; %bb.1204:
	s_or_b64 exec, exec, s[20:21]
	s_and_b64 s[2:3], s[2:3], exec
	s_or_saveexec_b64 s[18:19], s[18:19]
	v_mov_b32_e32 v5, 0x7f800001
	s_xor_b64 exec, exec, s[18:19]
	s_cbranch_execnz .LBB14_1225
.LBB14_1205:
	s_or_b64 exec, exec, s[18:19]
	s_and_saveexec_b64 s[18:19], s[2:3]
	s_cbranch_execz .LBB14_1207
.LBB14_1206:
	v_lshlrev_b32_e32 v5, 24, v6
	v_and_b32_e32 v6, 0xffff, v6
	v_and_b32_e32 v7, 3, v6
	v_ffbh_u32_e32 v9, v7
	v_min_u32_e32 v9, 32, v9
	v_subrev_u32_e32 v10, 29, v9
	v_bfe_u32 v8, v6, 2, 5
	v_lshlrev_b32_e32 v6, v10, v6
	v_sub_u32_e32 v9, 30, v9
	v_and_b32_e32 v6, 3, v6
	v_cmp_eq_u32_e32 vcc, 0, v8
	v_cndmask_b32_e32 v8, v8, v9, vcc
	v_cndmask_b32_e32 v6, v7, v6, vcc
	v_mov_b32_e32 v7, 0x37800000
	v_lshlrev_b32_e32 v6, 21, v6
	v_and_b32_e32 v5, 0x80000000, v5
	v_lshl_add_u32 v7, v8, 23, v7
	v_or3_b32 v5, v5, v7, v6
.LBB14_1207:
	s_or_b64 exec, exec, s[18:19]
	s_mov_b64 s[2:3], 0
	s_branch .LBB14_1213
.LBB14_1208:
	s_mov_b64 s[2:3], -1
                                        ; implicit-def: $vgpr5
	s_branch .LBB14_1219
.LBB14_1209:
	s_or_saveexec_b64 s[20:21], s[20:21]
	v_mov_b32_e32 v5, 0x7f800001
	s_xor_b64 exec, exec, s[20:21]
	s_cbranch_execz .LBB14_1193
.LBB14_1210:
	v_cmp_ne_u16_e32 vcc, 0, v6
	s_andn2_b64 s[18:19], s[18:19], exec
	s_and_b64 s[22:23], vcc, exec
	v_mov_b32_e32 v5, 0
	s_or_b64 s[18:19], s[18:19], s[22:23]
	s_or_b64 exec, exec, s[20:21]
	s_and_saveexec_b64 s[20:21], s[18:19]
	s_cbranch_execnz .LBB14_1194
	s_branch .LBB14_1195
.LBB14_1211:
	s_mov_b64 s[2:3], -1
                                        ; implicit-def: $vgpr5
	s_branch .LBB14_1216
.LBB14_1212:
	s_mov_b64 s[2:3], -1
                                        ; implicit-def: $vgpr5
.LBB14_1213:
	s_and_b64 vcc, exec, s[2:3]
	s_cbranch_vccz .LBB14_1215
; %bb.1214:
	global_load_ubyte v5, v[0:1], off
	s_mov_b32 s2, 0x7f800000
	s_waitcnt vmcnt(0)
	v_lshlrev_b32_e32 v5, 24, v5
	v_and_b32_e32 v6, 0x7f000000, v5
	v_ffbh_u32_e32 v7, v6
	v_min_u32_e32 v7, 32, v7
	v_sub_u32_e64 v7, v7, 4 clamp
	v_lshlrev_b32_e32 v9, v7, v6
	v_lshlrev_b32_e32 v7, 23, v7
	v_lshrrev_b32_e32 v9, 4, v9
	v_add_u32_e32 v8, 0x1000000, v6
	v_sub_u32_e32 v7, v9, v7
	v_ashrrev_i32_e32 v8, 8, v8
	v_add_u32_e32 v7, 0x3c000000, v7
	v_and_or_b32 v7, v8, s2, v7
	v_cmp_ne_u32_e32 vcc, 0, v6
	v_cndmask_b32_e32 v6, 0, v7, vcc
	s_brev_b32 s2, 1
	v_and_or_b32 v5, v5, s2, v6
.LBB14_1215:
	s_mov_b64 s[2:3], 0
.LBB14_1216:
	s_andn2_b64 vcc, exec, s[2:3]
	s_cbranch_vccnz .LBB14_1218
; %bb.1217:
	global_load_ubyte v5, v[0:1], off
	s_movk_i32 s2, 0x7f00
	s_brev_b32 s3, 16
	s_waitcnt vmcnt(0)
	v_lshlrev_b16_e32 v6, 8, v5
	v_lshlrev_b32_e32 v5, 25, v5
	v_lshrrev_b32_e32 v7, 4, v5
	v_and_or_b32 v8, v6, s2, 0.5
	v_or_b32_e32 v7, 0x70000000, v7
	v_add_f32_e32 v8, -0.5, v8
	v_mul_f32_e32 v7, 0x7800000, v7
	v_cmp_gt_u32_e32 vcc, s3, v5
	v_bfe_i32 v6, v6, 0, 16
	v_cndmask_b32_e32 v5, v7, v8, vcc
	s_brev_b32 s2, 1
	v_and_or_b32 v5, v6, s2, v5
.LBB14_1218:
	s_mov_b64 s[2:3], 0
	s_mov_b64 s[18:19], -1
.LBB14_1219:
	s_andn2_b64 vcc, exec, s[2:3]
	s_mov_b64 s[2:3], 0
	s_cbranch_vccnz .LBB14_1230
; %bb.1220:
	s_cmp_gt_i32 s15, 14
	s_cbranch_scc0 .LBB14_1223
; %bb.1221:
	s_cmp_eq_u32 s15, 15
	s_cbranch_scc0 .LBB14_1226
; %bb.1222:
	global_load_ushort v5, v[0:1], off
	s_mov_b64 s[0:1], 0
	s_mov_b64 s[18:19], -1
	s_waitcnt vmcnt(0)
	v_lshlrev_b32_e32 v5, 16, v5
	s_branch .LBB14_1227
.LBB14_1223:
	s_mov_b64 s[20:21], -1
                                        ; implicit-def: $vgpr5
	s_branch .LBB14_1228
.LBB14_1224:
	s_or_saveexec_b64 s[18:19], s[18:19]
	v_mov_b32_e32 v5, 0x7f800001
	s_xor_b64 exec, exec, s[18:19]
	s_cbranch_execz .LBB14_1205
.LBB14_1225:
	v_cmp_ne_u16_e32 vcc, 0, v6
	s_andn2_b64 s[2:3], s[2:3], exec
	s_and_b64 s[20:21], vcc, exec
	v_mov_b32_e32 v5, 0
	s_or_b64 s[2:3], s[2:3], s[20:21]
	s_or_b64 exec, exec, s[18:19]
	s_and_saveexec_b64 s[18:19], s[2:3]
	s_cbranch_execnz .LBB14_1206
	s_branch .LBB14_1207
.LBB14_1226:
	s_mov_b64 s[0:1], -1
                                        ; implicit-def: $vgpr5
.LBB14_1227:
	s_mov_b64 s[20:21], 0
.LBB14_1228:
	s_and_b64 vcc, exec, s[20:21]
	s_cbranch_vccz .LBB14_1230
; %bb.1229:
	s_cmp_lg_u32 s15, 11
	s_mov_b64 s[2:3], -1
	s_cselect_b64 s[0:1], -1, 0
.LBB14_1230:
	s_and_b64 vcc, exec, s[0:1]
	s_cbranch_vccnz .LBB14_1293
; %bb.1231:
	s_andn2_b64 vcc, exec, s[2:3]
	s_cbranch_vccnz .LBB14_1233
.LBB14_1232:
	global_load_ubyte v5, v[0:1], off
	s_mov_b64 s[18:19], -1
	s_waitcnt vmcnt(0)
	v_cmp_ne_u16_e32 vcc, 0, v5
	v_cndmask_b32_e64 v5, 0, 1.0, vcc
.LBB14_1233:
	s_branch .LBB14_1160
.LBB14_1234:
	s_cmp_lt_i32 s15, 5
	s_cbranch_scc1 .LBB14_1239
; %bb.1235:
	s_cmp_lt_i32 s15, 8
	s_cbranch_scc1 .LBB14_1240
; %bb.1236:
	s_cmp_lt_i32 s15, 9
	s_cbranch_scc1 .LBB14_1241
; %bb.1237:
	s_cmp_gt_i32 s15, 9
	s_cbranch_scc0 .LBB14_1242
; %bb.1238:
	global_load_dwordx2 v[5:6], v[0:1], off
	s_mov_b64 s[0:1], 0
	s_waitcnt vmcnt(0)
	v_cvt_f32_f64_e32 v5, v[5:6]
	s_branch .LBB14_1243
.LBB14_1239:
                                        ; implicit-def: $vgpr5
	s_branch .LBB14_1261
.LBB14_1240:
	s_mov_b64 s[0:1], -1
                                        ; implicit-def: $vgpr5
	s_branch .LBB14_1249
.LBB14_1241:
	s_mov_b64 s[0:1], -1
                                        ; implicit-def: $vgpr5
	s_branch .LBB14_1246
.LBB14_1242:
	s_mov_b64 s[0:1], -1
                                        ; implicit-def: $vgpr5
.LBB14_1243:
	s_andn2_b64 vcc, exec, s[0:1]
	s_cbranch_vccnz .LBB14_1245
; %bb.1244:
	global_load_dword v5, v[0:1], off
.LBB14_1245:
	s_mov_b64 s[0:1], 0
.LBB14_1246:
	s_andn2_b64 vcc, exec, s[0:1]
	s_cbranch_vccnz .LBB14_1248
; %bb.1247:
	global_load_dword v5, v[0:1], off
	s_waitcnt vmcnt(0)
	v_cvt_f32_f16_e32 v5, v5
.LBB14_1248:
	s_mov_b64 s[0:1], 0
.LBB14_1249:
	s_andn2_b64 vcc, exec, s[0:1]
	s_cbranch_vccnz .LBB14_1260
; %bb.1250:
	s_cmp_lt_i32 s15, 6
	s_cbranch_scc1 .LBB14_1253
; %bb.1251:
	s_cmp_gt_i32 s15, 6
	s_cbranch_scc0 .LBB14_1254
; %bb.1252:
	global_load_dwordx2 v[5:6], v[0:1], off
	s_mov_b64 s[0:1], 0
	s_waitcnt vmcnt(0)
	v_cvt_f32_f64_e32 v5, v[5:6]
	s_branch .LBB14_1255
.LBB14_1253:
	s_mov_b64 s[0:1], -1
                                        ; implicit-def: $vgpr5
	s_branch .LBB14_1258
.LBB14_1254:
	s_mov_b64 s[0:1], -1
                                        ; implicit-def: $vgpr5
.LBB14_1255:
	s_andn2_b64 vcc, exec, s[0:1]
	s_cbranch_vccnz .LBB14_1257
; %bb.1256:
	global_load_dword v5, v[0:1], off
.LBB14_1257:
	s_mov_b64 s[0:1], 0
.LBB14_1258:
	s_andn2_b64 vcc, exec, s[0:1]
	s_cbranch_vccnz .LBB14_1260
; %bb.1259:
	global_load_ushort v5, v[0:1], off
	s_waitcnt vmcnt(0)
	v_cvt_f32_f16_e32 v5, v5
.LBB14_1260:
	s_cbranch_execnz .LBB14_1280
.LBB14_1261:
	s_cmp_lt_i32 s15, 2
	s_cbranch_scc1 .LBB14_1265
; %bb.1262:
	s_cmp_lt_i32 s15, 3
	s_cbranch_scc1 .LBB14_1266
; %bb.1263:
	s_cmp_gt_i32 s15, 3
	s_cbranch_scc0 .LBB14_1267
; %bb.1264:
	global_load_dwordx2 v[5:6], v[0:1], off
	s_mov_b64 s[0:1], 0
	s_waitcnt vmcnt(0)
	v_xor_b32_e32 v8, v5, v6
	v_ffbh_i32_e32 v7, v6
	v_ashrrev_i32_e32 v8, 31, v8
	v_add_u32_e32 v7, -1, v7
	v_add_u32_e32 v8, 32, v8
	v_min_u32_e32 v7, v7, v8
	v_lshlrev_b64 v[5:6], v7, v[5:6]
	v_min_u32_e32 v5, 1, v5
	v_or_b32_e32 v5, v6, v5
	v_cvt_f32_i32_e32 v5, v5
	v_sub_u32_e32 v6, 32, v7
	v_ldexp_f32 v5, v5, v6
	s_branch .LBB14_1268
.LBB14_1265:
	s_mov_b64 s[0:1], -1
                                        ; implicit-def: $vgpr5
	s_branch .LBB14_1274
.LBB14_1266:
	s_mov_b64 s[0:1], -1
                                        ; implicit-def: $vgpr5
	s_branch .LBB14_1271
.LBB14_1267:
	s_mov_b64 s[0:1], -1
                                        ; implicit-def: $vgpr5
.LBB14_1268:
	s_andn2_b64 vcc, exec, s[0:1]
	s_cbranch_vccnz .LBB14_1270
; %bb.1269:
	global_load_dword v5, v[0:1], off
	s_waitcnt vmcnt(0)
	v_cvt_f32_i32_e32 v5, v5
.LBB14_1270:
	s_mov_b64 s[0:1], 0
.LBB14_1271:
	s_andn2_b64 vcc, exec, s[0:1]
	s_cbranch_vccnz .LBB14_1273
; %bb.1272:
	global_load_sshort v5, v[0:1], off
	s_waitcnt vmcnt(0)
	v_cvt_f32_i32_e32 v5, v5
.LBB14_1273:
	s_mov_b64 s[0:1], 0
.LBB14_1274:
	s_andn2_b64 vcc, exec, s[0:1]
	s_cbranch_vccnz .LBB14_1280
; %bb.1275:
	s_cmp_gt_i32 s15, 0
	s_cbranch_scc0 .LBB14_1277
; %bb.1276:
	global_load_sbyte v5, v[0:1], off
	s_mov_b64 s[0:1], 0
	s_waitcnt vmcnt(0)
	v_cvt_f32_i32_e32 v5, v5
	s_branch .LBB14_1278
.LBB14_1277:
	s_mov_b64 s[0:1], -1
                                        ; implicit-def: $vgpr5
.LBB14_1278:
	s_andn2_b64 vcc, exec, s[0:1]
	s_cbranch_vccnz .LBB14_1280
; %bb.1279:
	global_load_ubyte v0, v[0:1], off
	s_waitcnt vmcnt(0)
	v_cvt_f32_ubyte0_e32 v5, v0
.LBB14_1280:
.LBB14_1281:
	v_add_u32_e32 v3, s13, v3
	v_ashrrev_i32_e32 v1, 31, v3
	v_mov_b32_e32 v6, s11
	v_add_co_u32_e32 v0, vcc, s10, v3
	s_cmp_lt_i32 s15, 11
	v_addc_co_u32_e32 v1, vcc, v6, v1, vcc
	s_cbranch_scc1 .LBB14_1288
; %bb.1282:
	s_cmp_gt_i32 s15, 25
	s_mov_b64 s[2:3], 0
	s_cbranch_scc0 .LBB14_1290
; %bb.1283:
	s_cmp_gt_i32 s15, 28
	s_cbranch_scc0 .LBB14_1291
; %bb.1284:
	s_cmp_gt_i32 s15, 43
	;; [unrolled: 3-line block ×3, first 2 shown]
	s_cbranch_scc0 .LBB14_1294
; %bb.1286:
	s_cmp_eq_u32 s15, 46
	s_mov_b64 s[20:21], 0
	s_cbranch_scc0 .LBB14_1295
; %bb.1287:
	global_load_dword v6, v[0:1], off
	s_mov_b64 s[0:1], 0
	s_mov_b64 s[18:19], -1
	s_waitcnt vmcnt(0)
	v_lshlrev_b32_e32 v6, 16, v6
	s_branch .LBB14_1296
.LBB14_1288:
	s_mov_b64 s[18:19], 0
                                        ; implicit-def: $vgpr6
	s_cbranch_execnz .LBB14_1362
.LBB14_1289:
	s_andn2_b64 vcc, exec, s[18:19]
	s_cbranch_vccnz .LBB14_1973
	s_branch .LBB14_1410
.LBB14_1290:
	s_mov_b64 s[20:21], -1
	s_mov_b64 s[18:19], 0
	s_mov_b64 s[0:1], 0
                                        ; implicit-def: $vgpr6
	s_branch .LBB14_1325
.LBB14_1291:
	s_mov_b64 s[20:21], -1
	s_mov_b64 s[18:19], 0
	s_mov_b64 s[0:1], 0
                                        ; implicit-def: $vgpr6
	s_branch .LBB14_1306
.LBB14_1292:
	s_mov_b64 s[20:21], -1
	s_mov_b64 s[18:19], 0
	s_mov_b64 s[0:1], 0
                                        ; implicit-def: $vgpr6
	s_branch .LBB14_1301
.LBB14_1293:
	s_trap 2
	s_or_b64 s[16:17], s[16:17], exec
	s_cbranch_execz .LBB14_1232
	s_branch .LBB14_1233
.LBB14_1294:
	s_mov_b64 s[20:21], -1
	s_mov_b64 s[18:19], 0
	s_mov_b64 s[0:1], 0
                                        ; implicit-def: $vgpr6
	s_branch .LBB14_1296
.LBB14_1295:
	s_mov_b64 s[0:1], -1
                                        ; implicit-def: $vgpr6
	s_mov_b64 s[18:19], 0
.LBB14_1296:
	s_and_b64 vcc, exec, s[20:21]
	s_cbranch_vccz .LBB14_1300
; %bb.1297:
	s_cmp_eq_u32 s15, 44
	s_cbranch_scc0 .LBB14_1299
; %bb.1298:
	global_load_ubyte v6, v[0:1], off
	s_movk_i32 s18, 0xff
	v_mov_b32_e32 v7, 0x7f800001
	v_mov_b32_e32 v8, 0x400000
	s_mov_b64 s[0:1], 0
	s_waitcnt vmcnt(0)
	v_lshlrev_b32_e32 v9, 23, v6
	v_cmp_ne_u32_e32 vcc, s18, v6
	v_cndmask_b32_e32 v7, v7, v9, vcc
	v_cmp_ne_u32_e32 vcc, 0, v6
	v_cndmask_b32_e32 v6, v8, v7, vcc
	s_mov_b64 s[18:19], -1
	s_branch .LBB14_1300
.LBB14_1299:
	s_mov_b64 s[0:1], -1
                                        ; implicit-def: $vgpr6
.LBB14_1300:
	s_mov_b64 s[20:21], 0
.LBB14_1301:
	s_and_b64 vcc, exec, s[20:21]
	s_cbranch_vccz .LBB14_1305
; %bb.1302:
	s_cmp_eq_u32 s15, 29
	s_cbranch_scc0 .LBB14_1304
; %bb.1303:
	global_load_dwordx2 v[6:7], v[0:1], off
	s_mov_b64 s[0:1], 0
	s_mov_b64 s[18:19], -1
	s_mov_b64 s[20:21], 0
	s_waitcnt vmcnt(0)
	v_ffbh_u32_e32 v8, v7
	v_min_u32_e32 v8, 32, v8
	v_lshlrev_b64 v[6:7], v8, v[6:7]
	v_min_u32_e32 v6, 1, v6
	v_or_b32_e32 v6, v7, v6
	v_cvt_f32_u32_e32 v6, v6
	v_sub_u32_e32 v7, 32, v8
	v_ldexp_f32 v6, v6, v7
	s_branch .LBB14_1306
.LBB14_1304:
	s_mov_b64 s[0:1], -1
                                        ; implicit-def: $vgpr6
.LBB14_1305:
	s_mov_b64 s[20:21], 0
.LBB14_1306:
	s_and_b64 vcc, exec, s[20:21]
	s_cbranch_vccz .LBB14_1324
; %bb.1307:
	s_cmp_lt_i32 s15, 27
	s_cbranch_scc1 .LBB14_1310
; %bb.1308:
	s_cmp_gt_i32 s15, 27
	s_cbranch_scc0 .LBB14_1311
; %bb.1309:
	global_load_dword v6, v[0:1], off
	s_mov_b64 s[18:19], 0
	s_waitcnt vmcnt(0)
	v_cvt_f32_u32_e32 v6, v6
	s_branch .LBB14_1312
.LBB14_1310:
	s_mov_b64 s[18:19], -1
                                        ; implicit-def: $vgpr6
	s_branch .LBB14_1315
.LBB14_1311:
	s_mov_b64 s[18:19], -1
                                        ; implicit-def: $vgpr6
.LBB14_1312:
	s_andn2_b64 vcc, exec, s[18:19]
	s_cbranch_vccnz .LBB14_1314
; %bb.1313:
	global_load_ushort v6, v[0:1], off
	s_waitcnt vmcnt(0)
	v_cvt_f32_u32_e32 v6, v6
.LBB14_1314:
	s_mov_b64 s[18:19], 0
.LBB14_1315:
	s_andn2_b64 vcc, exec, s[18:19]
	s_cbranch_vccnz .LBB14_1323
; %bb.1316:
	global_load_ubyte v7, v[0:1], off
	s_movk_i32 s18, 0x7f
	s_waitcnt vmcnt(0)
	v_cmp_lt_i16_e32 vcc, s18, v7
	s_mov_b64 s[18:19], 0
	s_and_saveexec_b64 s[20:21], vcc
	s_xor_b64 s[20:21], exec, s[20:21]
	s_cbranch_execz .LBB14_1337
; %bb.1317:
	s_movk_i32 s18, 0x80
	v_cmp_eq_u16_e32 vcc, s18, v7
	s_mov_b64 s[18:19], -1
	s_and_saveexec_b64 s[22:23], vcc
; %bb.1318:
	s_xor_b64 s[18:19], exec, -1
; %bb.1319:
	s_or_b64 exec, exec, s[22:23]
	s_and_b64 s[18:19], s[18:19], exec
	s_or_saveexec_b64 s[20:21], s[20:21]
	v_mov_b32_e32 v6, 0x7f800001
	s_xor_b64 exec, exec, s[20:21]
	s_cbranch_execnz .LBB14_1338
.LBB14_1320:
	s_or_b64 exec, exec, s[20:21]
	s_and_saveexec_b64 s[20:21], s[18:19]
	s_cbranch_execz .LBB14_1322
.LBB14_1321:
	v_lshlrev_b32_e32 v6, 24, v7
	v_and_b32_e32 v7, 0xffff, v7
	v_and_b32_e32 v8, 7, v7
	v_ffbh_u32_e32 v10, v8
	v_min_u32_e32 v10, 32, v10
	v_subrev_u32_e32 v11, 28, v10
	v_bfe_u32 v9, v7, 3, 4
	v_lshlrev_b32_e32 v7, v11, v7
	v_sub_u32_e32 v10, 29, v10
	v_and_b32_e32 v7, 7, v7
	v_cmp_eq_u32_e32 vcc, 0, v9
	v_cndmask_b32_e32 v9, v9, v10, vcc
	v_cndmask_b32_e32 v7, v8, v7, vcc
	v_mov_b32_e32 v8, 0x3b800000
	v_lshlrev_b32_e32 v7, 20, v7
	v_and_b32_e32 v6, 0x80000000, v6
	v_lshl_add_u32 v8, v9, 23, v8
	v_or3_b32 v6, v6, v8, v7
.LBB14_1322:
	s_or_b64 exec, exec, s[20:21]
.LBB14_1323:
	s_mov_b64 s[18:19], -1
.LBB14_1324:
	s_mov_b64 s[20:21], 0
.LBB14_1325:
	s_and_b64 vcc, exec, s[20:21]
	s_cbranch_vccz .LBB14_1358
; %bb.1326:
	s_cmp_gt_i32 s15, 22
	s_cbranch_scc0 .LBB14_1336
; %bb.1327:
	s_cmp_lt_i32 s15, 24
	s_cbranch_scc1 .LBB14_1339
; %bb.1328:
	s_cmp_gt_i32 s15, 24
	s_cbranch_scc0 .LBB14_1340
; %bb.1329:
	global_load_ubyte v7, v[0:1], off
	s_movk_i32 s2, 0x7f
	s_waitcnt vmcnt(0)
	v_cmp_lt_i16_e32 vcc, s2, v7
	s_mov_b64 s[2:3], 0
	s_and_saveexec_b64 s[18:19], vcc
	s_xor_b64 s[18:19], exec, s[18:19]
	s_cbranch_execz .LBB14_1352
; %bb.1330:
	s_movk_i32 s2, 0x80
	v_cmp_eq_u16_e32 vcc, s2, v7
	s_mov_b64 s[2:3], -1
	s_and_saveexec_b64 s[20:21], vcc
; %bb.1331:
	s_xor_b64 s[2:3], exec, -1
; %bb.1332:
	s_or_b64 exec, exec, s[20:21]
	s_and_b64 s[2:3], s[2:3], exec
	s_or_saveexec_b64 s[18:19], s[18:19]
	v_mov_b32_e32 v6, 0x7f800001
	s_xor_b64 exec, exec, s[18:19]
	s_cbranch_execnz .LBB14_1353
.LBB14_1333:
	s_or_b64 exec, exec, s[18:19]
	s_and_saveexec_b64 s[18:19], s[2:3]
	s_cbranch_execz .LBB14_1335
.LBB14_1334:
	v_lshlrev_b32_e32 v6, 24, v7
	v_and_b32_e32 v7, 0xffff, v7
	v_and_b32_e32 v8, 3, v7
	v_ffbh_u32_e32 v10, v8
	v_min_u32_e32 v10, 32, v10
	v_subrev_u32_e32 v11, 29, v10
	v_bfe_u32 v9, v7, 2, 5
	v_lshlrev_b32_e32 v7, v11, v7
	v_sub_u32_e32 v10, 30, v10
	v_and_b32_e32 v7, 3, v7
	v_cmp_eq_u32_e32 vcc, 0, v9
	v_cndmask_b32_e32 v9, v9, v10, vcc
	v_cndmask_b32_e32 v7, v8, v7, vcc
	v_mov_b32_e32 v8, 0x37800000
	v_lshlrev_b32_e32 v7, 21, v7
	v_and_b32_e32 v6, 0x80000000, v6
	v_lshl_add_u32 v8, v9, 23, v8
	v_or3_b32 v6, v6, v8, v7
.LBB14_1335:
	s_or_b64 exec, exec, s[18:19]
	s_mov_b64 s[2:3], 0
	s_branch .LBB14_1341
.LBB14_1336:
	s_mov_b64 s[2:3], -1
                                        ; implicit-def: $vgpr6
	s_branch .LBB14_1347
.LBB14_1337:
	s_or_saveexec_b64 s[20:21], s[20:21]
	v_mov_b32_e32 v6, 0x7f800001
	s_xor_b64 exec, exec, s[20:21]
	s_cbranch_execz .LBB14_1320
.LBB14_1338:
	v_cmp_ne_u16_e32 vcc, 0, v7
	s_andn2_b64 s[18:19], s[18:19], exec
	s_and_b64 s[22:23], vcc, exec
	v_mov_b32_e32 v6, 0
	s_or_b64 s[18:19], s[18:19], s[22:23]
	s_or_b64 exec, exec, s[20:21]
	s_and_saveexec_b64 s[20:21], s[18:19]
	s_cbranch_execnz .LBB14_1321
	s_branch .LBB14_1322
.LBB14_1339:
	s_mov_b64 s[2:3], -1
                                        ; implicit-def: $vgpr6
	s_branch .LBB14_1344
.LBB14_1340:
	s_mov_b64 s[2:3], -1
                                        ; implicit-def: $vgpr6
.LBB14_1341:
	s_and_b64 vcc, exec, s[2:3]
	s_cbranch_vccz .LBB14_1343
; %bb.1342:
	global_load_ubyte v6, v[0:1], off
	s_mov_b32 s2, 0x7f800000
	s_waitcnt vmcnt(0)
	v_lshlrev_b32_e32 v6, 24, v6
	v_and_b32_e32 v7, 0x7f000000, v6
	v_ffbh_u32_e32 v8, v7
	v_min_u32_e32 v8, 32, v8
	v_sub_u32_e64 v8, v8, 4 clamp
	v_lshlrev_b32_e32 v10, v8, v7
	v_lshlrev_b32_e32 v8, 23, v8
	v_lshrrev_b32_e32 v10, 4, v10
	v_add_u32_e32 v9, 0x1000000, v7
	v_sub_u32_e32 v8, v10, v8
	v_ashrrev_i32_e32 v9, 8, v9
	v_add_u32_e32 v8, 0x3c000000, v8
	v_and_or_b32 v8, v9, s2, v8
	v_cmp_ne_u32_e32 vcc, 0, v7
	v_cndmask_b32_e32 v7, 0, v8, vcc
	s_brev_b32 s2, 1
	v_and_or_b32 v6, v6, s2, v7
.LBB14_1343:
	s_mov_b64 s[2:3], 0
.LBB14_1344:
	s_andn2_b64 vcc, exec, s[2:3]
	s_cbranch_vccnz .LBB14_1346
; %bb.1345:
	global_load_ubyte v6, v[0:1], off
	s_movk_i32 s2, 0x7f00
	s_brev_b32 s3, 16
	s_waitcnt vmcnt(0)
	v_lshlrev_b16_e32 v7, 8, v6
	v_lshlrev_b32_e32 v6, 25, v6
	v_lshrrev_b32_e32 v8, 4, v6
	v_and_or_b32 v9, v7, s2, 0.5
	v_or_b32_e32 v8, 0x70000000, v8
	v_add_f32_e32 v9, -0.5, v9
	v_mul_f32_e32 v8, 0x7800000, v8
	v_cmp_gt_u32_e32 vcc, s3, v6
	v_bfe_i32 v7, v7, 0, 16
	v_cndmask_b32_e32 v6, v8, v9, vcc
	s_brev_b32 s2, 1
	v_and_or_b32 v6, v7, s2, v6
.LBB14_1346:
	s_mov_b64 s[2:3], 0
	s_mov_b64 s[18:19], -1
.LBB14_1347:
	s_andn2_b64 vcc, exec, s[2:3]
	s_mov_b64 s[2:3], 0
	s_cbranch_vccnz .LBB14_1358
; %bb.1348:
	s_cmp_gt_i32 s15, 14
	s_cbranch_scc0 .LBB14_1351
; %bb.1349:
	s_cmp_eq_u32 s15, 15
	s_cbranch_scc0 .LBB14_1354
; %bb.1350:
	global_load_ushort v6, v[0:1], off
	s_mov_b64 s[0:1], 0
	s_mov_b64 s[18:19], -1
	s_waitcnt vmcnt(0)
	v_lshlrev_b32_e32 v6, 16, v6
	s_branch .LBB14_1355
.LBB14_1351:
	s_mov_b64 s[20:21], -1
                                        ; implicit-def: $vgpr6
	s_branch .LBB14_1356
.LBB14_1352:
	s_or_saveexec_b64 s[18:19], s[18:19]
	v_mov_b32_e32 v6, 0x7f800001
	s_xor_b64 exec, exec, s[18:19]
	s_cbranch_execz .LBB14_1333
.LBB14_1353:
	v_cmp_ne_u16_e32 vcc, 0, v7
	s_andn2_b64 s[2:3], s[2:3], exec
	s_and_b64 s[20:21], vcc, exec
	v_mov_b32_e32 v6, 0
	s_or_b64 s[2:3], s[2:3], s[20:21]
	s_or_b64 exec, exec, s[18:19]
	s_and_saveexec_b64 s[18:19], s[2:3]
	s_cbranch_execnz .LBB14_1334
	s_branch .LBB14_1335
.LBB14_1354:
	s_mov_b64 s[0:1], -1
                                        ; implicit-def: $vgpr6
.LBB14_1355:
	s_mov_b64 s[20:21], 0
.LBB14_1356:
	s_and_b64 vcc, exec, s[20:21]
	s_cbranch_vccz .LBB14_1358
; %bb.1357:
	s_cmp_lg_u32 s15, 11
	s_mov_b64 s[2:3], -1
	s_cselect_b64 s[0:1], -1, 0
.LBB14_1358:
	s_and_b64 vcc, exec, s[0:1]
	s_cbranch_vccnz .LBB14_1421
; %bb.1359:
	s_andn2_b64 vcc, exec, s[2:3]
	s_cbranch_vccnz .LBB14_1361
.LBB14_1360:
	global_load_ubyte v6, v[0:1], off
	s_mov_b64 s[18:19], -1
	s_waitcnt vmcnt(0)
	v_cmp_ne_u16_e32 vcc, 0, v6
	v_cndmask_b32_e64 v6, 0, 1.0, vcc
.LBB14_1361:
	s_branch .LBB14_1289
.LBB14_1362:
	s_cmp_lt_i32 s15, 5
	s_cbranch_scc1 .LBB14_1367
; %bb.1363:
	s_cmp_lt_i32 s15, 8
	s_cbranch_scc1 .LBB14_1368
; %bb.1364:
	;; [unrolled: 3-line block ×3, first 2 shown]
	s_cmp_gt_i32 s15, 9
	s_cbranch_scc0 .LBB14_1370
; %bb.1366:
	global_load_dwordx2 v[6:7], v[0:1], off
	s_mov_b64 s[0:1], 0
	s_waitcnt vmcnt(0)
	v_cvt_f32_f64_e32 v6, v[6:7]
	s_branch .LBB14_1371
.LBB14_1367:
	s_mov_b64 s[0:1], -1
                                        ; implicit-def: $vgpr6
	s_branch .LBB14_1389
.LBB14_1368:
	s_mov_b64 s[0:1], -1
                                        ; implicit-def: $vgpr6
	s_branch .LBB14_1377
.LBB14_1369:
	s_mov_b64 s[0:1], -1
                                        ; implicit-def: $vgpr6
	s_branch .LBB14_1374
.LBB14_1370:
	s_mov_b64 s[0:1], -1
                                        ; implicit-def: $vgpr6
.LBB14_1371:
	s_andn2_b64 vcc, exec, s[0:1]
	s_cbranch_vccnz .LBB14_1373
; %bb.1372:
	global_load_dword v6, v[0:1], off
.LBB14_1373:
	s_mov_b64 s[0:1], 0
.LBB14_1374:
	s_andn2_b64 vcc, exec, s[0:1]
	s_cbranch_vccnz .LBB14_1376
; %bb.1375:
	global_load_dword v6, v[0:1], off
	s_waitcnt vmcnt(0)
	v_cvt_f32_f16_e32 v6, v6
.LBB14_1376:
	s_mov_b64 s[0:1], 0
.LBB14_1377:
	s_andn2_b64 vcc, exec, s[0:1]
	s_cbranch_vccnz .LBB14_1388
; %bb.1378:
	s_cmp_lt_i32 s15, 6
	s_cbranch_scc1 .LBB14_1381
; %bb.1379:
	s_cmp_gt_i32 s15, 6
	s_cbranch_scc0 .LBB14_1382
; %bb.1380:
	global_load_dwordx2 v[6:7], v[0:1], off
	s_mov_b64 s[0:1], 0
	s_waitcnt vmcnt(0)
	v_cvt_f32_f64_e32 v6, v[6:7]
	s_branch .LBB14_1383
.LBB14_1381:
	s_mov_b64 s[0:1], -1
                                        ; implicit-def: $vgpr6
	s_branch .LBB14_1386
.LBB14_1382:
	s_mov_b64 s[0:1], -1
                                        ; implicit-def: $vgpr6
.LBB14_1383:
	s_andn2_b64 vcc, exec, s[0:1]
	s_cbranch_vccnz .LBB14_1385
; %bb.1384:
	global_load_dword v6, v[0:1], off
.LBB14_1385:
	s_mov_b64 s[0:1], 0
.LBB14_1386:
	s_andn2_b64 vcc, exec, s[0:1]
	s_cbranch_vccnz .LBB14_1388
; %bb.1387:
	global_load_ushort v6, v[0:1], off
	s_waitcnt vmcnt(0)
	v_cvt_f32_f16_e32 v6, v6
.LBB14_1388:
	s_mov_b64 s[0:1], 0
.LBB14_1389:
	s_andn2_b64 vcc, exec, s[0:1]
	s_cbranch_vccnz .LBB14_1409
; %bb.1390:
	s_cmp_lt_i32 s15, 2
	s_cbranch_scc1 .LBB14_1394
; %bb.1391:
	s_cmp_lt_i32 s15, 3
	s_cbranch_scc1 .LBB14_1395
; %bb.1392:
	s_cmp_gt_i32 s15, 3
	s_cbranch_scc0 .LBB14_1396
; %bb.1393:
	global_load_dwordx2 v[6:7], v[0:1], off
	s_mov_b64 s[0:1], 0
	s_waitcnt vmcnt(0)
	v_xor_b32_e32 v9, v6, v7
	v_ffbh_i32_e32 v8, v7
	v_ashrrev_i32_e32 v9, 31, v9
	v_add_u32_e32 v8, -1, v8
	v_add_u32_e32 v9, 32, v9
	v_min_u32_e32 v8, v8, v9
	v_lshlrev_b64 v[6:7], v8, v[6:7]
	v_min_u32_e32 v6, 1, v6
	v_or_b32_e32 v6, v7, v6
	v_cvt_f32_i32_e32 v6, v6
	v_sub_u32_e32 v7, 32, v8
	v_ldexp_f32 v6, v6, v7
	s_branch .LBB14_1397
.LBB14_1394:
	s_mov_b64 s[0:1], -1
                                        ; implicit-def: $vgpr6
	s_branch .LBB14_1403
.LBB14_1395:
	s_mov_b64 s[0:1], -1
                                        ; implicit-def: $vgpr6
	s_branch .LBB14_1400
.LBB14_1396:
	s_mov_b64 s[0:1], -1
                                        ; implicit-def: $vgpr6
.LBB14_1397:
	s_andn2_b64 vcc, exec, s[0:1]
	s_cbranch_vccnz .LBB14_1399
; %bb.1398:
	global_load_dword v6, v[0:1], off
	s_waitcnt vmcnt(0)
	v_cvt_f32_i32_e32 v6, v6
.LBB14_1399:
	s_mov_b64 s[0:1], 0
.LBB14_1400:
	s_andn2_b64 vcc, exec, s[0:1]
	s_cbranch_vccnz .LBB14_1402
; %bb.1401:
	global_load_sshort v6, v[0:1], off
	s_waitcnt vmcnt(0)
	v_cvt_f32_i32_e32 v6, v6
.LBB14_1402:
	s_mov_b64 s[0:1], 0
.LBB14_1403:
	s_andn2_b64 vcc, exec, s[0:1]
	s_cbranch_vccnz .LBB14_1409
; %bb.1404:
	s_cmp_gt_i32 s15, 0
	s_cbranch_scc0 .LBB14_1406
; %bb.1405:
	global_load_sbyte v6, v[0:1], off
	s_mov_b64 s[0:1], 0
	s_waitcnt vmcnt(0)
	v_cvt_f32_i32_e32 v6, v6
	s_branch .LBB14_1407
.LBB14_1406:
	s_mov_b64 s[0:1], -1
                                        ; implicit-def: $vgpr6
.LBB14_1407:
	s_andn2_b64 vcc, exec, s[0:1]
	s_cbranch_vccnz .LBB14_1409
; %bb.1408:
	global_load_ubyte v0, v[0:1], off
	s_waitcnt vmcnt(0)
	v_cvt_f32_ubyte0_e32 v6, v0
.LBB14_1409:
.LBB14_1410:
	v_add_u32_e32 v0, s13, v3
	v_ashrrev_i32_e32 v1, 31, v0
	v_mov_b32_e32 v3, s11
	v_add_co_u32_e32 v0, vcc, s10, v0
	s_cmp_lt_i32 s15, 11
	v_addc_co_u32_e32 v1, vcc, v3, v1, vcc
	s_cbranch_scc1 .LBB14_1417
; %bb.1411:
	s_cmp_gt_i32 s15, 25
	s_mov_b64 s[2:3], 0
	s_cbranch_scc0 .LBB14_1418
; %bb.1412:
	s_cmp_gt_i32 s15, 28
	s_cbranch_scc0 .LBB14_1419
; %bb.1413:
	s_cmp_gt_i32 s15, 43
	;; [unrolled: 3-line block ×3, first 2 shown]
	s_cbranch_scc0 .LBB14_1422
; %bb.1415:
	s_cmp_eq_u32 s15, 46
	s_mov_b64 s[18:19], 0
	s_cbranch_scc0 .LBB14_1423
; %bb.1416:
	global_load_dword v3, v[0:1], off
	s_mov_b64 s[0:1], 0
	s_mov_b64 s[10:11], -1
	s_waitcnt vmcnt(0)
	v_lshlrev_b32_e32 v7, 16, v3
	s_branch .LBB14_1424
.LBB14_1417:
	s_mov_b64 s[0:1], -1
	s_mov_b64 s[10:11], 0
                                        ; implicit-def: $vgpr7
	s_branch .LBB14_1490
.LBB14_1418:
	s_mov_b64 s[18:19], -1
	s_mov_b64 s[10:11], 0
	s_mov_b64 s[0:1], 0
                                        ; implicit-def: $vgpr7
	s_branch .LBB14_1453
.LBB14_1419:
	s_mov_b64 s[18:19], -1
	s_mov_b64 s[10:11], 0
	s_mov_b64 s[0:1], 0
                                        ; implicit-def: $vgpr7
	s_branch .LBB14_1434
.LBB14_1420:
	s_mov_b64 s[18:19], -1
	s_mov_b64 s[10:11], 0
	s_mov_b64 s[0:1], 0
                                        ; implicit-def: $vgpr7
	s_branch .LBB14_1429
.LBB14_1421:
	s_trap 2
	s_or_b64 s[16:17], s[16:17], exec
	s_cbranch_execz .LBB14_1360
	s_branch .LBB14_1361
.LBB14_1422:
	s_mov_b64 s[18:19], -1
	s_mov_b64 s[10:11], 0
	s_mov_b64 s[0:1], 0
                                        ; implicit-def: $vgpr7
	s_branch .LBB14_1424
.LBB14_1423:
	s_mov_b64 s[0:1], -1
                                        ; implicit-def: $vgpr7
	s_mov_b64 s[10:11], 0
.LBB14_1424:
	s_and_b64 vcc, exec, s[18:19]
	s_cbranch_vccz .LBB14_1428
; %bb.1425:
	s_cmp_eq_u32 s15, 44
	s_cbranch_scc0 .LBB14_1427
; %bb.1426:
	global_load_ubyte v3, v[0:1], off
	s_movk_i32 s10, 0xff
	v_mov_b32_e32 v7, 0x7f800001
	v_mov_b32_e32 v8, 0x400000
	s_mov_b64 s[0:1], 0
	s_waitcnt vmcnt(0)
	v_lshlrev_b32_e32 v9, 23, v3
	v_cmp_ne_u32_e32 vcc, s10, v3
	v_cndmask_b32_e32 v7, v7, v9, vcc
	v_cmp_ne_u32_e32 vcc, 0, v3
	v_cndmask_b32_e32 v7, v8, v7, vcc
	s_mov_b64 s[10:11], -1
	s_branch .LBB14_1428
.LBB14_1427:
	s_mov_b64 s[0:1], -1
                                        ; implicit-def: $vgpr7
.LBB14_1428:
	s_mov_b64 s[18:19], 0
.LBB14_1429:
	s_and_b64 vcc, exec, s[18:19]
	s_cbranch_vccz .LBB14_1433
; %bb.1430:
	s_cmp_eq_u32 s15, 29
	s_cbranch_scc0 .LBB14_1432
; %bb.1431:
	global_load_dwordx2 v[7:8], v[0:1], off
	s_mov_b64 s[0:1], 0
	s_mov_b64 s[10:11], -1
	s_mov_b64 s[18:19], 0
	s_waitcnt vmcnt(0)
	v_ffbh_u32_e32 v3, v8
	v_min_u32_e32 v3, 32, v3
	v_lshlrev_b64 v[7:8], v3, v[7:8]
	v_sub_u32_e32 v3, 32, v3
	v_min_u32_e32 v7, 1, v7
	v_or_b32_e32 v7, v8, v7
	v_cvt_f32_u32_e32 v7, v7
	v_ldexp_f32 v7, v7, v3
	s_branch .LBB14_1434
.LBB14_1432:
	s_mov_b64 s[0:1], -1
                                        ; implicit-def: $vgpr7
.LBB14_1433:
	s_mov_b64 s[18:19], 0
.LBB14_1434:
	s_and_b64 vcc, exec, s[18:19]
	s_cbranch_vccz .LBB14_1452
; %bb.1435:
	s_cmp_lt_i32 s15, 27
	s_cbranch_scc1 .LBB14_1438
; %bb.1436:
	s_cmp_gt_i32 s15, 27
	s_cbranch_scc0 .LBB14_1439
; %bb.1437:
	global_load_dword v3, v[0:1], off
	s_mov_b64 s[10:11], 0
	s_waitcnt vmcnt(0)
	v_cvt_f32_u32_e32 v7, v3
	s_branch .LBB14_1440
.LBB14_1438:
	s_mov_b64 s[10:11], -1
                                        ; implicit-def: $vgpr7
	s_branch .LBB14_1443
.LBB14_1439:
	s_mov_b64 s[10:11], -1
                                        ; implicit-def: $vgpr7
.LBB14_1440:
	s_andn2_b64 vcc, exec, s[10:11]
	s_cbranch_vccnz .LBB14_1442
; %bb.1441:
	global_load_ushort v3, v[0:1], off
	s_waitcnt vmcnt(0)
	v_cvt_f32_u32_e32 v7, v3
.LBB14_1442:
	s_mov_b64 s[10:11], 0
.LBB14_1443:
	s_andn2_b64 vcc, exec, s[10:11]
	s_cbranch_vccnz .LBB14_1451
; %bb.1444:
	global_load_ubyte v3, v[0:1], off
	s_movk_i32 s10, 0x7f
	s_waitcnt vmcnt(0)
	v_cmp_lt_i16_e32 vcc, s10, v3
	s_mov_b64 s[10:11], 0
	s_and_saveexec_b64 s[18:19], vcc
	s_xor_b64 s[18:19], exec, s[18:19]
	s_cbranch_execz .LBB14_1465
; %bb.1445:
	s_movk_i32 s10, 0x80
	v_cmp_eq_u16_e32 vcc, s10, v3
	s_mov_b64 s[10:11], -1
	s_and_saveexec_b64 s[20:21], vcc
; %bb.1446:
	s_xor_b64 s[10:11], exec, -1
; %bb.1447:
	s_or_b64 exec, exec, s[20:21]
	s_and_b64 s[10:11], s[10:11], exec
	s_or_saveexec_b64 s[18:19], s[18:19]
	v_mov_b32_e32 v7, 0x7f800001
	s_xor_b64 exec, exec, s[18:19]
	s_cbranch_execnz .LBB14_1466
.LBB14_1448:
	s_or_b64 exec, exec, s[18:19]
	s_and_saveexec_b64 s[18:19], s[10:11]
	s_cbranch_execz .LBB14_1450
.LBB14_1449:
	v_lshlrev_b32_e32 v7, 24, v3
	v_and_b32_e32 v3, 0xffff, v3
	v_and_b32_e32 v8, 7, v3
	v_ffbh_u32_e32 v10, v8
	v_min_u32_e32 v10, 32, v10
	v_subrev_u32_e32 v11, 28, v10
	v_bfe_u32 v9, v3, 3, 4
	v_lshlrev_b32_e32 v3, v11, v3
	v_sub_u32_e32 v10, 29, v10
	v_and_b32_e32 v3, 7, v3
	v_cmp_eq_u32_e32 vcc, 0, v9
	v_cndmask_b32_e32 v9, v9, v10, vcc
	v_cndmask_b32_e32 v3, v8, v3, vcc
	v_mov_b32_e32 v8, 0x3b800000
	v_lshlrev_b32_e32 v3, 20, v3
	v_and_b32_e32 v7, 0x80000000, v7
	v_lshl_add_u32 v8, v9, 23, v8
	v_or3_b32 v7, v7, v8, v3
.LBB14_1450:
	s_or_b64 exec, exec, s[18:19]
.LBB14_1451:
	s_mov_b64 s[10:11], -1
.LBB14_1452:
	s_mov_b64 s[18:19], 0
.LBB14_1453:
	s_and_b64 vcc, exec, s[18:19]
	s_cbranch_vccz .LBB14_1486
; %bb.1454:
	s_cmp_gt_i32 s15, 22
	s_cbranch_scc0 .LBB14_1464
; %bb.1455:
	s_cmp_lt_i32 s15, 24
	s_cbranch_scc1 .LBB14_1467
; %bb.1456:
	s_cmp_gt_i32 s15, 24
	s_cbranch_scc0 .LBB14_1468
; %bb.1457:
	global_load_ubyte v3, v[0:1], off
	s_movk_i32 s2, 0x7f
	s_waitcnt vmcnt(0)
	v_cmp_lt_i16_e32 vcc, s2, v3
	s_mov_b64 s[2:3], 0
	s_and_saveexec_b64 s[10:11], vcc
	s_xor_b64 s[10:11], exec, s[10:11]
	s_cbranch_execz .LBB14_1480
; %bb.1458:
	s_movk_i32 s2, 0x80
	v_cmp_eq_u16_e32 vcc, s2, v3
	s_mov_b64 s[2:3], -1
	s_and_saveexec_b64 s[18:19], vcc
; %bb.1459:
	s_xor_b64 s[2:3], exec, -1
; %bb.1460:
	s_or_b64 exec, exec, s[18:19]
	s_and_b64 s[2:3], s[2:3], exec
	s_or_saveexec_b64 s[10:11], s[10:11]
	v_mov_b32_e32 v7, 0x7f800001
	s_xor_b64 exec, exec, s[10:11]
	s_cbranch_execnz .LBB14_1481
.LBB14_1461:
	s_or_b64 exec, exec, s[10:11]
	s_and_saveexec_b64 s[10:11], s[2:3]
	s_cbranch_execz .LBB14_1463
.LBB14_1462:
	v_lshlrev_b32_e32 v7, 24, v3
	v_and_b32_e32 v3, 0xffff, v3
	v_and_b32_e32 v8, 3, v3
	v_ffbh_u32_e32 v10, v8
	v_min_u32_e32 v10, 32, v10
	v_subrev_u32_e32 v11, 29, v10
	v_bfe_u32 v9, v3, 2, 5
	v_lshlrev_b32_e32 v3, v11, v3
	v_sub_u32_e32 v10, 30, v10
	v_and_b32_e32 v3, 3, v3
	v_cmp_eq_u32_e32 vcc, 0, v9
	v_cndmask_b32_e32 v9, v9, v10, vcc
	v_cndmask_b32_e32 v3, v8, v3, vcc
	v_mov_b32_e32 v8, 0x37800000
	v_lshlrev_b32_e32 v3, 21, v3
	v_and_b32_e32 v7, 0x80000000, v7
	v_lshl_add_u32 v8, v9, 23, v8
	v_or3_b32 v7, v7, v8, v3
.LBB14_1463:
	s_or_b64 exec, exec, s[10:11]
	s_mov_b64 s[2:3], 0
	s_branch .LBB14_1469
.LBB14_1464:
	s_mov_b64 s[2:3], -1
                                        ; implicit-def: $vgpr7
	s_branch .LBB14_1475
.LBB14_1465:
	s_or_saveexec_b64 s[18:19], s[18:19]
	v_mov_b32_e32 v7, 0x7f800001
	s_xor_b64 exec, exec, s[18:19]
	s_cbranch_execz .LBB14_1448
.LBB14_1466:
	v_cmp_ne_u16_e32 vcc, 0, v3
	s_andn2_b64 s[10:11], s[10:11], exec
	s_and_b64 s[20:21], vcc, exec
	v_mov_b32_e32 v7, 0
	s_or_b64 s[10:11], s[10:11], s[20:21]
	s_or_b64 exec, exec, s[18:19]
	s_and_saveexec_b64 s[18:19], s[10:11]
	s_cbranch_execnz .LBB14_1449
	s_branch .LBB14_1450
.LBB14_1467:
	s_mov_b64 s[2:3], -1
                                        ; implicit-def: $vgpr7
	s_branch .LBB14_1472
.LBB14_1468:
	s_mov_b64 s[2:3], -1
                                        ; implicit-def: $vgpr7
.LBB14_1469:
	s_and_b64 vcc, exec, s[2:3]
	s_cbranch_vccz .LBB14_1471
; %bb.1470:
	global_load_ubyte v3, v[0:1], off
	s_mov_b32 s2, 0x7f800000
	s_waitcnt vmcnt(0)
	v_lshlrev_b32_e32 v3, 24, v3
	v_and_b32_e32 v7, 0x7f000000, v3
	v_ffbh_u32_e32 v8, v7
	v_min_u32_e32 v8, 32, v8
	v_sub_u32_e64 v8, v8, 4 clamp
	v_lshlrev_b32_e32 v10, v8, v7
	v_lshlrev_b32_e32 v8, 23, v8
	v_lshrrev_b32_e32 v10, 4, v10
	v_add_u32_e32 v9, 0x1000000, v7
	v_sub_u32_e32 v8, v10, v8
	v_ashrrev_i32_e32 v9, 8, v9
	v_add_u32_e32 v8, 0x3c000000, v8
	v_and_or_b32 v8, v9, s2, v8
	v_cmp_ne_u32_e32 vcc, 0, v7
	v_cndmask_b32_e32 v7, 0, v8, vcc
	s_brev_b32 s2, 1
	v_and_or_b32 v7, v3, s2, v7
.LBB14_1471:
	s_mov_b64 s[2:3], 0
.LBB14_1472:
	s_andn2_b64 vcc, exec, s[2:3]
	s_cbranch_vccnz .LBB14_1474
; %bb.1473:
	global_load_ubyte v3, v[0:1], off
	s_movk_i32 s2, 0x7f00
	s_brev_b32 s3, 16
	s_waitcnt vmcnt(0)
	v_lshlrev_b16_e32 v7, 8, v3
	v_lshlrev_b32_e32 v3, 25, v3
	v_lshrrev_b32_e32 v8, 4, v3
	v_and_or_b32 v9, v7, s2, 0.5
	v_or_b32_e32 v8, 0x70000000, v8
	v_add_f32_e32 v9, -0.5, v9
	v_mul_f32_e32 v8, 0x7800000, v8
	v_cmp_gt_u32_e32 vcc, s3, v3
	v_bfe_i32 v7, v7, 0, 16
	v_cndmask_b32_e32 v3, v8, v9, vcc
	s_brev_b32 s2, 1
	v_and_or_b32 v7, v7, s2, v3
.LBB14_1474:
	s_mov_b64 s[2:3], 0
	s_mov_b64 s[10:11], -1
.LBB14_1475:
	s_andn2_b64 vcc, exec, s[2:3]
	s_mov_b64 s[2:3], 0
	s_cbranch_vccnz .LBB14_1486
; %bb.1476:
	s_cmp_gt_i32 s15, 14
	s_cbranch_scc0 .LBB14_1479
; %bb.1477:
	s_cmp_eq_u32 s15, 15
	s_cbranch_scc0 .LBB14_1482
; %bb.1478:
	global_load_ushort v3, v[0:1], off
	s_mov_b64 s[0:1], 0
	s_mov_b64 s[10:11], -1
	s_waitcnt vmcnt(0)
	v_lshlrev_b32_e32 v7, 16, v3
	s_branch .LBB14_1483
.LBB14_1479:
	s_mov_b64 s[18:19], -1
                                        ; implicit-def: $vgpr7
	s_branch .LBB14_1484
.LBB14_1480:
	s_or_saveexec_b64 s[10:11], s[10:11]
	v_mov_b32_e32 v7, 0x7f800001
	s_xor_b64 exec, exec, s[10:11]
	s_cbranch_execz .LBB14_1461
.LBB14_1481:
	v_cmp_ne_u16_e32 vcc, 0, v3
	s_andn2_b64 s[2:3], s[2:3], exec
	s_and_b64 s[18:19], vcc, exec
	v_mov_b32_e32 v7, 0
	s_or_b64 s[2:3], s[2:3], s[18:19]
	s_or_b64 exec, exec, s[10:11]
	s_and_saveexec_b64 s[10:11], s[2:3]
	s_cbranch_execnz .LBB14_1462
	s_branch .LBB14_1463
.LBB14_1482:
	s_mov_b64 s[0:1], -1
                                        ; implicit-def: $vgpr7
.LBB14_1483:
	s_mov_b64 s[18:19], 0
.LBB14_1484:
	s_and_b64 vcc, exec, s[18:19]
	s_cbranch_vccz .LBB14_1486
; %bb.1485:
	s_cmp_lg_u32 s15, 11
	s_mov_b64 s[2:3], -1
	s_cselect_b64 s[0:1], -1, 0
.LBB14_1486:
	s_and_b64 vcc, exec, s[0:1]
	s_cbranch_vccnz .LBB14_2019
; %bb.1487:
	s_andn2_b64 vcc, exec, s[2:3]
	s_cbranch_vccnz .LBB14_1489
.LBB14_1488:
	global_load_ubyte v3, v[0:1], off
	s_mov_b64 s[10:11], -1
	s_waitcnt vmcnt(0)
	v_cmp_ne_u16_e32 vcc, 0, v3
	v_cndmask_b32_e64 v7, 0, 1.0, vcc
.LBB14_1489:
	s_mov_b64 s[0:1], 0
.LBB14_1490:
	s_and_b64 vcc, exec, s[0:1]
	s_cbranch_vccz .LBB14_1539
; %bb.1491:
	s_cmp_lt_i32 s15, 5
	s_cbranch_scc1 .LBB14_1496
; %bb.1492:
	s_cmp_lt_i32 s15, 8
	s_cbranch_scc1 .LBB14_1497
	;; [unrolled: 3-line block ×3, first 2 shown]
; %bb.1494:
	s_cmp_gt_i32 s15, 9
	s_cbranch_scc0 .LBB14_1499
; %bb.1495:
	global_load_dwordx2 v[7:8], v[0:1], off
	s_mov_b64 s[0:1], 0
	s_waitcnt vmcnt(0)
	v_cvt_f32_f64_e32 v7, v[7:8]
	s_branch .LBB14_1500
.LBB14_1496:
	s_mov_b64 s[0:1], -1
                                        ; implicit-def: $vgpr7
	s_branch .LBB14_1518
.LBB14_1497:
	s_mov_b64 s[0:1], -1
                                        ; implicit-def: $vgpr7
	s_branch .LBB14_1506
.LBB14_1498:
	s_mov_b64 s[0:1], -1
                                        ; implicit-def: $vgpr7
	s_branch .LBB14_1503
.LBB14_1499:
	s_mov_b64 s[0:1], -1
                                        ; implicit-def: $vgpr7
.LBB14_1500:
	s_andn2_b64 vcc, exec, s[0:1]
	s_cbranch_vccnz .LBB14_1502
; %bb.1501:
	global_load_dword v7, v[0:1], off
.LBB14_1502:
	s_mov_b64 s[0:1], 0
.LBB14_1503:
	s_andn2_b64 vcc, exec, s[0:1]
	s_cbranch_vccnz .LBB14_1505
; %bb.1504:
	global_load_dword v3, v[0:1], off
	s_waitcnt vmcnt(0)
	v_cvt_f32_f16_e32 v7, v3
.LBB14_1505:
	s_mov_b64 s[0:1], 0
.LBB14_1506:
	s_andn2_b64 vcc, exec, s[0:1]
	s_cbranch_vccnz .LBB14_1517
; %bb.1507:
	s_cmp_lt_i32 s15, 6
	s_cbranch_scc1 .LBB14_1510
; %bb.1508:
	s_cmp_gt_i32 s15, 6
	s_cbranch_scc0 .LBB14_1511
; %bb.1509:
	global_load_dwordx2 v[7:8], v[0:1], off
	s_mov_b64 s[0:1], 0
	s_waitcnt vmcnt(0)
	v_cvt_f32_f64_e32 v7, v[7:8]
	s_branch .LBB14_1512
.LBB14_1510:
	s_mov_b64 s[0:1], -1
                                        ; implicit-def: $vgpr7
	s_branch .LBB14_1515
.LBB14_1511:
	s_mov_b64 s[0:1], -1
                                        ; implicit-def: $vgpr7
.LBB14_1512:
	s_andn2_b64 vcc, exec, s[0:1]
	s_cbranch_vccnz .LBB14_1514
; %bb.1513:
	global_load_dword v7, v[0:1], off
.LBB14_1514:
	s_mov_b64 s[0:1], 0
.LBB14_1515:
	s_andn2_b64 vcc, exec, s[0:1]
	s_cbranch_vccnz .LBB14_1517
; %bb.1516:
	global_load_ushort v3, v[0:1], off
	s_waitcnt vmcnt(0)
	v_cvt_f32_f16_e32 v7, v3
.LBB14_1517:
	s_mov_b64 s[0:1], 0
.LBB14_1518:
	s_andn2_b64 vcc, exec, s[0:1]
	s_cbranch_vccnz .LBB14_1538
; %bb.1519:
	s_cmp_lt_i32 s15, 2
	s_cbranch_scc1 .LBB14_1523
; %bb.1520:
	s_cmp_lt_i32 s15, 3
	s_cbranch_scc1 .LBB14_1524
; %bb.1521:
	s_cmp_gt_i32 s15, 3
	s_cbranch_scc0 .LBB14_1525
; %bb.1522:
	global_load_dwordx2 v[7:8], v[0:1], off
	s_mov_b64 s[0:1], 0
	s_waitcnt vmcnt(0)
	v_xor_b32_e32 v9, v7, v8
	v_ffbh_i32_e32 v3, v8
	v_ashrrev_i32_e32 v9, 31, v9
	v_add_u32_e32 v3, -1, v3
	v_add_u32_e32 v9, 32, v9
	v_min_u32_e32 v3, v3, v9
	v_lshlrev_b64 v[7:8], v3, v[7:8]
	v_sub_u32_e32 v3, 32, v3
	v_min_u32_e32 v7, 1, v7
	v_or_b32_e32 v7, v8, v7
	v_cvt_f32_i32_e32 v7, v7
	v_ldexp_f32 v7, v7, v3
	s_branch .LBB14_1526
.LBB14_1523:
	s_mov_b64 s[0:1], -1
                                        ; implicit-def: $vgpr7
	s_branch .LBB14_1532
.LBB14_1524:
	s_mov_b64 s[0:1], -1
                                        ; implicit-def: $vgpr7
	s_branch .LBB14_1529
.LBB14_1525:
	s_mov_b64 s[0:1], -1
                                        ; implicit-def: $vgpr7
.LBB14_1526:
	s_andn2_b64 vcc, exec, s[0:1]
	s_cbranch_vccnz .LBB14_1528
; %bb.1527:
	global_load_dword v3, v[0:1], off
	s_waitcnt vmcnt(0)
	v_cvt_f32_i32_e32 v7, v3
.LBB14_1528:
	s_mov_b64 s[0:1], 0
.LBB14_1529:
	s_andn2_b64 vcc, exec, s[0:1]
	s_cbranch_vccnz .LBB14_1531
; %bb.1530:
	global_load_sshort v3, v[0:1], off
	s_waitcnt vmcnt(0)
	v_cvt_f32_i32_e32 v7, v3
.LBB14_1531:
	s_mov_b64 s[0:1], 0
.LBB14_1532:
	s_andn2_b64 vcc, exec, s[0:1]
	s_cbranch_vccnz .LBB14_1538
; %bb.1533:
	s_cmp_gt_i32 s15, 0
	s_cbranch_scc0 .LBB14_1535
; %bb.1534:
	global_load_sbyte v3, v[0:1], off
	s_mov_b64 s[0:1], 0
	s_waitcnt vmcnt(0)
	v_cvt_f32_i32_e32 v7, v3
	s_branch .LBB14_1536
.LBB14_1535:
	s_mov_b64 s[0:1], -1
                                        ; implicit-def: $vgpr7
.LBB14_1536:
	s_andn2_b64 vcc, exec, s[0:1]
	s_cbranch_vccnz .LBB14_1538
; %bb.1537:
	global_load_ubyte v0, v[0:1], off
	s_waitcnt vmcnt(0)
	v_cvt_f32_ubyte0_e32 v7, v0
.LBB14_1538:
	s_mov_b64 s[10:11], -1
.LBB14_1539:
	s_andn2_b64 vcc, exec, s[10:11]
	s_cbranch_vccnz .LBB14_1973
; %bb.1540:
	v_mul_lo_u32 v4, s12, v4
	s_waitcnt vmcnt(0)
	v_cmp_nge_f32_e64 s[0:1], v2, -s14
	v_cmp_nge_f32_e32 vcc, s14, v2
	s_or_b64 vcc, s[0:1], vcc
	v_cndmask_b32_e32 v2, 0, v2, vcc
	v_ashrrev_i32_e32 v1, 31, v4
	v_mov_b32_e32 v3, s9
	s_and_b32 s22, s33, 0xff
	v_add_co_u32_e32 v0, vcc, s8, v4
	s_cmp_lt_i32 s22, 11
	v_addc_co_u32_e32 v1, vcc, v3, v1, vcc
	s_cbranch_scc1 .LBB14_1618
; %bb.1541:
	s_and_b32 s13, 0xffff, s22
	s_mov_b64 s[18:19], -1
	s_mov_b64 s[2:3], 0
	s_cmp_gt_i32 s13, 25
	s_mov_b64 s[10:11], 0
	s_mov_b64 s[0:1], 0
	s_cbranch_scc0 .LBB14_1574
; %bb.1542:
	s_cmp_gt_i32 s13, 28
	s_cbranch_scc0 .LBB14_1557
; %bb.1543:
	s_cmp_gt_i32 s13, 43
	;; [unrolled: 3-line block ×3, first 2 shown]
	s_cbranch_scc0 .LBB14_1547
; %bb.1545:
	s_mov_b64 s[0:1], -1
	s_mov_b64 s[18:19], 0
	s_cmp_eq_u32 s13, 46
	s_cbranch_scc0 .LBB14_1547
; %bb.1546:
	v_bfe_u32 v3, v2, 16, 1
	s_movk_i32 s0, 0x7fff
	v_add3_u32 v3, v2, v3, s0
	v_cmp_o_f32_e32 vcc, v2, v2
	v_mov_b32_e32 v8, 0x7fc0
	v_cndmask_b32_sdwa v3, v8, v3, vcc dst_sel:DWORD dst_unused:UNUSED_PAD src0_sel:DWORD src1_sel:WORD_1
	global_store_dword v[0:1], v3, off
	s_mov_b64 s[0:1], 0
	s_mov_b64 s[10:11], -1
.LBB14_1547:
	s_and_b64 vcc, exec, s[18:19]
	s_cbranch_vccz .LBB14_1552
; %bb.1548:
	s_cmp_eq_u32 s13, 44
	s_mov_b64 s[0:1], -1
	s_cbranch_scc0 .LBB14_1552
; %bb.1549:
	v_bfe_u32 v3, v2, 23, 8
	s_movk_i32 s0, 0xff
	v_cmp_ne_u32_e32 vcc, s0, v3
	v_mov_b32_e32 v8, 0xff
	s_and_saveexec_b64 s[10:11], vcc
; %bb.1550:
	s_mov_b32 s0, 0x3fffff
	v_and_b32_e32 v9, 0x400000, v2
	v_and_or_b32 v3, v2, s0, v3
	v_cmp_ne_u32_e32 vcc, 0, v9
	v_cmp_ne_u32_e64 s[0:1], 0, v3
	s_and_b64 s[0:1], vcc, s[0:1]
	v_lshrrev_b32_e32 v8, 23, v2
	v_cndmask_b32_e64 v3, 0, 1, s[0:1]
	v_add_u32_e32 v8, v8, v3
; %bb.1551:
	s_or_b64 exec, exec, s[10:11]
	s_mov_b64 s[0:1], 0
	s_mov_b64 s[10:11], -1
	global_store_byte v[0:1], v8, off
.LBB14_1552:
	s_mov_b64 s[18:19], 0
.LBB14_1553:
	s_and_b64 vcc, exec, s[18:19]
	s_cbranch_vccz .LBB14_1556
; %bb.1554:
	s_cmp_eq_u32 s13, 29
	s_mov_b64 s[0:1], -1
	s_cbranch_scc0 .LBB14_1556
; %bb.1555:
	v_trunc_f32_e32 v3, v2
	v_mul_f32_e32 v8, 0x2f800000, v3
	v_floor_f32_e32 v8, v8
	v_fmac_f32_e32 v3, 0xcf800000, v8
	v_cvt_u32_f32_e32 v9, v8
	v_cvt_u32_f32_e32 v8, v3
	s_mov_b64 s[0:1], 0
	s_mov_b64 s[10:11], -1
	global_store_dwordx2 v[0:1], v[8:9], off
.LBB14_1556:
	s_mov_b64 s[18:19], 0
.LBB14_1557:
	s_and_b64 vcc, exec, s[18:19]
	s_cbranch_vccz .LBB14_1573
; %bb.1558:
	s_cmp_lt_i32 s13, 27
	s_mov_b64 s[10:11], -1
	s_cbranch_scc1 .LBB14_1564
; %bb.1559:
	v_cvt_u32_f32_e32 v3, v2
	s_cmp_gt_i32 s13, 27
	s_cbranch_scc0 .LBB14_1561
; %bb.1560:
	s_mov_b64 s[10:11], 0
	global_store_dword v[0:1], v3, off
.LBB14_1561:
	s_andn2_b64 vcc, exec, s[10:11]
	s_cbranch_vccnz .LBB14_1563
; %bb.1562:
	global_store_short v[0:1], v3, off
.LBB14_1563:
	s_mov_b64 s[10:11], 0
.LBB14_1564:
	s_andn2_b64 vcc, exec, s[10:11]
	s_cbranch_vccnz .LBB14_1572
; %bb.1565:
	v_and_b32_e32 v3, 0x7fffffff, v2
	s_mov_b32 s10, 0x43800000
	v_cmp_gt_u32_e32 vcc, s10, v3
	v_mov_b32_e32 v8, 0x80
	s_and_saveexec_b64 s[10:11], vcc
	s_cbranch_execz .LBB14_1571
; %bb.1566:
	s_mov_b32 s15, 0x3bffffff
	v_cmp_lt_u32_e32 vcc, s15, v3
	s_mov_b64 s[18:19], 0
                                        ; implicit-def: $vgpr3
	s_and_saveexec_b64 s[20:21], vcc
	s_xor_b64 s[20:21], exec, s[20:21]
	s_cbranch_execz .LBB14_2020
; %bb.1567:
	v_bfe_u32 v3, v2, 20, 1
	s_mov_b32 s15, 0x487ffff
	v_add3_u32 v3, v2, v3, s15
	s_mov_b64 s[18:19], exec
	v_lshrrev_b32_e32 v3, 20, v3
	s_andn2_saveexec_b64 s[20:21], s[20:21]
	s_cbranch_execnz .LBB14_2021
.LBB14_1568:
	s_or_b64 exec, exec, s[20:21]
	v_mov_b32_e32 v8, 0
	s_and_saveexec_b64 s[20:21], s[18:19]
.LBB14_1569:
	v_lshrrev_b32_e32 v8, 24, v2
	s_movk_i32 s15, 0x80
	v_and_or_b32 v8, v8, s15, v3
.LBB14_1570:
	s_or_b64 exec, exec, s[20:21]
.LBB14_1571:
	s_or_b64 exec, exec, s[10:11]
	global_store_byte v[0:1], v8, off
.LBB14_1572:
	s_mov_b64 s[10:11], -1
.LBB14_1573:
	s_mov_b64 s[18:19], 0
.LBB14_1574:
	s_and_b64 vcc, exec, s[18:19]
	s_cbranch_vccz .LBB14_1614
; %bb.1575:
	s_cmp_gt_i32 s13, 22
	s_mov_b64 s[2:3], -1
	s_cbranch_scc0 .LBB14_1607
; %bb.1576:
	s_cmp_lt_i32 s13, 24
	s_cbranch_scc1 .LBB14_1596
; %bb.1577:
	s_cmp_gt_i32 s13, 24
	s_cbranch_scc0 .LBB14_1585
; %bb.1578:
	v_and_b32_e32 v3, 0x7fffffff, v2
	s_mov_b32 s2, 0x47800000
	v_cmp_gt_u32_e32 vcc, s2, v3
	v_mov_b32_e32 v8, 0x80
	s_and_saveexec_b64 s[2:3], vcc
	s_cbranch_execz .LBB14_1584
; %bb.1579:
	s_mov_b32 s10, 0x37ffffff
	v_cmp_lt_u32_e32 vcc, s10, v3
	s_mov_b64 s[10:11], 0
                                        ; implicit-def: $vgpr3
	s_and_saveexec_b64 s[18:19], vcc
	s_xor_b64 s[18:19], exec, s[18:19]
	s_cbranch_execz .LBB14_2023
; %bb.1580:
	v_bfe_u32 v3, v2, 21, 1
	s_mov_b32 s15, 0x88fffff
	v_add3_u32 v3, v2, v3, s15
	s_mov_b64 s[10:11], exec
	v_lshrrev_b32_e32 v3, 21, v3
	s_andn2_saveexec_b64 s[18:19], s[18:19]
	s_cbranch_execnz .LBB14_2024
.LBB14_1581:
	s_or_b64 exec, exec, s[18:19]
	v_mov_b32_e32 v8, 0
	s_and_saveexec_b64 s[18:19], s[10:11]
.LBB14_1582:
	v_lshrrev_b32_e32 v8, 24, v2
	s_movk_i32 s10, 0x80
	v_and_or_b32 v8, v8, s10, v3
.LBB14_1583:
	s_or_b64 exec, exec, s[18:19]
.LBB14_1584:
	s_or_b64 exec, exec, s[2:3]
	s_mov_b64 s[2:3], 0
	global_store_byte v[0:1], v8, off
.LBB14_1585:
	s_and_b64 vcc, exec, s[2:3]
	s_cbranch_vccz .LBB14_1595
; %bb.1586:
	v_and_b32_e32 v8, 0x7fffffff, v2
	s_mov_b32 s2, 0x43f00000
	v_cmp_gt_u32_e32 vcc, s2, v8
                                        ; implicit-def: $vgpr3
	s_and_saveexec_b64 s[2:3], vcc
	s_xor_b64 s[2:3], exec, s[2:3]
	s_cbranch_execz .LBB14_1592
; %bb.1587:
	s_mov_b32 s10, 0x3c7fffff
	v_cmp_lt_u32_e32 vcc, s10, v8
                                        ; implicit-def: $vgpr3
	s_and_saveexec_b64 s[10:11], vcc
	s_xor_b64 s[10:11], exec, s[10:11]
; %bb.1588:
	v_bfe_u32 v3, v2, 20, 1
	s_mov_b32 s15, 0x407ffff
	v_add3_u32 v3, v2, v3, s15
	v_lshrrev_b32_e32 v8, 20, v3
	v_and_b32_e32 v3, 0xff00000, v3
	s_mov_b32 s15, 0x7f00000
	v_mov_b32_e32 v9, 0x7e
	v_cmp_ne_u32_e32 vcc, s15, v3
	v_cndmask_b32_e32 v3, v9, v8, vcc
; %bb.1589:
	s_andn2_saveexec_b64 s[10:11], s[10:11]
; %bb.1590:
	s_mov_b32 s15, 0x46800000
	v_add_f32_e64 v3, |v2|, s15
; %bb.1591:
	s_or_b64 exec, exec, s[10:11]
                                        ; implicit-def: $vgpr8
.LBB14_1592:
	s_andn2_saveexec_b64 s[2:3], s[2:3]
; %bb.1593:
	s_mov_b32 s10, 0x7f800000
	v_mov_b32_e32 v3, 0x7e
	v_mov_b32_e32 v9, 0x7f
	v_cmp_lt_u32_e32 vcc, s10, v8
	v_cndmask_b32_e32 v3, v3, v9, vcc
; %bb.1594:
	s_or_b64 exec, exec, s[2:3]
	v_lshrrev_b32_e32 v8, 24, v2
	s_movk_i32 s2, 0x80
	v_and_or_b32 v3, v8, s2, v3
	global_store_byte v[0:1], v3, off
.LBB14_1595:
	s_mov_b64 s[2:3], 0
.LBB14_1596:
	s_andn2_b64 vcc, exec, s[2:3]
	s_cbranch_vccnz .LBB14_1606
; %bb.1597:
	v_and_b32_e32 v8, 0x7fffffff, v2
	s_mov_b32 s2, 0x47800000
	v_cmp_gt_u32_e32 vcc, s2, v8
                                        ; implicit-def: $vgpr3
	s_and_saveexec_b64 s[2:3], vcc
	s_xor_b64 s[2:3], exec, s[2:3]
	s_cbranch_execz .LBB14_1603
; %bb.1598:
	s_mov_b32 s10, 0x387fffff
	v_cmp_lt_u32_e32 vcc, s10, v8
                                        ; implicit-def: $vgpr3
	s_and_saveexec_b64 s[10:11], vcc
	s_xor_b64 s[10:11], exec, s[10:11]
; %bb.1599:
	v_bfe_u32 v3, v2, 21, 1
	s_mov_b32 s15, 0x80fffff
	v_add3_u32 v3, v2, v3, s15
	v_lshrrev_b32_e32 v3, 21, v3
; %bb.1600:
	s_andn2_saveexec_b64 s[10:11], s[10:11]
; %bb.1601:
	s_mov_b32 s15, 0x43000000
	v_add_f32_e64 v3, |v2|, s15
; %bb.1602:
	s_or_b64 exec, exec, s[10:11]
                                        ; implicit-def: $vgpr8
.LBB14_1603:
	s_andn2_saveexec_b64 s[2:3], s[2:3]
; %bb.1604:
	s_mov_b32 s10, 0x7f800000
	v_mov_b32_e32 v3, 0x7c
	v_mov_b32_e32 v9, 0x7f
	v_cmp_lt_u32_e32 vcc, s10, v8
	v_cndmask_b32_e32 v3, v3, v9, vcc
; %bb.1605:
	s_or_b64 exec, exec, s[2:3]
	v_lshrrev_b32_e32 v8, 24, v2
	s_movk_i32 s2, 0x80
	v_and_or_b32 v3, v8, s2, v3
	global_store_byte v[0:1], v3, off
.LBB14_1606:
	s_mov_b64 s[2:3], 0
	s_mov_b64 s[10:11], -1
.LBB14_1607:
	s_andn2_b64 vcc, exec, s[2:3]
	s_mov_b64 s[2:3], 0
	s_cbranch_vccnz .LBB14_1614
; %bb.1608:
	s_cmp_gt_i32 s13, 14
	s_mov_b64 s[18:19], -1
	s_cbranch_scc0 .LBB14_1612
; %bb.1609:
	s_cmp_eq_u32 s13, 15
	s_mov_b64 s[0:1], -1
	s_cbranch_scc0 .LBB14_1611
; %bb.1610:
	v_bfe_u32 v3, v2, 16, 1
	s_movk_i32 s0, 0x7fff
	v_add3_u32 v3, v2, v3, s0
	v_cmp_o_f32_e32 vcc, v2, v2
	v_mov_b32_e32 v8, 0x7fc0
	v_cndmask_b32_sdwa v3, v8, v3, vcc dst_sel:DWORD dst_unused:UNUSED_PAD src0_sel:DWORD src1_sel:WORD_1
	global_store_short v[0:1], v3, off
	s_mov_b64 s[0:1], 0
	s_mov_b64 s[10:11], -1
.LBB14_1611:
	s_mov_b64 s[18:19], 0
.LBB14_1612:
	s_and_b64 vcc, exec, s[18:19]
	s_cbranch_vccz .LBB14_1614
; %bb.1613:
	s_cmp_lg_u32 s13, 11
	s_mov_b64 s[2:3], -1
	s_cselect_b64 s[0:1], -1, 0
.LBB14_1614:
	s_and_b64 vcc, exec, s[0:1]
	s_cbranch_vccnz .LBB14_2022
; %bb.1615:
	s_andn2_b64 vcc, exec, s[2:3]
	s_cbranch_vccnz .LBB14_1617
.LBB14_1616:
	v_cmp_neq_f32_e32 vcc, 0, v2
	v_cndmask_b32_e64 v3, 0, 1, vcc
	s_mov_b64 s[10:11], -1
	global_store_byte v[0:1], v3, off
.LBB14_1617:
	s_mov_b64 s[0:1], 0
	s_branch .LBB14_1619
.LBB14_1618:
	s_mov_b64 s[0:1], -1
	s_mov_b64 s[10:11], 0
.LBB14_1619:
	s_and_b64 vcc, exec, s[0:1]
	s_cbranch_vccz .LBB14_1658
; %bb.1620:
	s_and_b32 s2, 0xffff, s22
	s_cmp_lt_i32 s2, 5
	s_mov_b64 s[0:1], -1
	s_cbranch_scc1 .LBB14_1641
; %bb.1621:
	s_cmp_lt_i32 s2, 8
	s_cbranch_scc1 .LBB14_1631
; %bb.1622:
	s_cmp_lt_i32 s2, 9
	s_cbranch_scc1 .LBB14_1628
; %bb.1623:
	s_cmp_gt_i32 s2, 9
	s_cbranch_scc0 .LBB14_1625
; %bb.1624:
	v_cvt_f64_f32_e32 v[8:9], v2
	v_mov_b32_e32 v10, 0
	v_mov_b32_e32 v11, v10
	s_mov_b64 s[0:1], 0
	global_store_dwordx4 v[0:1], v[8:11], off
.LBB14_1625:
	s_andn2_b64 vcc, exec, s[0:1]
	s_cbranch_vccnz .LBB14_1627
; %bb.1626:
	v_mov_b32_e32 v3, 0
	global_store_dwordx2 v[0:1], v[2:3], off
.LBB14_1627:
	s_mov_b64 s[0:1], 0
.LBB14_1628:
	s_andn2_b64 vcc, exec, s[0:1]
	s_cbranch_vccnz .LBB14_1630
; %bb.1629:
	v_cvt_f16_f32_e32 v3, v2
	global_store_dword v[0:1], v3, off
.LBB14_1630:
	s_mov_b64 s[0:1], 0
.LBB14_1631:
	s_andn2_b64 vcc, exec, s[0:1]
	s_cbranch_vccnz .LBB14_1640
; %bb.1632:
	s_cmp_lt_i32 s2, 6
	s_mov_b64 s[0:1], -1
	s_cbranch_scc1 .LBB14_1638
; %bb.1633:
	s_cmp_gt_i32 s2, 6
	s_cbranch_scc0 .LBB14_1635
; %bb.1634:
	v_cvt_f64_f32_e32 v[8:9], v2
	s_mov_b64 s[0:1], 0
	global_store_dwordx2 v[0:1], v[8:9], off
.LBB14_1635:
	s_andn2_b64 vcc, exec, s[0:1]
	s_cbranch_vccnz .LBB14_1637
; %bb.1636:
	global_store_dword v[0:1], v2, off
.LBB14_1637:
	s_mov_b64 s[0:1], 0
.LBB14_1638:
	s_andn2_b64 vcc, exec, s[0:1]
	s_cbranch_vccnz .LBB14_1640
; %bb.1639:
	v_cvt_f16_f32_e32 v3, v2
	global_store_short v[0:1], v3, off
.LBB14_1640:
	s_mov_b64 s[0:1], 0
.LBB14_1641:
	s_andn2_b64 vcc, exec, s[0:1]
	s_cbranch_vccnz .LBB14_1657
; %bb.1642:
	s_cmp_lt_i32 s2, 2
	s_mov_b64 s[0:1], -1
	s_cbranch_scc1 .LBB14_1652
; %bb.1643:
	s_cmp_lt_i32 s2, 3
	s_cbranch_scc1 .LBB14_1649
; %bb.1644:
	s_cmp_gt_i32 s2, 3
	s_cbranch_scc0 .LBB14_1646
; %bb.1645:
	v_trunc_f32_e32 v3, v2
	s_mov_b32 s0, 0x2f800000
	v_mul_f32_e64 v8, |v3|, s0
	v_floor_f32_e32 v8, v8
	s_mov_b32 s0, 0xcf800000
	v_cvt_u32_f32_e32 v9, v8
	v_fma_f32 v8, v8, s0, |v3|
	v_cvt_u32_f32_e32 v8, v8
	v_ashrrev_i32_e32 v3, 31, v3
	v_xor_b32_e32 v9, v9, v3
	s_mov_b64 s[0:1], 0
	v_xor_b32_e32 v8, v8, v3
	v_sub_co_u32_e32 v8, vcc, v8, v3
	v_subb_co_u32_e32 v9, vcc, v9, v3, vcc
	global_store_dwordx2 v[0:1], v[8:9], off
.LBB14_1646:
	s_andn2_b64 vcc, exec, s[0:1]
	s_cbranch_vccnz .LBB14_1648
; %bb.1647:
	v_cvt_i32_f32_e32 v3, v2
	global_store_dword v[0:1], v3, off
.LBB14_1648:
	s_mov_b64 s[0:1], 0
.LBB14_1649:
	s_andn2_b64 vcc, exec, s[0:1]
	s_cbranch_vccnz .LBB14_1651
; %bb.1650:
	v_cvt_i32_f32_e32 v3, v2
	global_store_short v[0:1], v3, off
.LBB14_1651:
	s_mov_b64 s[0:1], 0
.LBB14_1652:
	s_andn2_b64 vcc, exec, s[0:1]
	s_cbranch_vccnz .LBB14_1657
; %bb.1653:
	s_cmp_gt_i32 s2, 0
	s_mov_b64 s[0:1], -1
	s_cbranch_scc0 .LBB14_1655
; %bb.1654:
	v_cvt_i32_f32_e32 v3, v2
	s_mov_b64 s[0:1], 0
	global_store_byte v[0:1], v3, off
.LBB14_1655:
	s_andn2_b64 vcc, exec, s[0:1]
	s_cbranch_vccnz .LBB14_1657
; %bb.1656:
	v_trunc_f32_e32 v2, v2
	s_mov_b32 s0, 0x2f800000
	v_mul_f32_e64 v3, |v2|, s0
	v_floor_f32_e32 v3, v3
	s_mov_b32 s0, 0xcf800000
	v_fma_f32 v3, v3, s0, |v2|
	v_cvt_u32_f32_e32 v3, v3
	v_ashrrev_i32_e32 v2, 31, v2
	v_xor_b32_e32 v3, v3, v2
	v_sub_u32_e32 v2, v3, v2
	global_store_byte v[0:1], v2, off
.LBB14_1657:
	s_mov_b64 s[10:11], -1
.LBB14_1658:
	s_andn2_b64 vcc, exec, s[10:11]
	s_cbranch_vccnz .LBB14_1973
; %bb.1659:
	v_cmp_nge_f32_e64 s[0:1], v5, -s14
	v_cmp_nge_f32_e32 vcc, s14, v5
	s_lshl_b32 s15, s12, 7
	s_or_b64 vcc, s[0:1], vcc
	v_add_u32_e32 v4, s15, v4
	v_cndmask_b32_e32 v2, 0, v5, vcc
	v_ashrrev_i32_e32 v1, 31, v4
	v_mov_b32_e32 v3, s9
	v_add_co_u32_e32 v0, vcc, s8, v4
	s_cmp_lt_i32 s22, 11
	v_addc_co_u32_e32 v1, vcc, v3, v1, vcc
	s_cbranch_scc1 .LBB14_1737
; %bb.1660:
	s_and_b32 s20, 0xffff, s22
	s_mov_b64 s[12:13], -1
	s_mov_b64 s[2:3], 0
	s_cmp_gt_i32 s20, 25
	s_mov_b64 s[10:11], 0
	s_mov_b64 s[0:1], 0
	s_cbranch_scc0 .LBB14_1693
; %bb.1661:
	s_cmp_gt_i32 s20, 28
	s_cbranch_scc0 .LBB14_1676
; %bb.1662:
	s_cmp_gt_i32 s20, 43
	;; [unrolled: 3-line block ×3, first 2 shown]
	s_cbranch_scc0 .LBB14_1666
; %bb.1664:
	s_mov_b64 s[0:1], -1
	s_mov_b64 s[12:13], 0
	s_cmp_eq_u32 s20, 46
	s_cbranch_scc0 .LBB14_1666
; %bb.1665:
	v_bfe_u32 v3, v2, 16, 1
	s_movk_i32 s0, 0x7fff
	v_add3_u32 v3, v2, v3, s0
	v_cmp_o_f32_e32 vcc, v2, v2
	v_mov_b32_e32 v5, 0x7fc0
	v_cndmask_b32_sdwa v3, v5, v3, vcc dst_sel:DWORD dst_unused:UNUSED_PAD src0_sel:DWORD src1_sel:WORD_1
	global_store_dword v[0:1], v3, off
	s_mov_b64 s[0:1], 0
	s_mov_b64 s[10:11], -1
.LBB14_1666:
	s_and_b64 vcc, exec, s[12:13]
	s_cbranch_vccz .LBB14_1671
; %bb.1667:
	s_cmp_eq_u32 s20, 44
	s_mov_b64 s[0:1], -1
	s_cbranch_scc0 .LBB14_1671
; %bb.1668:
	v_bfe_u32 v3, v2, 23, 8
	s_movk_i32 s0, 0xff
	v_cmp_ne_u32_e32 vcc, s0, v3
	v_mov_b32_e32 v5, 0xff
	s_and_saveexec_b64 s[10:11], vcc
; %bb.1669:
	s_mov_b32 s0, 0x3fffff
	v_and_b32_e32 v8, 0x400000, v2
	v_and_or_b32 v3, v2, s0, v3
	v_cmp_ne_u32_e32 vcc, 0, v8
	v_cmp_ne_u32_e64 s[0:1], 0, v3
	s_and_b64 s[0:1], vcc, s[0:1]
	v_lshrrev_b32_e32 v5, 23, v2
	v_cndmask_b32_e64 v3, 0, 1, s[0:1]
	v_add_u32_e32 v5, v5, v3
; %bb.1670:
	s_or_b64 exec, exec, s[10:11]
	s_mov_b64 s[0:1], 0
	s_mov_b64 s[10:11], -1
	global_store_byte v[0:1], v5, off
.LBB14_1671:
	s_mov_b64 s[12:13], 0
.LBB14_1672:
	s_and_b64 vcc, exec, s[12:13]
	s_cbranch_vccz .LBB14_1675
; %bb.1673:
	s_cmp_eq_u32 s20, 29
	s_mov_b64 s[0:1], -1
	s_cbranch_scc0 .LBB14_1675
; %bb.1674:
	v_trunc_f32_e32 v3, v2
	v_mul_f32_e32 v5, 0x2f800000, v3
	v_floor_f32_e32 v5, v5
	v_fmac_f32_e32 v3, 0xcf800000, v5
	v_cvt_u32_f32_e32 v9, v5
	v_cvt_u32_f32_e32 v8, v3
	s_mov_b64 s[0:1], 0
	s_mov_b64 s[10:11], -1
	global_store_dwordx2 v[0:1], v[8:9], off
.LBB14_1675:
	s_mov_b64 s[12:13], 0
.LBB14_1676:
	s_and_b64 vcc, exec, s[12:13]
	s_cbranch_vccz .LBB14_1692
; %bb.1677:
	s_cmp_lt_i32 s20, 27
	s_mov_b64 s[10:11], -1
	s_cbranch_scc1 .LBB14_1683
; %bb.1678:
	v_cvt_u32_f32_e32 v3, v2
	s_cmp_gt_i32 s20, 27
	s_cbranch_scc0 .LBB14_1680
; %bb.1679:
	s_mov_b64 s[10:11], 0
	global_store_dword v[0:1], v3, off
.LBB14_1680:
	s_andn2_b64 vcc, exec, s[10:11]
	s_cbranch_vccnz .LBB14_1682
; %bb.1681:
	global_store_short v[0:1], v3, off
.LBB14_1682:
	s_mov_b64 s[10:11], 0
.LBB14_1683:
	s_andn2_b64 vcc, exec, s[10:11]
	s_cbranch_vccnz .LBB14_1691
; %bb.1684:
	v_and_b32_e32 v3, 0x7fffffff, v2
	s_mov_b32 s10, 0x43800000
	v_cmp_gt_u32_e32 vcc, s10, v3
	v_mov_b32_e32 v5, 0x80
	s_and_saveexec_b64 s[10:11], vcc
	s_cbranch_execz .LBB14_1690
; %bb.1685:
	s_mov_b32 s12, 0x3bffffff
	v_cmp_lt_u32_e32 vcc, s12, v3
	s_mov_b64 s[12:13], 0
                                        ; implicit-def: $vgpr3
	s_and_saveexec_b64 s[18:19], vcc
	s_xor_b64 s[18:19], exec, s[18:19]
	s_cbranch_execz .LBB14_2025
; %bb.1686:
	v_bfe_u32 v3, v2, 20, 1
	s_mov_b32 s21, 0x487ffff
	v_add3_u32 v3, v2, v3, s21
	s_mov_b64 s[12:13], exec
	v_lshrrev_b32_e32 v3, 20, v3
	s_andn2_saveexec_b64 s[18:19], s[18:19]
	s_cbranch_execnz .LBB14_2026
.LBB14_1687:
	s_or_b64 exec, exec, s[18:19]
	v_mov_b32_e32 v5, 0
	s_and_saveexec_b64 s[18:19], s[12:13]
.LBB14_1688:
	v_lshrrev_b32_e32 v5, 24, v2
	s_movk_i32 s12, 0x80
	v_and_or_b32 v5, v5, s12, v3
.LBB14_1689:
	s_or_b64 exec, exec, s[18:19]
.LBB14_1690:
	s_or_b64 exec, exec, s[10:11]
	global_store_byte v[0:1], v5, off
.LBB14_1691:
	s_mov_b64 s[10:11], -1
.LBB14_1692:
	s_mov_b64 s[12:13], 0
.LBB14_1693:
	s_and_b64 vcc, exec, s[12:13]
	s_cbranch_vccz .LBB14_1733
; %bb.1694:
	s_cmp_gt_i32 s20, 22
	s_mov_b64 s[2:3], -1
	s_cbranch_scc0 .LBB14_1726
; %bb.1695:
	s_cmp_lt_i32 s20, 24
	s_cbranch_scc1 .LBB14_1715
; %bb.1696:
	s_cmp_gt_i32 s20, 24
	s_cbranch_scc0 .LBB14_1704
; %bb.1697:
	v_and_b32_e32 v3, 0x7fffffff, v2
	s_mov_b32 s2, 0x47800000
	v_cmp_gt_u32_e32 vcc, s2, v3
	v_mov_b32_e32 v5, 0x80
	s_and_saveexec_b64 s[2:3], vcc
	s_cbranch_execz .LBB14_1703
; %bb.1698:
	s_mov_b32 s10, 0x37ffffff
	v_cmp_lt_u32_e32 vcc, s10, v3
	s_mov_b64 s[10:11], 0
                                        ; implicit-def: $vgpr3
	s_and_saveexec_b64 s[12:13], vcc
	s_xor_b64 s[12:13], exec, s[12:13]
	s_cbranch_execz .LBB14_2028
; %bb.1699:
	v_bfe_u32 v3, v2, 21, 1
	s_mov_b32 s18, 0x88fffff
	v_add3_u32 v3, v2, v3, s18
	s_mov_b64 s[10:11], exec
	v_lshrrev_b32_e32 v3, 21, v3
	s_andn2_saveexec_b64 s[12:13], s[12:13]
	s_cbranch_execnz .LBB14_2029
.LBB14_1700:
	s_or_b64 exec, exec, s[12:13]
	v_mov_b32_e32 v5, 0
	s_and_saveexec_b64 s[12:13], s[10:11]
.LBB14_1701:
	v_lshrrev_b32_e32 v5, 24, v2
	s_movk_i32 s10, 0x80
	v_and_or_b32 v5, v5, s10, v3
.LBB14_1702:
	s_or_b64 exec, exec, s[12:13]
.LBB14_1703:
	s_or_b64 exec, exec, s[2:3]
	s_mov_b64 s[2:3], 0
	global_store_byte v[0:1], v5, off
.LBB14_1704:
	s_and_b64 vcc, exec, s[2:3]
	s_cbranch_vccz .LBB14_1714
; %bb.1705:
	v_and_b32_e32 v5, 0x7fffffff, v2
	s_mov_b32 s2, 0x43f00000
	v_cmp_gt_u32_e32 vcc, s2, v5
                                        ; implicit-def: $vgpr3
	s_and_saveexec_b64 s[2:3], vcc
	s_xor_b64 s[2:3], exec, s[2:3]
	s_cbranch_execz .LBB14_1711
; %bb.1706:
	s_mov_b32 s10, 0x3c7fffff
	v_cmp_lt_u32_e32 vcc, s10, v5
                                        ; implicit-def: $vgpr3
	s_and_saveexec_b64 s[10:11], vcc
	s_xor_b64 s[10:11], exec, s[10:11]
; %bb.1707:
	v_bfe_u32 v3, v2, 20, 1
	s_mov_b32 s12, 0x407ffff
	v_add3_u32 v3, v2, v3, s12
	v_lshrrev_b32_e32 v5, 20, v3
	v_and_b32_e32 v3, 0xff00000, v3
	s_mov_b32 s12, 0x7f00000
	v_mov_b32_e32 v8, 0x7e
	v_cmp_ne_u32_e32 vcc, s12, v3
	v_cndmask_b32_e32 v3, v8, v5, vcc
; %bb.1708:
	s_andn2_saveexec_b64 s[10:11], s[10:11]
; %bb.1709:
	s_mov_b32 s12, 0x46800000
	v_add_f32_e64 v3, |v2|, s12
; %bb.1710:
	s_or_b64 exec, exec, s[10:11]
                                        ; implicit-def: $vgpr5
.LBB14_1711:
	s_andn2_saveexec_b64 s[2:3], s[2:3]
; %bb.1712:
	s_mov_b32 s10, 0x7f800000
	v_mov_b32_e32 v3, 0x7e
	v_mov_b32_e32 v8, 0x7f
	v_cmp_lt_u32_e32 vcc, s10, v5
	v_cndmask_b32_e32 v3, v3, v8, vcc
; %bb.1713:
	s_or_b64 exec, exec, s[2:3]
	v_lshrrev_b32_e32 v5, 24, v2
	s_movk_i32 s2, 0x80
	v_and_or_b32 v3, v5, s2, v3
	global_store_byte v[0:1], v3, off
.LBB14_1714:
	s_mov_b64 s[2:3], 0
.LBB14_1715:
	s_andn2_b64 vcc, exec, s[2:3]
	s_cbranch_vccnz .LBB14_1725
; %bb.1716:
	v_and_b32_e32 v5, 0x7fffffff, v2
	s_mov_b32 s2, 0x47800000
	v_cmp_gt_u32_e32 vcc, s2, v5
                                        ; implicit-def: $vgpr3
	s_and_saveexec_b64 s[2:3], vcc
	s_xor_b64 s[2:3], exec, s[2:3]
	s_cbranch_execz .LBB14_1722
; %bb.1717:
	s_mov_b32 s10, 0x387fffff
	v_cmp_lt_u32_e32 vcc, s10, v5
                                        ; implicit-def: $vgpr3
	s_and_saveexec_b64 s[10:11], vcc
	s_xor_b64 s[10:11], exec, s[10:11]
; %bb.1718:
	v_bfe_u32 v3, v2, 21, 1
	s_mov_b32 s12, 0x80fffff
	v_add3_u32 v3, v2, v3, s12
	v_lshrrev_b32_e32 v3, 21, v3
; %bb.1719:
	s_andn2_saveexec_b64 s[10:11], s[10:11]
; %bb.1720:
	s_mov_b32 s12, 0x43000000
	v_add_f32_e64 v3, |v2|, s12
; %bb.1721:
	s_or_b64 exec, exec, s[10:11]
                                        ; implicit-def: $vgpr5
.LBB14_1722:
	s_andn2_saveexec_b64 s[2:3], s[2:3]
; %bb.1723:
	s_mov_b32 s10, 0x7f800000
	v_mov_b32_e32 v3, 0x7c
	v_mov_b32_e32 v8, 0x7f
	v_cmp_lt_u32_e32 vcc, s10, v5
	v_cndmask_b32_e32 v3, v3, v8, vcc
; %bb.1724:
	s_or_b64 exec, exec, s[2:3]
	v_lshrrev_b32_e32 v5, 24, v2
	s_movk_i32 s2, 0x80
	v_and_or_b32 v3, v5, s2, v3
	global_store_byte v[0:1], v3, off
.LBB14_1725:
	s_mov_b64 s[2:3], 0
	s_mov_b64 s[10:11], -1
.LBB14_1726:
	s_andn2_b64 vcc, exec, s[2:3]
	s_mov_b64 s[2:3], 0
	s_cbranch_vccnz .LBB14_1733
; %bb.1727:
	s_cmp_gt_i32 s20, 14
	s_mov_b64 s[12:13], -1
	s_cbranch_scc0 .LBB14_1731
; %bb.1728:
	s_cmp_eq_u32 s20, 15
	s_mov_b64 s[0:1], -1
	s_cbranch_scc0 .LBB14_1730
; %bb.1729:
	v_bfe_u32 v3, v2, 16, 1
	s_movk_i32 s0, 0x7fff
	v_add3_u32 v3, v2, v3, s0
	v_cmp_o_f32_e32 vcc, v2, v2
	v_mov_b32_e32 v5, 0x7fc0
	v_cndmask_b32_sdwa v3, v5, v3, vcc dst_sel:DWORD dst_unused:UNUSED_PAD src0_sel:DWORD src1_sel:WORD_1
	global_store_short v[0:1], v3, off
	s_mov_b64 s[0:1], 0
	s_mov_b64 s[10:11], -1
.LBB14_1730:
	s_mov_b64 s[12:13], 0
.LBB14_1731:
	s_and_b64 vcc, exec, s[12:13]
	s_cbranch_vccz .LBB14_1733
; %bb.1732:
	s_cmp_lg_u32 s20, 11
	s_mov_b64 s[2:3], -1
	s_cselect_b64 s[0:1], -1, 0
.LBB14_1733:
	s_and_b64 vcc, exec, s[0:1]
	s_cbranch_vccnz .LBB14_2027
; %bb.1734:
	s_andn2_b64 vcc, exec, s[2:3]
	s_cbranch_vccnz .LBB14_1736
.LBB14_1735:
	v_cmp_neq_f32_e32 vcc, 0, v2
	v_cndmask_b32_e64 v3, 0, 1, vcc
	s_mov_b64 s[10:11], -1
	global_store_byte v[0:1], v3, off
.LBB14_1736:
	s_mov_b64 s[0:1], 0
	s_branch .LBB14_1738
.LBB14_1737:
	s_mov_b64 s[0:1], -1
	s_mov_b64 s[10:11], 0
.LBB14_1738:
	s_and_b64 vcc, exec, s[0:1]
	s_cbranch_vccz .LBB14_1777
; %bb.1739:
	s_and_b32 s2, 0xffff, s22
	s_cmp_lt_i32 s2, 5
	s_mov_b64 s[0:1], -1
	s_cbranch_scc1 .LBB14_1760
; %bb.1740:
	s_cmp_lt_i32 s2, 8
	s_cbranch_scc1 .LBB14_1750
; %bb.1741:
	s_cmp_lt_i32 s2, 9
	s_cbranch_scc1 .LBB14_1747
; %bb.1742:
	s_cmp_gt_i32 s2, 9
	s_cbranch_scc0 .LBB14_1744
; %bb.1743:
	v_cvt_f64_f32_e32 v[8:9], v2
	v_mov_b32_e32 v10, 0
	v_mov_b32_e32 v11, v10
	s_mov_b64 s[0:1], 0
	global_store_dwordx4 v[0:1], v[8:11], off
.LBB14_1744:
	s_andn2_b64 vcc, exec, s[0:1]
	s_cbranch_vccnz .LBB14_1746
; %bb.1745:
	v_mov_b32_e32 v3, 0
	global_store_dwordx2 v[0:1], v[2:3], off
.LBB14_1746:
	s_mov_b64 s[0:1], 0
.LBB14_1747:
	s_andn2_b64 vcc, exec, s[0:1]
	s_cbranch_vccnz .LBB14_1749
; %bb.1748:
	v_cvt_f16_f32_e32 v3, v2
	global_store_dword v[0:1], v3, off
.LBB14_1749:
	s_mov_b64 s[0:1], 0
.LBB14_1750:
	s_andn2_b64 vcc, exec, s[0:1]
	s_cbranch_vccnz .LBB14_1759
; %bb.1751:
	s_cmp_lt_i32 s2, 6
	s_mov_b64 s[0:1], -1
	s_cbranch_scc1 .LBB14_1757
; %bb.1752:
	s_cmp_gt_i32 s2, 6
	s_cbranch_scc0 .LBB14_1754
; %bb.1753:
	v_cvt_f64_f32_e32 v[8:9], v2
	s_mov_b64 s[0:1], 0
	global_store_dwordx2 v[0:1], v[8:9], off
.LBB14_1754:
	s_andn2_b64 vcc, exec, s[0:1]
	s_cbranch_vccnz .LBB14_1756
; %bb.1755:
	global_store_dword v[0:1], v2, off
.LBB14_1756:
	s_mov_b64 s[0:1], 0
.LBB14_1757:
	s_andn2_b64 vcc, exec, s[0:1]
	s_cbranch_vccnz .LBB14_1759
; %bb.1758:
	v_cvt_f16_f32_e32 v3, v2
	global_store_short v[0:1], v3, off
.LBB14_1759:
	s_mov_b64 s[0:1], 0
.LBB14_1760:
	s_andn2_b64 vcc, exec, s[0:1]
	s_cbranch_vccnz .LBB14_1776
; %bb.1761:
	s_cmp_lt_i32 s2, 2
	s_mov_b64 s[0:1], -1
	s_cbranch_scc1 .LBB14_1771
; %bb.1762:
	s_cmp_lt_i32 s2, 3
	s_cbranch_scc1 .LBB14_1768
; %bb.1763:
	s_cmp_gt_i32 s2, 3
	s_cbranch_scc0 .LBB14_1765
; %bb.1764:
	v_trunc_f32_e32 v3, v2
	s_mov_b32 s0, 0x2f800000
	v_mul_f32_e64 v5, |v3|, s0
	v_floor_f32_e32 v5, v5
	s_mov_b32 s0, 0xcf800000
	v_cvt_u32_f32_e32 v8, v5
	v_fma_f32 v5, v5, s0, |v3|
	v_cvt_u32_f32_e32 v5, v5
	v_ashrrev_i32_e32 v3, 31, v3
	v_xor_b32_e32 v9, v8, v3
	s_mov_b64 s[0:1], 0
	v_xor_b32_e32 v5, v5, v3
	v_sub_co_u32_e32 v8, vcc, v5, v3
	v_subb_co_u32_e32 v9, vcc, v9, v3, vcc
	global_store_dwordx2 v[0:1], v[8:9], off
.LBB14_1765:
	s_andn2_b64 vcc, exec, s[0:1]
	s_cbranch_vccnz .LBB14_1767
; %bb.1766:
	v_cvt_i32_f32_e32 v3, v2
	global_store_dword v[0:1], v3, off
.LBB14_1767:
	s_mov_b64 s[0:1], 0
.LBB14_1768:
	s_andn2_b64 vcc, exec, s[0:1]
	s_cbranch_vccnz .LBB14_1770
; %bb.1769:
	v_cvt_i32_f32_e32 v3, v2
	global_store_short v[0:1], v3, off
.LBB14_1770:
	s_mov_b64 s[0:1], 0
.LBB14_1771:
	s_andn2_b64 vcc, exec, s[0:1]
	s_cbranch_vccnz .LBB14_1776
; %bb.1772:
	s_cmp_gt_i32 s2, 0
	s_mov_b64 s[0:1], -1
	s_cbranch_scc0 .LBB14_1774
; %bb.1773:
	v_cvt_i32_f32_e32 v3, v2
	s_mov_b64 s[0:1], 0
	global_store_byte v[0:1], v3, off
.LBB14_1774:
	s_andn2_b64 vcc, exec, s[0:1]
	s_cbranch_vccnz .LBB14_1776
; %bb.1775:
	v_trunc_f32_e32 v2, v2
	s_mov_b32 s0, 0x2f800000
	v_mul_f32_e64 v3, |v2|, s0
	v_floor_f32_e32 v3, v3
	s_mov_b32 s0, 0xcf800000
	v_fma_f32 v3, v3, s0, |v2|
	v_cvt_u32_f32_e32 v3, v3
	v_ashrrev_i32_e32 v2, 31, v2
	v_xor_b32_e32 v3, v3, v2
	v_sub_u32_e32 v2, v3, v2
	global_store_byte v[0:1], v2, off
.LBB14_1776:
	s_mov_b64 s[10:11], -1
.LBB14_1777:
	s_andn2_b64 vcc, exec, s[10:11]
	s_cbranch_vccnz .LBB14_1973
; %bb.1778:
	v_cmp_nge_f32_e64 s[0:1], v6, -s14
	v_cmp_nge_f32_e32 vcc, s14, v6
	s_or_b64 vcc, s[0:1], vcc
	v_add_u32_e32 v4, s15, v4
	v_cndmask_b32_e32 v2, 0, v6, vcc
	v_ashrrev_i32_e32 v1, 31, v4
	v_mov_b32_e32 v3, s9
	v_add_co_u32_e32 v0, vcc, s8, v4
	s_cmp_lt_i32 s22, 11
	v_addc_co_u32_e32 v1, vcc, v3, v1, vcc
	s_cbranch_scc1 .LBB14_1856
; %bb.1779:
	s_and_b32 s20, 0xffff, s22
	s_mov_b64 s[12:13], -1
	s_mov_b64 s[2:3], 0
	s_cmp_gt_i32 s20, 25
	s_mov_b64 s[10:11], 0
	s_mov_b64 s[0:1], 0
	s_cbranch_scc0 .LBB14_1812
; %bb.1780:
	s_cmp_gt_i32 s20, 28
	s_cbranch_scc0 .LBB14_1795
; %bb.1781:
	s_cmp_gt_i32 s20, 43
	;; [unrolled: 3-line block ×3, first 2 shown]
	s_cbranch_scc0 .LBB14_1785
; %bb.1783:
	s_mov_b64 s[0:1], -1
	s_mov_b64 s[12:13], 0
	s_cmp_eq_u32 s20, 46
	s_cbranch_scc0 .LBB14_1785
; %bb.1784:
	v_bfe_u32 v3, v2, 16, 1
	s_movk_i32 s0, 0x7fff
	v_add3_u32 v3, v2, v3, s0
	v_cmp_o_f32_e32 vcc, v2, v2
	v_mov_b32_e32 v5, 0x7fc0
	v_cndmask_b32_sdwa v3, v5, v3, vcc dst_sel:DWORD dst_unused:UNUSED_PAD src0_sel:DWORD src1_sel:WORD_1
	global_store_dword v[0:1], v3, off
	s_mov_b64 s[0:1], 0
	s_mov_b64 s[10:11], -1
.LBB14_1785:
	s_and_b64 vcc, exec, s[12:13]
	s_cbranch_vccz .LBB14_1790
; %bb.1786:
	s_cmp_eq_u32 s20, 44
	s_mov_b64 s[0:1], -1
	s_cbranch_scc0 .LBB14_1790
; %bb.1787:
	v_bfe_u32 v3, v2, 23, 8
	s_movk_i32 s0, 0xff
	v_cmp_ne_u32_e32 vcc, s0, v3
	v_mov_b32_e32 v5, 0xff
	s_and_saveexec_b64 s[10:11], vcc
; %bb.1788:
	s_mov_b32 s0, 0x3fffff
	v_and_b32_e32 v6, 0x400000, v2
	v_and_or_b32 v3, v2, s0, v3
	v_cmp_ne_u32_e32 vcc, 0, v6
	v_cmp_ne_u32_e64 s[0:1], 0, v3
	s_and_b64 s[0:1], vcc, s[0:1]
	v_lshrrev_b32_e32 v5, 23, v2
	v_cndmask_b32_e64 v3, 0, 1, s[0:1]
	v_add_u32_e32 v5, v5, v3
; %bb.1789:
	s_or_b64 exec, exec, s[10:11]
	s_mov_b64 s[0:1], 0
	s_mov_b64 s[10:11], -1
	global_store_byte v[0:1], v5, off
.LBB14_1790:
	s_mov_b64 s[12:13], 0
.LBB14_1791:
	s_and_b64 vcc, exec, s[12:13]
	s_cbranch_vccz .LBB14_1794
; %bb.1792:
	s_cmp_eq_u32 s20, 29
	s_mov_b64 s[0:1], -1
	s_cbranch_scc0 .LBB14_1794
; %bb.1793:
	v_trunc_f32_e32 v3, v2
	v_mul_f32_e32 v5, 0x2f800000, v3
	v_floor_f32_e32 v5, v5
	v_fmac_f32_e32 v3, 0xcf800000, v5
	v_cvt_u32_f32_e32 v6, v5
	v_cvt_u32_f32_e32 v5, v3
	s_mov_b64 s[0:1], 0
	s_mov_b64 s[10:11], -1
	global_store_dwordx2 v[0:1], v[5:6], off
.LBB14_1794:
	s_mov_b64 s[12:13], 0
.LBB14_1795:
	s_and_b64 vcc, exec, s[12:13]
	s_cbranch_vccz .LBB14_1811
; %bb.1796:
	s_cmp_lt_i32 s20, 27
	s_mov_b64 s[10:11], -1
	s_cbranch_scc1 .LBB14_1802
; %bb.1797:
	v_cvt_u32_f32_e32 v3, v2
	s_cmp_gt_i32 s20, 27
	s_cbranch_scc0 .LBB14_1799
; %bb.1798:
	s_mov_b64 s[10:11], 0
	global_store_dword v[0:1], v3, off
.LBB14_1799:
	s_andn2_b64 vcc, exec, s[10:11]
	s_cbranch_vccnz .LBB14_1801
; %bb.1800:
	global_store_short v[0:1], v3, off
.LBB14_1801:
	s_mov_b64 s[10:11], 0
.LBB14_1802:
	s_andn2_b64 vcc, exec, s[10:11]
	s_cbranch_vccnz .LBB14_1810
; %bb.1803:
	v_and_b32_e32 v3, 0x7fffffff, v2
	s_mov_b32 s10, 0x43800000
	v_cmp_gt_u32_e32 vcc, s10, v3
	v_mov_b32_e32 v5, 0x80
	s_and_saveexec_b64 s[10:11], vcc
	s_cbranch_execz .LBB14_1809
; %bb.1804:
	s_mov_b32 s12, 0x3bffffff
	v_cmp_lt_u32_e32 vcc, s12, v3
	s_mov_b64 s[12:13], 0
                                        ; implicit-def: $vgpr3
	s_and_saveexec_b64 s[18:19], vcc
	s_xor_b64 s[18:19], exec, s[18:19]
	s_cbranch_execz .LBB14_2030
; %bb.1805:
	v_bfe_u32 v3, v2, 20, 1
	s_mov_b32 s21, 0x487ffff
	v_add3_u32 v3, v2, v3, s21
	s_mov_b64 s[12:13], exec
	v_lshrrev_b32_e32 v3, 20, v3
	s_andn2_saveexec_b64 s[18:19], s[18:19]
	s_cbranch_execnz .LBB14_2031
.LBB14_1806:
	s_or_b64 exec, exec, s[18:19]
	v_mov_b32_e32 v5, 0
	s_and_saveexec_b64 s[18:19], s[12:13]
.LBB14_1807:
	v_lshrrev_b32_e32 v5, 24, v2
	s_movk_i32 s12, 0x80
	v_and_or_b32 v5, v5, s12, v3
.LBB14_1808:
	s_or_b64 exec, exec, s[18:19]
.LBB14_1809:
	s_or_b64 exec, exec, s[10:11]
	global_store_byte v[0:1], v5, off
.LBB14_1810:
	s_mov_b64 s[10:11], -1
.LBB14_1811:
	s_mov_b64 s[12:13], 0
.LBB14_1812:
	s_and_b64 vcc, exec, s[12:13]
	s_cbranch_vccz .LBB14_1852
; %bb.1813:
	s_cmp_gt_i32 s20, 22
	s_mov_b64 s[2:3], -1
	s_cbranch_scc0 .LBB14_1845
; %bb.1814:
	s_cmp_lt_i32 s20, 24
	s_cbranch_scc1 .LBB14_1834
; %bb.1815:
	s_cmp_gt_i32 s20, 24
	s_cbranch_scc0 .LBB14_1823
; %bb.1816:
	v_and_b32_e32 v3, 0x7fffffff, v2
	s_mov_b32 s2, 0x47800000
	v_cmp_gt_u32_e32 vcc, s2, v3
	v_mov_b32_e32 v5, 0x80
	s_and_saveexec_b64 s[2:3], vcc
	s_cbranch_execz .LBB14_1822
; %bb.1817:
	s_mov_b32 s10, 0x37ffffff
	v_cmp_lt_u32_e32 vcc, s10, v3
	s_mov_b64 s[10:11], 0
                                        ; implicit-def: $vgpr3
	s_and_saveexec_b64 s[12:13], vcc
	s_xor_b64 s[12:13], exec, s[12:13]
	s_cbranch_execz .LBB14_2033
; %bb.1818:
	v_bfe_u32 v3, v2, 21, 1
	s_mov_b32 s18, 0x88fffff
	v_add3_u32 v3, v2, v3, s18
	s_mov_b64 s[10:11], exec
	v_lshrrev_b32_e32 v3, 21, v3
	s_andn2_saveexec_b64 s[12:13], s[12:13]
	s_cbranch_execnz .LBB14_2034
.LBB14_1819:
	s_or_b64 exec, exec, s[12:13]
	v_mov_b32_e32 v5, 0
	s_and_saveexec_b64 s[12:13], s[10:11]
.LBB14_1820:
	v_lshrrev_b32_e32 v5, 24, v2
	s_movk_i32 s10, 0x80
	v_and_or_b32 v5, v5, s10, v3
.LBB14_1821:
	s_or_b64 exec, exec, s[12:13]
.LBB14_1822:
	s_or_b64 exec, exec, s[2:3]
	s_mov_b64 s[2:3], 0
	global_store_byte v[0:1], v5, off
.LBB14_1823:
	s_and_b64 vcc, exec, s[2:3]
	s_cbranch_vccz .LBB14_1833
; %bb.1824:
	v_and_b32_e32 v5, 0x7fffffff, v2
	s_mov_b32 s2, 0x43f00000
	v_cmp_gt_u32_e32 vcc, s2, v5
                                        ; implicit-def: $vgpr3
	s_and_saveexec_b64 s[2:3], vcc
	s_xor_b64 s[2:3], exec, s[2:3]
	s_cbranch_execz .LBB14_1830
; %bb.1825:
	s_mov_b32 s10, 0x3c7fffff
	v_cmp_lt_u32_e32 vcc, s10, v5
                                        ; implicit-def: $vgpr3
	s_and_saveexec_b64 s[10:11], vcc
	s_xor_b64 s[10:11], exec, s[10:11]
; %bb.1826:
	v_bfe_u32 v3, v2, 20, 1
	s_mov_b32 s12, 0x407ffff
	v_add3_u32 v3, v2, v3, s12
	v_lshrrev_b32_e32 v5, 20, v3
	v_and_b32_e32 v3, 0xff00000, v3
	s_mov_b32 s12, 0x7f00000
	v_mov_b32_e32 v6, 0x7e
	v_cmp_ne_u32_e32 vcc, s12, v3
	v_cndmask_b32_e32 v3, v6, v5, vcc
; %bb.1827:
	s_andn2_saveexec_b64 s[10:11], s[10:11]
; %bb.1828:
	s_mov_b32 s12, 0x46800000
	v_add_f32_e64 v3, |v2|, s12
; %bb.1829:
	s_or_b64 exec, exec, s[10:11]
                                        ; implicit-def: $vgpr5
.LBB14_1830:
	s_andn2_saveexec_b64 s[2:3], s[2:3]
; %bb.1831:
	s_mov_b32 s10, 0x7f800000
	v_mov_b32_e32 v3, 0x7e
	v_mov_b32_e32 v6, 0x7f
	v_cmp_lt_u32_e32 vcc, s10, v5
	v_cndmask_b32_e32 v3, v3, v6, vcc
; %bb.1832:
	s_or_b64 exec, exec, s[2:3]
	v_lshrrev_b32_e32 v5, 24, v2
	s_movk_i32 s2, 0x80
	v_and_or_b32 v3, v5, s2, v3
	global_store_byte v[0:1], v3, off
.LBB14_1833:
	s_mov_b64 s[2:3], 0
.LBB14_1834:
	s_andn2_b64 vcc, exec, s[2:3]
	s_cbranch_vccnz .LBB14_1844
; %bb.1835:
	v_and_b32_e32 v5, 0x7fffffff, v2
	s_mov_b32 s2, 0x47800000
	v_cmp_gt_u32_e32 vcc, s2, v5
                                        ; implicit-def: $vgpr3
	s_and_saveexec_b64 s[2:3], vcc
	s_xor_b64 s[2:3], exec, s[2:3]
	s_cbranch_execz .LBB14_1841
; %bb.1836:
	s_mov_b32 s10, 0x387fffff
	v_cmp_lt_u32_e32 vcc, s10, v5
                                        ; implicit-def: $vgpr3
	s_and_saveexec_b64 s[10:11], vcc
	s_xor_b64 s[10:11], exec, s[10:11]
; %bb.1837:
	v_bfe_u32 v3, v2, 21, 1
	s_mov_b32 s12, 0x80fffff
	v_add3_u32 v3, v2, v3, s12
	v_lshrrev_b32_e32 v3, 21, v3
; %bb.1838:
	s_andn2_saveexec_b64 s[10:11], s[10:11]
; %bb.1839:
	s_mov_b32 s12, 0x43000000
	v_add_f32_e64 v3, |v2|, s12
; %bb.1840:
	s_or_b64 exec, exec, s[10:11]
                                        ; implicit-def: $vgpr5
.LBB14_1841:
	s_andn2_saveexec_b64 s[2:3], s[2:3]
; %bb.1842:
	s_mov_b32 s10, 0x7f800000
	v_mov_b32_e32 v3, 0x7c
	v_mov_b32_e32 v6, 0x7f
	v_cmp_lt_u32_e32 vcc, s10, v5
	v_cndmask_b32_e32 v3, v3, v6, vcc
; %bb.1843:
	s_or_b64 exec, exec, s[2:3]
	v_lshrrev_b32_e32 v5, 24, v2
	s_movk_i32 s2, 0x80
	v_and_or_b32 v3, v5, s2, v3
	global_store_byte v[0:1], v3, off
.LBB14_1844:
	s_mov_b64 s[2:3], 0
	s_mov_b64 s[10:11], -1
.LBB14_1845:
	s_andn2_b64 vcc, exec, s[2:3]
	s_mov_b64 s[2:3], 0
	s_cbranch_vccnz .LBB14_1852
; %bb.1846:
	s_cmp_gt_i32 s20, 14
	s_mov_b64 s[12:13], -1
	s_cbranch_scc0 .LBB14_1850
; %bb.1847:
	s_cmp_eq_u32 s20, 15
	s_mov_b64 s[0:1], -1
	s_cbranch_scc0 .LBB14_1849
; %bb.1848:
	v_bfe_u32 v3, v2, 16, 1
	s_movk_i32 s0, 0x7fff
	v_add3_u32 v3, v2, v3, s0
	v_cmp_o_f32_e32 vcc, v2, v2
	v_mov_b32_e32 v5, 0x7fc0
	v_cndmask_b32_sdwa v3, v5, v3, vcc dst_sel:DWORD dst_unused:UNUSED_PAD src0_sel:DWORD src1_sel:WORD_1
	global_store_short v[0:1], v3, off
	s_mov_b64 s[0:1], 0
	s_mov_b64 s[10:11], -1
.LBB14_1849:
	s_mov_b64 s[12:13], 0
.LBB14_1850:
	s_and_b64 vcc, exec, s[12:13]
	s_cbranch_vccz .LBB14_1852
; %bb.1851:
	s_cmp_lg_u32 s20, 11
	s_mov_b64 s[2:3], -1
	s_cselect_b64 s[0:1], -1, 0
.LBB14_1852:
	s_and_b64 vcc, exec, s[0:1]
	s_cbranch_vccnz .LBB14_2032
; %bb.1853:
	s_andn2_b64 vcc, exec, s[2:3]
	s_cbranch_vccnz .LBB14_1855
.LBB14_1854:
	v_cmp_neq_f32_e32 vcc, 0, v2
	v_cndmask_b32_e64 v3, 0, 1, vcc
	s_mov_b64 s[10:11], -1
	global_store_byte v[0:1], v3, off
.LBB14_1855:
	s_mov_b64 s[0:1], 0
	s_branch .LBB14_1857
.LBB14_1856:
	s_mov_b64 s[0:1], -1
	s_mov_b64 s[10:11], 0
.LBB14_1857:
	s_and_b64 vcc, exec, s[0:1]
	s_cbranch_vccz .LBB14_1896
; %bb.1858:
	s_and_b32 s2, 0xffff, s22
	s_cmp_lt_i32 s2, 5
	s_mov_b64 s[0:1], -1
	s_cbranch_scc1 .LBB14_1879
; %bb.1859:
	s_cmp_lt_i32 s2, 8
	s_cbranch_scc1 .LBB14_1869
; %bb.1860:
	s_cmp_lt_i32 s2, 9
	s_cbranch_scc1 .LBB14_1866
; %bb.1861:
	s_cmp_gt_i32 s2, 9
	s_cbranch_scc0 .LBB14_1863
; %bb.1862:
	v_cvt_f64_f32_e32 v[8:9], v2
	v_mov_b32_e32 v10, 0
	v_mov_b32_e32 v11, v10
	s_mov_b64 s[0:1], 0
	global_store_dwordx4 v[0:1], v[8:11], off
.LBB14_1863:
	s_andn2_b64 vcc, exec, s[0:1]
	s_cbranch_vccnz .LBB14_1865
; %bb.1864:
	v_mov_b32_e32 v3, 0
	global_store_dwordx2 v[0:1], v[2:3], off
.LBB14_1865:
	s_mov_b64 s[0:1], 0
.LBB14_1866:
	s_andn2_b64 vcc, exec, s[0:1]
	s_cbranch_vccnz .LBB14_1868
; %bb.1867:
	v_cvt_f16_f32_e32 v3, v2
	global_store_dword v[0:1], v3, off
.LBB14_1868:
	s_mov_b64 s[0:1], 0
.LBB14_1869:
	s_andn2_b64 vcc, exec, s[0:1]
	s_cbranch_vccnz .LBB14_1878
; %bb.1870:
	s_cmp_lt_i32 s2, 6
	s_mov_b64 s[0:1], -1
	s_cbranch_scc1 .LBB14_1876
; %bb.1871:
	s_cmp_gt_i32 s2, 6
	s_cbranch_scc0 .LBB14_1873
; %bb.1872:
	v_cvt_f64_f32_e32 v[5:6], v2
	s_mov_b64 s[0:1], 0
	global_store_dwordx2 v[0:1], v[5:6], off
.LBB14_1873:
	s_andn2_b64 vcc, exec, s[0:1]
	s_cbranch_vccnz .LBB14_1875
; %bb.1874:
	global_store_dword v[0:1], v2, off
.LBB14_1875:
	s_mov_b64 s[0:1], 0
.LBB14_1876:
	s_andn2_b64 vcc, exec, s[0:1]
	s_cbranch_vccnz .LBB14_1878
; %bb.1877:
	v_cvt_f16_f32_e32 v3, v2
	global_store_short v[0:1], v3, off
.LBB14_1878:
	s_mov_b64 s[0:1], 0
.LBB14_1879:
	s_andn2_b64 vcc, exec, s[0:1]
	s_cbranch_vccnz .LBB14_1895
; %bb.1880:
	s_cmp_lt_i32 s2, 2
	s_mov_b64 s[0:1], -1
	s_cbranch_scc1 .LBB14_1890
; %bb.1881:
	s_cmp_lt_i32 s2, 3
	s_cbranch_scc1 .LBB14_1887
; %bb.1882:
	s_cmp_gt_i32 s2, 3
	s_cbranch_scc0 .LBB14_1884
; %bb.1883:
	v_trunc_f32_e32 v3, v2
	s_mov_b32 s0, 0x2f800000
	v_mul_f32_e64 v5, |v3|, s0
	v_floor_f32_e32 v5, v5
	s_mov_b32 s0, 0xcf800000
	v_cvt_u32_f32_e32 v6, v5
	v_fma_f32 v5, v5, s0, |v3|
	v_cvt_u32_f32_e32 v5, v5
	v_ashrrev_i32_e32 v3, 31, v3
	v_xor_b32_e32 v6, v6, v3
	s_mov_b64 s[0:1], 0
	v_xor_b32_e32 v5, v5, v3
	v_sub_co_u32_e32 v5, vcc, v5, v3
	v_subb_co_u32_e32 v6, vcc, v6, v3, vcc
	global_store_dwordx2 v[0:1], v[5:6], off
.LBB14_1884:
	s_andn2_b64 vcc, exec, s[0:1]
	s_cbranch_vccnz .LBB14_1886
; %bb.1885:
	v_cvt_i32_f32_e32 v3, v2
	global_store_dword v[0:1], v3, off
.LBB14_1886:
	s_mov_b64 s[0:1], 0
.LBB14_1887:
	s_andn2_b64 vcc, exec, s[0:1]
	s_cbranch_vccnz .LBB14_1889
; %bb.1888:
	v_cvt_i32_f32_e32 v3, v2
	global_store_short v[0:1], v3, off
.LBB14_1889:
	s_mov_b64 s[0:1], 0
.LBB14_1890:
	s_andn2_b64 vcc, exec, s[0:1]
	s_cbranch_vccnz .LBB14_1895
; %bb.1891:
	s_cmp_gt_i32 s2, 0
	s_mov_b64 s[0:1], -1
	s_cbranch_scc0 .LBB14_1893
; %bb.1892:
	v_cvt_i32_f32_e32 v3, v2
	s_mov_b64 s[0:1], 0
	global_store_byte v[0:1], v3, off
.LBB14_1893:
	s_andn2_b64 vcc, exec, s[0:1]
	s_cbranch_vccnz .LBB14_1895
; %bb.1894:
	v_trunc_f32_e32 v2, v2
	s_mov_b32 s0, 0x2f800000
	v_mul_f32_e64 v3, |v2|, s0
	v_floor_f32_e32 v3, v3
	s_mov_b32 s0, 0xcf800000
	v_fma_f32 v3, v3, s0, |v2|
	v_cvt_u32_f32_e32 v3, v3
	v_ashrrev_i32_e32 v2, 31, v2
	v_xor_b32_e32 v3, v3, v2
	v_sub_u32_e32 v2, v3, v2
	global_store_byte v[0:1], v2, off
.LBB14_1895:
	s_mov_b64 s[10:11], -1
.LBB14_1896:
	s_andn2_b64 vcc, exec, s[10:11]
	s_cbranch_vccnz .LBB14_1973
; %bb.1897:
	v_cmp_nge_f32_e64 s[0:1], v7, -s14
	v_cmp_nge_f32_e32 vcc, s14, v7
	s_or_b64 vcc, s[0:1], vcc
	v_add_u32_e32 v0, s15, v4
	v_cndmask_b32_e32 v2, 0, v7, vcc
	v_ashrrev_i32_e32 v1, 31, v0
	v_mov_b32_e32 v3, s9
	v_add_co_u32_e32 v0, vcc, s8, v0
	s_cmp_lt_i32 s22, 11
	v_addc_co_u32_e32 v1, vcc, v3, v1, vcc
	s_cbranch_scc1 .LBB14_2018
; %bb.1898:
	s_and_b32 s14, 0xffff, s22
	s_mov_b64 s[8:9], -1
	s_mov_b64 s[2:3], 0
	s_cmp_gt_i32 s14, 25
	s_mov_b64 s[0:1], 0
	s_cbranch_scc0 .LBB14_1931
; %bb.1899:
	s_cmp_gt_i32 s14, 28
	s_cbranch_scc0 .LBB14_1915
; %bb.1900:
	s_cmp_gt_i32 s14, 43
	;; [unrolled: 3-line block ×3, first 2 shown]
	s_cbranch_scc0 .LBB14_1905
; %bb.1902:
	s_cmp_eq_u32 s14, 46
	s_mov_b64 s[0:1], -1
	s_cbranch_scc0 .LBB14_1904
; %bb.1903:
	v_bfe_u32 v3, v2, 16, 1
	s_movk_i32 s0, 0x7fff
	v_add3_u32 v3, v2, v3, s0
	v_cmp_o_f32_e32 vcc, v2, v2
	v_mov_b32_e32 v4, 0x7fc0
	v_cndmask_b32_sdwa v3, v4, v3, vcc dst_sel:DWORD dst_unused:UNUSED_PAD src0_sel:DWORD src1_sel:WORD_1
	global_store_dword v[0:1], v3, off
	s_mov_b64 s[0:1], 0
.LBB14_1904:
	s_mov_b64 s[8:9], 0
.LBB14_1905:
	s_and_b64 vcc, exec, s[8:9]
	s_cbranch_vccz .LBB14_1910
; %bb.1906:
	s_cmp_eq_u32 s14, 44
	s_mov_b64 s[0:1], -1
	s_cbranch_scc0 .LBB14_1910
; %bb.1907:
	v_bfe_u32 v3, v2, 23, 8
	s_movk_i32 s0, 0xff
	v_cmp_ne_u32_e32 vcc, s0, v3
	v_mov_b32_e32 v4, 0xff
	s_and_saveexec_b64 s[8:9], vcc
; %bb.1908:
	s_mov_b32 s0, 0x3fffff
	v_and_b32_e32 v5, 0x400000, v2
	v_and_or_b32 v3, v2, s0, v3
	v_cmp_ne_u32_e32 vcc, 0, v5
	v_cmp_ne_u32_e64 s[0:1], 0, v3
	s_and_b64 s[0:1], vcc, s[0:1]
	v_lshrrev_b32_e32 v4, 23, v2
	v_cndmask_b32_e64 v3, 0, 1, s[0:1]
	v_add_u32_e32 v4, v4, v3
; %bb.1909:
	s_or_b64 exec, exec, s[8:9]
	s_mov_b64 s[0:1], 0
	global_store_byte v[0:1], v4, off
.LBB14_1910:
	s_mov_b64 s[8:9], 0
.LBB14_1911:
	s_and_b64 vcc, exec, s[8:9]
	s_cbranch_vccz .LBB14_1914
; %bb.1912:
	s_cmp_eq_u32 s14, 29
	s_mov_b64 s[0:1], -1
	s_cbranch_scc0 .LBB14_1914
; %bb.1913:
	v_trunc_f32_e32 v3, v2
	v_mul_f32_e32 v4, 0x2f800000, v3
	v_floor_f32_e32 v5, v4
	v_fmac_f32_e32 v3, 0xcf800000, v5
	v_cvt_u32_f32_e32 v4, v5
	v_cvt_u32_f32_e32 v3, v3
	s_mov_b64 s[0:1], 0
	global_store_dwordx2 v[0:1], v[3:4], off
.LBB14_1914:
	s_mov_b64 s[8:9], 0
.LBB14_1915:
	s_and_b64 vcc, exec, s[8:9]
	s_cbranch_vccz .LBB14_1930
; %bb.1916:
	s_cmp_lt_i32 s14, 27
	s_mov_b64 s[8:9], -1
	s_cbranch_scc1 .LBB14_1922
; %bb.1917:
	v_cvt_u32_f32_e32 v3, v2
	s_cmp_gt_i32 s14, 27
	s_cbranch_scc0 .LBB14_1919
; %bb.1918:
	global_store_dword v[0:1], v3, off
	s_mov_b64 s[8:9], 0
.LBB14_1919:
	s_andn2_b64 vcc, exec, s[8:9]
	s_cbranch_vccnz .LBB14_1921
; %bb.1920:
	global_store_short v[0:1], v3, off
.LBB14_1921:
	s_mov_b64 s[8:9], 0
.LBB14_1922:
	s_andn2_b64 vcc, exec, s[8:9]
	s_cbranch_vccnz .LBB14_1930
; %bb.1923:
	v_and_b32_e32 v3, 0x7fffffff, v2
	s_mov_b32 s8, 0x43800000
	v_cmp_gt_u32_e32 vcc, s8, v3
	v_mov_b32_e32 v4, 0x80
	s_and_saveexec_b64 s[8:9], vcc
	s_cbranch_execz .LBB14_1929
; %bb.1924:
	s_mov_b32 s10, 0x3bffffff
	v_cmp_lt_u32_e32 vcc, s10, v3
	s_mov_b64 s[10:11], 0
                                        ; implicit-def: $vgpr3
	s_and_saveexec_b64 s[12:13], vcc
	s_xor_b64 s[12:13], exec, s[12:13]
	s_cbranch_execz .LBB14_2035
; %bb.1925:
	v_bfe_u32 v3, v2, 20, 1
	s_mov_b32 s15, 0x487ffff
	v_add3_u32 v3, v2, v3, s15
	s_mov_b64 s[10:11], exec
	v_lshrrev_b32_e32 v3, 20, v3
	s_andn2_saveexec_b64 s[12:13], s[12:13]
	s_cbranch_execnz .LBB14_2036
.LBB14_1926:
	s_or_b64 exec, exec, s[12:13]
	v_mov_b32_e32 v4, 0
	s_and_saveexec_b64 s[12:13], s[10:11]
.LBB14_1927:
	v_lshrrev_b32_e32 v4, 24, v2
	s_movk_i32 s10, 0x80
	v_and_or_b32 v4, v4, s10, v3
.LBB14_1928:
	s_or_b64 exec, exec, s[12:13]
.LBB14_1929:
	s_or_b64 exec, exec, s[8:9]
	global_store_byte v[0:1], v4, off
.LBB14_1930:
	s_mov_b64 s[8:9], 0
.LBB14_1931:
	s_and_b64 vcc, exec, s[8:9]
	s_cbranch_vccz .LBB14_1971
; %bb.1932:
	s_cmp_gt_i32 s14, 22
	s_mov_b64 s[2:3], -1
	s_cbranch_scc0 .LBB14_1964
; %bb.1933:
	s_cmp_lt_i32 s14, 24
	s_cbranch_scc1 .LBB14_1953
; %bb.1934:
	s_cmp_gt_i32 s14, 24
	s_cbranch_scc0 .LBB14_1942
; %bb.1935:
	v_and_b32_e32 v3, 0x7fffffff, v2
	s_mov_b32 s2, 0x47800000
	v_cmp_gt_u32_e32 vcc, s2, v3
	v_mov_b32_e32 v4, 0x80
	s_and_saveexec_b64 s[2:3], vcc
	s_cbranch_execz .LBB14_1941
; %bb.1936:
	s_mov_b32 s8, 0x37ffffff
	v_cmp_lt_u32_e32 vcc, s8, v3
	s_mov_b64 s[8:9], 0
                                        ; implicit-def: $vgpr3
	s_and_saveexec_b64 s[10:11], vcc
	s_xor_b64 s[10:11], exec, s[10:11]
	s_cbranch_execz .LBB14_2038
; %bb.1937:
	v_bfe_u32 v3, v2, 21, 1
	s_mov_b32 s12, 0x88fffff
	v_add3_u32 v3, v2, v3, s12
	s_mov_b64 s[8:9], exec
	v_lshrrev_b32_e32 v3, 21, v3
	s_andn2_saveexec_b64 s[10:11], s[10:11]
	s_cbranch_execnz .LBB14_2039
.LBB14_1938:
	s_or_b64 exec, exec, s[10:11]
	v_mov_b32_e32 v4, 0
	s_and_saveexec_b64 s[10:11], s[8:9]
.LBB14_1939:
	v_lshrrev_b32_e32 v4, 24, v2
	s_movk_i32 s8, 0x80
	v_and_or_b32 v4, v4, s8, v3
.LBB14_1940:
	s_or_b64 exec, exec, s[10:11]
.LBB14_1941:
	s_or_b64 exec, exec, s[2:3]
	s_mov_b64 s[2:3], 0
	global_store_byte v[0:1], v4, off
.LBB14_1942:
	s_and_b64 vcc, exec, s[2:3]
	s_cbranch_vccz .LBB14_1952
; %bb.1943:
	v_and_b32_e32 v4, 0x7fffffff, v2
	s_mov_b32 s2, 0x43f00000
	v_cmp_gt_u32_e32 vcc, s2, v4
                                        ; implicit-def: $vgpr3
	s_and_saveexec_b64 s[2:3], vcc
	s_xor_b64 s[2:3], exec, s[2:3]
	s_cbranch_execz .LBB14_1949
; %bb.1944:
	s_mov_b32 s8, 0x3c7fffff
	v_cmp_lt_u32_e32 vcc, s8, v4
                                        ; implicit-def: $vgpr3
	s_and_saveexec_b64 s[8:9], vcc
	s_xor_b64 s[8:9], exec, s[8:9]
; %bb.1945:
	v_bfe_u32 v3, v2, 20, 1
	s_mov_b32 s10, 0x407ffff
	v_add3_u32 v3, v2, v3, s10
	v_lshrrev_b32_e32 v4, 20, v3
	v_and_b32_e32 v3, 0xff00000, v3
	s_mov_b32 s10, 0x7f00000
	v_mov_b32_e32 v5, 0x7e
	v_cmp_ne_u32_e32 vcc, s10, v3
	v_cndmask_b32_e32 v3, v5, v4, vcc
; %bb.1946:
	s_andn2_saveexec_b64 s[8:9], s[8:9]
; %bb.1947:
	s_mov_b32 s10, 0x46800000
	v_add_f32_e64 v3, |v2|, s10
; %bb.1948:
	s_or_b64 exec, exec, s[8:9]
                                        ; implicit-def: $vgpr4
.LBB14_1949:
	s_andn2_saveexec_b64 s[2:3], s[2:3]
; %bb.1950:
	s_mov_b32 s8, 0x7f800000
	v_mov_b32_e32 v3, 0x7e
	v_mov_b32_e32 v5, 0x7f
	v_cmp_lt_u32_e32 vcc, s8, v4
	v_cndmask_b32_e32 v3, v3, v5, vcc
; %bb.1951:
	s_or_b64 exec, exec, s[2:3]
	v_lshrrev_b32_e32 v4, 24, v2
	s_movk_i32 s2, 0x80
	v_and_or_b32 v3, v4, s2, v3
	global_store_byte v[0:1], v3, off
.LBB14_1952:
	s_mov_b64 s[2:3], 0
.LBB14_1953:
	s_andn2_b64 vcc, exec, s[2:3]
	s_cbranch_vccnz .LBB14_1963
; %bb.1954:
	v_and_b32_e32 v4, 0x7fffffff, v2
	s_mov_b32 s2, 0x47800000
	v_cmp_gt_u32_e32 vcc, s2, v4
                                        ; implicit-def: $vgpr3
	s_and_saveexec_b64 s[2:3], vcc
	s_xor_b64 s[2:3], exec, s[2:3]
	s_cbranch_execz .LBB14_1960
; %bb.1955:
	s_mov_b32 s8, 0x387fffff
	v_cmp_lt_u32_e32 vcc, s8, v4
                                        ; implicit-def: $vgpr3
	s_and_saveexec_b64 s[8:9], vcc
	s_xor_b64 s[8:9], exec, s[8:9]
; %bb.1956:
	v_bfe_u32 v3, v2, 21, 1
	s_mov_b32 s10, 0x80fffff
	v_add3_u32 v3, v2, v3, s10
	v_lshrrev_b32_e32 v3, 21, v3
; %bb.1957:
	s_andn2_saveexec_b64 s[8:9], s[8:9]
; %bb.1958:
	s_mov_b32 s10, 0x43000000
	v_add_f32_e64 v3, |v2|, s10
; %bb.1959:
	s_or_b64 exec, exec, s[8:9]
                                        ; implicit-def: $vgpr4
.LBB14_1960:
	s_andn2_saveexec_b64 s[2:3], s[2:3]
; %bb.1961:
	s_mov_b32 s8, 0x7f800000
	v_mov_b32_e32 v3, 0x7c
	v_mov_b32_e32 v5, 0x7f
	v_cmp_lt_u32_e32 vcc, s8, v4
	v_cndmask_b32_e32 v3, v3, v5, vcc
; %bb.1962:
	s_or_b64 exec, exec, s[2:3]
	v_lshrrev_b32_e32 v4, 24, v2
	s_movk_i32 s2, 0x80
	v_and_or_b32 v3, v4, s2, v3
	global_store_byte v[0:1], v3, off
.LBB14_1963:
	s_mov_b64 s[2:3], 0
.LBB14_1964:
	s_andn2_b64 vcc, exec, s[2:3]
	s_mov_b64 s[2:3], 0
	s_cbranch_vccnz .LBB14_1971
; %bb.1965:
	s_cmp_gt_i32 s14, 14
	s_mov_b64 s[8:9], -1
	s_cbranch_scc0 .LBB14_1969
; %bb.1966:
	s_cmp_eq_u32 s14, 15
	s_mov_b64 s[0:1], -1
	s_cbranch_scc0 .LBB14_1968
; %bb.1967:
	v_bfe_u32 v3, v2, 16, 1
	s_movk_i32 s0, 0x7fff
	v_add3_u32 v3, v2, v3, s0
	v_cmp_o_f32_e32 vcc, v2, v2
	v_mov_b32_e32 v4, 0x7fc0
	v_cndmask_b32_sdwa v3, v4, v3, vcc dst_sel:DWORD dst_unused:UNUSED_PAD src0_sel:DWORD src1_sel:WORD_1
	global_store_short v[0:1], v3, off
	s_mov_b64 s[0:1], 0
.LBB14_1968:
	s_mov_b64 s[8:9], 0
.LBB14_1969:
	s_and_b64 vcc, exec, s[8:9]
	s_cbranch_vccz .LBB14_1971
; %bb.1970:
	s_cmp_lg_u32 s14, 11
	s_mov_b64 s[2:3], -1
	s_cselect_b64 s[0:1], -1, 0
.LBB14_1971:
	s_and_b64 vcc, exec, s[0:1]
	s_cbranch_vccnz .LBB14_2037
.LBB14_1972:
	s_mov_b64 s[0:1], 0
	s_branch .LBB14_1974
.LBB14_1973:
	s_mov_b64 s[0:1], 0
	s_mov_b64 s[2:3], 0
                                        ; implicit-def: $sgpr22
                                        ; implicit-def: $vgpr0_vgpr1
                                        ; implicit-def: $vgpr2
.LBB14_1974:
	s_andn2_b64 s[6:7], s[6:7], exec
	s_and_b64 s[8:9], s[16:17], exec
	s_and_b64 s[0:1], s[0:1], exec
	;; [unrolled: 1-line block ×3, first 2 shown]
	s_or_b64 s[6:7], s[6:7], s[8:9]
.LBB14_1975:
	s_or_b64 exec, exec, s[4:5]
	s_and_saveexec_b64 s[4:5], s[6:7]
	s_cbranch_execz .LBB14_1978
; %bb.1976:
	; divergent unreachable
	s_or_b64 exec, exec, s[4:5]
	s_and_saveexec_b64 s[4:5], s[2:3]
	s_xor_b64 s[2:3], exec, s[4:5]
	s_cbranch_execnz .LBB14_1979
.LBB14_1977:
	s_or_b64 exec, exec, s[2:3]
	s_and_saveexec_b64 s[2:3], s[0:1]
	s_cbranch_execnz .LBB14_1980
	s_branch .LBB14_2017
.LBB14_1978:
	s_or_b64 exec, exec, s[4:5]
	s_and_saveexec_b64 s[4:5], s[2:3]
	s_xor_b64 s[2:3], exec, s[4:5]
	s_cbranch_execz .LBB14_1977
.LBB14_1979:
	s_waitcnt vmcnt(0)
	v_cmp_neq_f32_e32 vcc, 0, v2
	v_cndmask_b32_e64 v3, 0, 1, vcc
	global_store_byte v[0:1], v3, off
	s_or_b64 exec, exec, s[2:3]
	s_and_saveexec_b64 s[2:3], s[0:1]
	s_cbranch_execz .LBB14_2017
.LBB14_1980:
	s_sext_i32_i16 s2, s22
	s_cmp_lt_i32 s2, 5
	s_mov_b64 s[0:1], -1
	s_cbranch_scc1 .LBB14_2001
; %bb.1981:
	s_cmp_lt_i32 s2, 8
	s_cbranch_scc1 .LBB14_1991
; %bb.1982:
	s_cmp_lt_i32 s2, 9
	s_cbranch_scc1 .LBB14_1988
; %bb.1983:
	s_cmp_gt_i32 s2, 9
	s_cbranch_scc0 .LBB14_1985
; %bb.1984:
	s_waitcnt vmcnt(0)
	v_cvt_f64_f32_e32 v[3:4], v2
	v_mov_b32_e32 v5, 0
	v_mov_b32_e32 v6, v5
	s_mov_b64 s[0:1], 0
	global_store_dwordx4 v[0:1], v[3:6], off
.LBB14_1985:
	s_andn2_b64 vcc, exec, s[0:1]
	s_cbranch_vccnz .LBB14_1987
; %bb.1986:
	s_waitcnt vmcnt(0)
	v_mov_b32_e32 v3, 0
	global_store_dwordx2 v[0:1], v[2:3], off
.LBB14_1987:
	s_mov_b64 s[0:1], 0
.LBB14_1988:
	s_andn2_b64 vcc, exec, s[0:1]
	s_cbranch_vccnz .LBB14_1990
; %bb.1989:
	s_waitcnt vmcnt(0)
	v_cvt_f16_f32_e32 v3, v2
	global_store_dword v[0:1], v3, off
.LBB14_1990:
	s_mov_b64 s[0:1], 0
.LBB14_1991:
	s_andn2_b64 vcc, exec, s[0:1]
	s_cbranch_vccnz .LBB14_2000
; %bb.1992:
	s_sext_i32_i16 s2, s22
	s_cmp_lt_i32 s2, 6
	s_mov_b64 s[0:1], -1
	s_cbranch_scc1 .LBB14_1998
; %bb.1993:
	s_cmp_gt_i32 s2, 6
	s_cbranch_scc0 .LBB14_1995
; %bb.1994:
	s_waitcnt vmcnt(0)
	v_cvt_f64_f32_e32 v[3:4], v2
	s_mov_b64 s[0:1], 0
	global_store_dwordx2 v[0:1], v[3:4], off
.LBB14_1995:
	s_andn2_b64 vcc, exec, s[0:1]
	s_cbranch_vccnz .LBB14_1997
; %bb.1996:
	s_waitcnt vmcnt(0)
	global_store_dword v[0:1], v2, off
.LBB14_1997:
	s_mov_b64 s[0:1], 0
.LBB14_1998:
	s_andn2_b64 vcc, exec, s[0:1]
	s_cbranch_vccnz .LBB14_2000
; %bb.1999:
	s_waitcnt vmcnt(0)
	v_cvt_f16_f32_e32 v3, v2
	global_store_short v[0:1], v3, off
.LBB14_2000:
	s_mov_b64 s[0:1], 0
.LBB14_2001:
	s_andn2_b64 vcc, exec, s[0:1]
	s_cbranch_vccnz .LBB14_2017
; %bb.2002:
	s_sext_i32_i16 s2, s22
	s_cmp_lt_i32 s2, 2
	s_mov_b64 s[0:1], -1
	s_cbranch_scc1 .LBB14_2012
; %bb.2003:
	s_cmp_lt_i32 s2, 3
	s_cbranch_scc1 .LBB14_2009
; %bb.2004:
	s_cmp_gt_i32 s2, 3
	s_cbranch_scc0 .LBB14_2006
; %bb.2005:
	s_waitcnt vmcnt(0)
	v_trunc_f32_e32 v3, v2
	s_mov_b32 s0, 0x2f800000
	v_mul_f32_e64 v4, |v3|, s0
	v_floor_f32_e32 v4, v4
	s_mov_b32 s0, 0xcf800000
	v_cvt_u32_f32_e32 v5, v4
	v_fma_f32 v4, v4, s0, |v3|
	v_cvt_u32_f32_e32 v4, v4
	v_ashrrev_i32_e32 v6, 31, v3
	v_xor_b32_e32 v5, v5, v6
	s_mov_b64 s[0:1], 0
	v_xor_b32_e32 v3, v4, v6
	v_sub_co_u32_e32 v3, vcc, v3, v6
	v_subb_co_u32_e32 v4, vcc, v5, v6, vcc
	global_store_dwordx2 v[0:1], v[3:4], off
.LBB14_2006:
	s_andn2_b64 vcc, exec, s[0:1]
	s_cbranch_vccnz .LBB14_2008
; %bb.2007:
	s_waitcnt vmcnt(0)
	v_cvt_i32_f32_e32 v3, v2
	global_store_dword v[0:1], v3, off
.LBB14_2008:
	s_mov_b64 s[0:1], 0
.LBB14_2009:
	s_andn2_b64 vcc, exec, s[0:1]
	s_cbranch_vccnz .LBB14_2011
; %bb.2010:
	s_waitcnt vmcnt(0)
	v_cvt_i32_f32_e32 v3, v2
	global_store_short v[0:1], v3, off
.LBB14_2011:
	s_mov_b64 s[0:1], 0
.LBB14_2012:
	s_andn2_b64 vcc, exec, s[0:1]
	s_cbranch_vccnz .LBB14_2017
; %bb.2013:
	s_sext_i32_i16 s0, s22
	s_cmp_gt_i32 s0, 0
	s_mov_b64 s[0:1], -1
	s_cbranch_scc0 .LBB14_2015
; %bb.2014:
	s_waitcnt vmcnt(0)
	v_cvt_i32_f32_e32 v3, v2
	s_mov_b64 s[0:1], 0
	global_store_byte v[0:1], v3, off
.LBB14_2015:
	s_andn2_b64 vcc, exec, s[0:1]
	s_cbranch_vccnz .LBB14_2017
; %bb.2016:
	s_waitcnt vmcnt(0)
	v_trunc_f32_e32 v2, v2
	s_mov_b32 s0, 0x2f800000
	v_mul_f32_e64 v3, |v2|, s0
	v_floor_f32_e32 v3, v3
	s_mov_b32 s0, 0xcf800000
	v_fma_f32 v3, v3, s0, |v2|
	v_cvt_u32_f32_e32 v3, v3
	v_ashrrev_i32_e32 v2, 31, v2
	v_xor_b32_e32 v3, v3, v2
	v_sub_u32_e32 v2, v3, v2
	global_store_byte v[0:1], v2, off
	s_endpgm
.LBB14_2017:
	s_endpgm
.LBB14_2018:
	s_mov_b64 s[2:3], 0
	s_mov_b64 s[0:1], -1
	s_branch .LBB14_1974
.LBB14_2019:
	s_trap 2
	s_or_b64 s[16:17], s[16:17], exec
	s_cbranch_execz .LBB14_1488
	s_branch .LBB14_1489
.LBB14_2020:
	s_andn2_saveexec_b64 s[20:21], s[20:21]
	s_cbranch_execz .LBB14_1568
.LBB14_2021:
	s_mov_b32 s15, 0x46000000
	v_add_f32_e64 v3, |v2|, s15
	v_and_b32_e32 v3, 0xff, v3
	v_cmp_ne_u32_e32 vcc, 0, v3
	s_andn2_b64 s[18:19], s[18:19], exec
	s_and_b64 s[24:25], vcc, exec
	s_or_b64 s[18:19], s[18:19], s[24:25]
	s_or_b64 exec, exec, s[20:21]
	v_mov_b32_e32 v8, 0
	s_and_saveexec_b64 s[20:21], s[18:19]
	s_cbranch_execnz .LBB14_1569
	s_branch .LBB14_1570
.LBB14_2022:
	s_trap 2
	s_or_b64 s[16:17], s[16:17], exec
	s_cbranch_execz .LBB14_1616
	s_branch .LBB14_1617
.LBB14_2023:
	s_andn2_saveexec_b64 s[18:19], s[18:19]
	s_cbranch_execz .LBB14_1581
.LBB14_2024:
	s_mov_b32 s15, 0x42800000
	v_add_f32_e64 v3, |v2|, s15
	v_and_b32_e32 v3, 0xff, v3
	v_cmp_ne_u32_e32 vcc, 0, v3
	s_andn2_b64 s[10:11], s[10:11], exec
	s_and_b64 s[20:21], vcc, exec
	s_or_b64 s[10:11], s[10:11], s[20:21]
	s_or_b64 exec, exec, s[18:19]
	v_mov_b32_e32 v8, 0
	s_and_saveexec_b64 s[18:19], s[10:11]
	s_cbranch_execnz .LBB14_1582
	s_branch .LBB14_1583
.LBB14_2025:
	s_andn2_saveexec_b64 s[18:19], s[18:19]
	s_cbranch_execz .LBB14_1687
.LBB14_2026:
	s_mov_b32 s21, 0x46000000
	v_add_f32_e64 v3, |v2|, s21
	v_and_b32_e32 v3, 0xff, v3
	v_cmp_ne_u32_e32 vcc, 0, v3
	s_andn2_b64 s[12:13], s[12:13], exec
	s_and_b64 s[24:25], vcc, exec
	s_or_b64 s[12:13], s[12:13], s[24:25]
	s_or_b64 exec, exec, s[18:19]
	v_mov_b32_e32 v5, 0
	s_and_saveexec_b64 s[18:19], s[12:13]
	s_cbranch_execnz .LBB14_1688
	s_branch .LBB14_1689
.LBB14_2027:
	s_trap 2
	s_or_b64 s[16:17], s[16:17], exec
	s_cbranch_execz .LBB14_1735
	s_branch .LBB14_1736
.LBB14_2028:
	s_andn2_saveexec_b64 s[12:13], s[12:13]
	s_cbranch_execz .LBB14_1700
.LBB14_2029:
	s_mov_b32 s18, 0x42800000
	v_add_f32_e64 v3, |v2|, s18
	v_and_b32_e32 v3, 0xff, v3
	v_cmp_ne_u32_e32 vcc, 0, v3
	s_andn2_b64 s[10:11], s[10:11], exec
	s_and_b64 s[18:19], vcc, exec
	s_or_b64 s[10:11], s[10:11], s[18:19]
	s_or_b64 exec, exec, s[12:13]
	v_mov_b32_e32 v5, 0
	s_and_saveexec_b64 s[12:13], s[10:11]
	s_cbranch_execnz .LBB14_1701
	s_branch .LBB14_1702
.LBB14_2030:
	s_andn2_saveexec_b64 s[18:19], s[18:19]
	s_cbranch_execz .LBB14_1806
.LBB14_2031:
	s_mov_b32 s21, 0x46000000
	v_add_f32_e64 v3, |v2|, s21
	v_and_b32_e32 v3, 0xff, v3
	v_cmp_ne_u32_e32 vcc, 0, v3
	s_andn2_b64 s[12:13], s[12:13], exec
	s_and_b64 s[24:25], vcc, exec
	s_or_b64 s[12:13], s[12:13], s[24:25]
	s_or_b64 exec, exec, s[18:19]
	v_mov_b32_e32 v5, 0
	s_and_saveexec_b64 s[18:19], s[12:13]
	s_cbranch_execnz .LBB14_1807
	s_branch .LBB14_1808
.LBB14_2032:
	s_trap 2
	s_or_b64 s[16:17], s[16:17], exec
	s_cbranch_execz .LBB14_1854
	s_branch .LBB14_1855
.LBB14_2033:
	s_andn2_saveexec_b64 s[12:13], s[12:13]
	s_cbranch_execz .LBB14_1819
.LBB14_2034:
	s_mov_b32 s18, 0x42800000
	v_add_f32_e64 v3, |v2|, s18
	v_and_b32_e32 v3, 0xff, v3
	v_cmp_ne_u32_e32 vcc, 0, v3
	s_andn2_b64 s[10:11], s[10:11], exec
	s_and_b64 s[18:19], vcc, exec
	s_or_b64 s[10:11], s[10:11], s[18:19]
	s_or_b64 exec, exec, s[12:13]
	v_mov_b32_e32 v5, 0
	s_and_saveexec_b64 s[12:13], s[10:11]
	s_cbranch_execnz .LBB14_1820
	s_branch .LBB14_1821
.LBB14_2035:
	s_andn2_saveexec_b64 s[12:13], s[12:13]
	s_cbranch_execz .LBB14_1926
.LBB14_2036:
	s_mov_b32 s15, 0x46000000
	v_add_f32_e64 v3, |v2|, s15
	v_and_b32_e32 v3, 0xff, v3
	v_cmp_ne_u32_e32 vcc, 0, v3
	s_andn2_b64 s[10:11], s[10:11], exec
	s_and_b64 s[18:19], vcc, exec
	s_or_b64 s[10:11], s[10:11], s[18:19]
	s_or_b64 exec, exec, s[12:13]
	v_mov_b32_e32 v4, 0
	s_and_saveexec_b64 s[12:13], s[10:11]
	s_cbranch_execnz .LBB14_1927
	s_branch .LBB14_1928
.LBB14_2037:
	s_mov_b64 s[2:3], 0
	s_or_b64 s[16:17], s[16:17], exec
	s_trap 2
	s_branch .LBB14_1972
.LBB14_2038:
	s_andn2_saveexec_b64 s[10:11], s[10:11]
	s_cbranch_execz .LBB14_1938
.LBB14_2039:
	s_mov_b32 s12, 0x42800000
	v_add_f32_e64 v3, |v2|, s12
	v_and_b32_e32 v3, 0xff, v3
	v_cmp_ne_u32_e32 vcc, 0, v3
	s_andn2_b64 s[8:9], s[8:9], exec
	s_and_b64 s[12:13], vcc, exec
	s_or_b64 s[8:9], s[8:9], s[12:13]
	s_or_b64 exec, exec, s[10:11]
	v_mov_b32_e32 v4, 0
	s_and_saveexec_b64 s[10:11], s[8:9]
	s_cbranch_execnz .LBB14_1939
	s_branch .LBB14_1940
	.section	.rodata,"a",@progbits
	.p2align	6, 0x0
	.amdhsa_kernel _ZN2at6native32elementwise_kernel_manual_unrollILi128ELi4EZNS0_15gpu_kernel_implIZZZNS0_12_GLOBAL__N_117hardshrink_kernelERNS_18TensorIteratorBaseERKN3c106ScalarEENKUlvE_clEvENKUlvE0_clEvEUlfE_EEvS5_RKT_EUlibE_EEviT1_
		.amdhsa_group_segment_fixed_size 0
		.amdhsa_private_segment_fixed_size 0
		.amdhsa_kernarg_size 40
		.amdhsa_user_sgpr_count 6
		.amdhsa_user_sgpr_private_segment_buffer 1
		.amdhsa_user_sgpr_dispatch_ptr 0
		.amdhsa_user_sgpr_queue_ptr 0
		.amdhsa_user_sgpr_kernarg_segment_ptr 1
		.amdhsa_user_sgpr_dispatch_id 0
		.amdhsa_user_sgpr_flat_scratch_init 0
		.amdhsa_user_sgpr_private_segment_size 0
		.amdhsa_uses_dynamic_stack 0
		.amdhsa_system_sgpr_private_segment_wavefront_offset 0
		.amdhsa_system_sgpr_workgroup_id_x 1
		.amdhsa_system_sgpr_workgroup_id_y 0
		.amdhsa_system_sgpr_workgroup_id_z 0
		.amdhsa_system_sgpr_workgroup_info 0
		.amdhsa_system_vgpr_workitem_id 0
		.amdhsa_next_free_vgpr 12
		.amdhsa_next_free_sgpr 45
		.amdhsa_reserve_vcc 1
		.amdhsa_reserve_flat_scratch 0
		.amdhsa_float_round_mode_32 0
		.amdhsa_float_round_mode_16_64 0
		.amdhsa_float_denorm_mode_32 3
		.amdhsa_float_denorm_mode_16_64 3
		.amdhsa_dx10_clamp 1
		.amdhsa_ieee_mode 1
		.amdhsa_fp16_overflow 0
		.amdhsa_exception_fp_ieee_invalid_op 0
		.amdhsa_exception_fp_denorm_src 0
		.amdhsa_exception_fp_ieee_div_zero 0
		.amdhsa_exception_fp_ieee_overflow 0
		.amdhsa_exception_fp_ieee_underflow 0
		.amdhsa_exception_fp_ieee_inexact 0
		.amdhsa_exception_int_div_zero 0
	.end_amdhsa_kernel
	.section	.text._ZN2at6native32elementwise_kernel_manual_unrollILi128ELi4EZNS0_15gpu_kernel_implIZZZNS0_12_GLOBAL__N_117hardshrink_kernelERNS_18TensorIteratorBaseERKN3c106ScalarEENKUlvE_clEvENKUlvE0_clEvEUlfE_EEvS5_RKT_EUlibE_EEviT1_,"axG",@progbits,_ZN2at6native32elementwise_kernel_manual_unrollILi128ELi4EZNS0_15gpu_kernel_implIZZZNS0_12_GLOBAL__N_117hardshrink_kernelERNS_18TensorIteratorBaseERKN3c106ScalarEENKUlvE_clEvENKUlvE0_clEvEUlfE_EEvS5_RKT_EUlibE_EEviT1_,comdat
.Lfunc_end14:
	.size	_ZN2at6native32elementwise_kernel_manual_unrollILi128ELi4EZNS0_15gpu_kernel_implIZZZNS0_12_GLOBAL__N_117hardshrink_kernelERNS_18TensorIteratorBaseERKN3c106ScalarEENKUlvE_clEvENKUlvE0_clEvEUlfE_EEvS5_RKT_EUlibE_EEviT1_, .Lfunc_end14-_ZN2at6native32elementwise_kernel_manual_unrollILi128ELi4EZNS0_15gpu_kernel_implIZZZNS0_12_GLOBAL__N_117hardshrink_kernelERNS_18TensorIteratorBaseERKN3c106ScalarEENKUlvE_clEvENKUlvE0_clEvEUlfE_EEvS5_RKT_EUlibE_EEviT1_
                                        ; -- End function
	.set _ZN2at6native32elementwise_kernel_manual_unrollILi128ELi4EZNS0_15gpu_kernel_implIZZZNS0_12_GLOBAL__N_117hardshrink_kernelERNS_18TensorIteratorBaseERKN3c106ScalarEENKUlvE_clEvENKUlvE0_clEvEUlfE_EEvS5_RKT_EUlibE_EEviT1_.num_vgpr, 12
	.set _ZN2at6native32elementwise_kernel_manual_unrollILi128ELi4EZNS0_15gpu_kernel_implIZZZNS0_12_GLOBAL__N_117hardshrink_kernelERNS_18TensorIteratorBaseERKN3c106ScalarEENKUlvE_clEvENKUlvE0_clEvEUlfE_EEvS5_RKT_EUlibE_EEviT1_.num_agpr, 0
	.set _ZN2at6native32elementwise_kernel_manual_unrollILi128ELi4EZNS0_15gpu_kernel_implIZZZNS0_12_GLOBAL__N_117hardshrink_kernelERNS_18TensorIteratorBaseERKN3c106ScalarEENKUlvE_clEvENKUlvE0_clEvEUlfE_EEvS5_RKT_EUlibE_EEviT1_.numbered_sgpr, 45
	.set _ZN2at6native32elementwise_kernel_manual_unrollILi128ELi4EZNS0_15gpu_kernel_implIZZZNS0_12_GLOBAL__N_117hardshrink_kernelERNS_18TensorIteratorBaseERKN3c106ScalarEENKUlvE_clEvENKUlvE0_clEvEUlfE_EEvS5_RKT_EUlibE_EEviT1_.num_named_barrier, 0
	.set _ZN2at6native32elementwise_kernel_manual_unrollILi128ELi4EZNS0_15gpu_kernel_implIZZZNS0_12_GLOBAL__N_117hardshrink_kernelERNS_18TensorIteratorBaseERKN3c106ScalarEENKUlvE_clEvENKUlvE0_clEvEUlfE_EEvS5_RKT_EUlibE_EEviT1_.private_seg_size, 0
	.set _ZN2at6native32elementwise_kernel_manual_unrollILi128ELi4EZNS0_15gpu_kernel_implIZZZNS0_12_GLOBAL__N_117hardshrink_kernelERNS_18TensorIteratorBaseERKN3c106ScalarEENKUlvE_clEvENKUlvE0_clEvEUlfE_EEvS5_RKT_EUlibE_EEviT1_.uses_vcc, 1
	.set _ZN2at6native32elementwise_kernel_manual_unrollILi128ELi4EZNS0_15gpu_kernel_implIZZZNS0_12_GLOBAL__N_117hardshrink_kernelERNS_18TensorIteratorBaseERKN3c106ScalarEENKUlvE_clEvENKUlvE0_clEvEUlfE_EEvS5_RKT_EUlibE_EEviT1_.uses_flat_scratch, 0
	.set _ZN2at6native32elementwise_kernel_manual_unrollILi128ELi4EZNS0_15gpu_kernel_implIZZZNS0_12_GLOBAL__N_117hardshrink_kernelERNS_18TensorIteratorBaseERKN3c106ScalarEENKUlvE_clEvENKUlvE0_clEvEUlfE_EEvS5_RKT_EUlibE_EEviT1_.has_dyn_sized_stack, 0
	.set _ZN2at6native32elementwise_kernel_manual_unrollILi128ELi4EZNS0_15gpu_kernel_implIZZZNS0_12_GLOBAL__N_117hardshrink_kernelERNS_18TensorIteratorBaseERKN3c106ScalarEENKUlvE_clEvENKUlvE0_clEvEUlfE_EEvS5_RKT_EUlibE_EEviT1_.has_recursion, 0
	.set _ZN2at6native32elementwise_kernel_manual_unrollILi128ELi4EZNS0_15gpu_kernel_implIZZZNS0_12_GLOBAL__N_117hardshrink_kernelERNS_18TensorIteratorBaseERKN3c106ScalarEENKUlvE_clEvENKUlvE0_clEvEUlfE_EEvS5_RKT_EUlibE_EEviT1_.has_indirect_call, 0
	.section	.AMDGPU.csdata,"",@progbits
; Kernel info:
; codeLenInByte = 32324
; TotalNumSgprs: 49
; NumVgprs: 12
; ScratchSize: 0
; MemoryBound: 1
; FloatMode: 240
; IeeeMode: 1
; LDSByteSize: 0 bytes/workgroup (compile time only)
; SGPRBlocks: 6
; VGPRBlocks: 2
; NumSGPRsForWavesPerEU: 49
; NumVGPRsForWavesPerEU: 12
; Occupancy: 10
; WaveLimiterHint : 0
; COMPUTE_PGM_RSRC2:SCRATCH_EN: 0
; COMPUTE_PGM_RSRC2:USER_SGPR: 6
; COMPUTE_PGM_RSRC2:TRAP_HANDLER: 0
; COMPUTE_PGM_RSRC2:TGID_X_EN: 1
; COMPUTE_PGM_RSRC2:TGID_Y_EN: 0
; COMPUTE_PGM_RSRC2:TGID_Z_EN: 0
; COMPUTE_PGM_RSRC2:TIDIG_COMP_CNT: 0
	.section	.text._ZN2at6native32elementwise_kernel_manual_unrollILi128ELi4EZNS0_15gpu_kernel_implIZZZNS0_12_GLOBAL__N_117hardshrink_kernelERNS_18TensorIteratorBaseERKN3c106ScalarEENKUlvE_clEvENKUlvE0_clEvEUlfE_EEvS5_RKT_EUlibE0_EEviT1_,"axG",@progbits,_ZN2at6native32elementwise_kernel_manual_unrollILi128ELi4EZNS0_15gpu_kernel_implIZZZNS0_12_GLOBAL__N_117hardshrink_kernelERNS_18TensorIteratorBaseERKN3c106ScalarEENKUlvE_clEvENKUlvE0_clEvEUlfE_EEvS5_RKT_EUlibE0_EEviT1_,comdat
	.globl	_ZN2at6native32elementwise_kernel_manual_unrollILi128ELi4EZNS0_15gpu_kernel_implIZZZNS0_12_GLOBAL__N_117hardshrink_kernelERNS_18TensorIteratorBaseERKN3c106ScalarEENKUlvE_clEvENKUlvE0_clEvEUlfE_EEvS5_RKT_EUlibE0_EEviT1_ ; -- Begin function _ZN2at6native32elementwise_kernel_manual_unrollILi128ELi4EZNS0_15gpu_kernel_implIZZZNS0_12_GLOBAL__N_117hardshrink_kernelERNS_18TensorIteratorBaseERKN3c106ScalarEENKUlvE_clEvENKUlvE0_clEvEUlfE_EEvS5_RKT_EUlibE0_EEviT1_
	.p2align	8
	.type	_ZN2at6native32elementwise_kernel_manual_unrollILi128ELi4EZNS0_15gpu_kernel_implIZZZNS0_12_GLOBAL__N_117hardshrink_kernelERNS_18TensorIteratorBaseERKN3c106ScalarEENKUlvE_clEvENKUlvE0_clEvEUlfE_EEvS5_RKT_EUlibE0_EEviT1_,@function
_ZN2at6native32elementwise_kernel_manual_unrollILi128ELi4EZNS0_15gpu_kernel_implIZZZNS0_12_GLOBAL__N_117hardshrink_kernelERNS_18TensorIteratorBaseERKN3c106ScalarEENKUlvE_clEvENKUlvE0_clEvEUlfE_EEvS5_RKT_EUlibE0_EEviT1_: ; @_ZN2at6native32elementwise_kernel_manual_unrollILi128ELi4EZNS0_15gpu_kernel_implIZZZNS0_12_GLOBAL__N_117hardshrink_kernelERNS_18TensorIteratorBaseERKN3c106ScalarEENKUlvE_clEvENKUlvE0_clEvEUlfE_EEvS5_RKT_EUlibE0_EEviT1_
; %bb.0:
	s_load_dword s72, s[4:5], 0x0
	s_load_dword s33, s[4:5], 0x8
	s_add_u32 s34, s4, 8
	s_addc_u32 s35, s5, 0
	v_lshl_or_b32 v8, s6, 9, v0
	v_or_b32_e32 v15, 0x180, v8
	s_waitcnt lgkmcnt(0)
	s_add_i32 s74, s33, -1
	s_cmp_gt_u32 s74, 1
	v_cmp_le_i32_e32 vcc, s72, v15
	s_cselect_b64 s[40:41], -1, 0
	s_mov_b64 s[6:7], 0
	s_mov_b64 s[28:29], 0
	s_and_saveexec_b64 s[0:1], vcc
	s_xor_b64 s[42:43], exec, s[0:1]
	s_cbranch_execz .LBB15_1086
; %bb.1:
	s_load_dwordx4 s[28:31], s[34:35], 0x4
	s_load_dwordx2 s[46:47], s[34:35], 0x14
	s_load_dwordx2 s[44:45], s[34:35], 0x158
	s_cmp_lg_u32 s33, 0
	s_load_dwordx4 s[36:39], s[34:35], 0xc4
	s_load_dwordx4 s[24:27], s[34:35], 0x148
	s_cselect_b64 s[52:53], -1, 0
	s_add_u32 s50, s34, 0xc4
	s_addc_u32 s51, s35, 0
	s_min_u32 s76, s74, 15
	s_cmp_gt_u32 s33, 1
	s_cselect_b64 s[48:49], -1, 0
	s_waitcnt lgkmcnt(0)
	s_bfe_u32 s75, s45, 0x80008
	v_cmp_gt_i32_e32 vcc, s72, v8
	s_mov_b64 s[2:3], -1
	s_mov_b64 s[62:63], 0
	s_mov_b64 s[56:57], 0
	;; [unrolled: 1-line block ×3, first 2 shown]
	s_and_saveexec_b64 s[58:59], vcc
	s_cbranch_execz .LBB15_266
; %bb.2:
	s_andn2_b64 vcc, exec, s[40:41]
	s_cbranch_vccnz .LBB15_7
; %bb.3:
	s_andn2_b64 vcc, exec, s[52:53]
	s_cbranch_vccnz .LBB15_8
; %bb.4:
	s_add_i32 s61, s76, 1
	s_cmp_eq_u32 s74, 2
	s_cbranch_scc1 .LBB15_9
; %bb.5:
	s_and_b32 s60, s61, 28
	v_mov_b32_e32 v2, 0
	s_mov_b32 s64, 0
	s_mov_b64 s[54:55], s[34:35]
	s_mov_b64 s[56:57], s[50:51]
	v_mov_b32_e32 v0, 0
	v_mov_b32_e32 v1, v8
.LBB15_6:                               ; =>This Inner Loop Header: Depth=1
	s_load_dwordx8 s[16:23], s[54:55], 0x4
	s_load_dwordx4 s[0:3], s[54:55], 0x24
	s_load_dwordx8 s[8:15], s[56:57], 0x0
	s_add_u32 s54, s54, 48
	s_addc_u32 s55, s55, 0
	s_waitcnt lgkmcnt(0)
	v_mul_hi_u32 v3, s17, v1
	s_add_i32 s64, s64, 4
	s_add_u32 s56, s56, 32
	s_addc_u32 s57, s57, 0
	v_add_u32_e32 v3, v1, v3
	v_lshrrev_b32_e32 v3, s18, v3
	v_mul_lo_u32 v4, v3, s16
	v_mul_hi_u32 v5, s20, v3
	s_cmp_lg_u32 s60, s64
	v_sub_u32_e32 v1, v1, v4
	v_add_u32_e32 v4, v3, v5
	v_mul_lo_u32 v5, v1, s8
	v_mul_lo_u32 v6, v1, s9
	v_lshrrev_b32_e32 v1, s21, v4
	v_mul_lo_u32 v4, v1, s19
	v_mul_hi_u32 v7, s23, v1
	v_sub_u32_e32 v3, v3, v4
	v_add_u32_e32 v4, v1, v7
	v_lshrrev_b32_e32 v4, s0, v4
	v_mul_hi_u32 v9, s2, v4
	v_mul_lo_u32 v10, v4, s22
	v_mul_lo_u32 v7, v3, s10
	v_mul_lo_u32 v3, v3, s11
	v_sub_u32_e32 v10, v1, v10
	v_add_u32_e32 v1, v4, v9
	v_lshrrev_b32_e32 v1, s3, v1
	v_mul_lo_u32 v9, v1, s1
	v_mul_lo_u32 v11, v10, s12
	;; [unrolled: 1-line block ×3, first 2 shown]
	v_add3_u32 v0, v5, v0, v7
	v_sub_u32_e32 v4, v4, v9
	v_mul_lo_u32 v9, v4, s14
	v_mul_lo_u32 v4, v4, s15
	v_add3_u32 v2, v6, v2, v3
	v_add3_u32 v0, v11, v0, v9
	;; [unrolled: 1-line block ×3, first 2 shown]
	s_cbranch_scc1 .LBB15_6
	s_branch .LBB15_10
.LBB15_7:
                                        ; implicit-def: $vgpr0
                                        ; implicit-def: $vgpr2
	s_branch .LBB15_14
.LBB15_8:
	v_mov_b32_e32 v0, 0
	v_mov_b32_e32 v2, 0
	s_branch .LBB15_13
.LBB15_9:
	s_mov_b32 s60, 0
	v_mov_b32_e32 v0, 0
	v_mov_b32_e32 v2, 0
	;; [unrolled: 1-line block ×3, first 2 shown]
.LBB15_10:
	s_and_b32 s8, s61, 3
	s_cmp_eq_u32 s8, 0
	s_cbranch_scc1 .LBB15_13
; %bb.11:
	s_lshl_b32 s0, s60, 3
	s_add_u32 s0, s34, s0
	s_addc_u32 s1, s35, 0
	s_add_u32 s0, s0, 0xc4
	s_addc_u32 s1, s1, 0
	s_mul_i32 s2, s60, 12
	s_add_u32 s2, s34, s2
	s_addc_u32 s3, s35, 0
.LBB15_12:                              ; =>This Inner Loop Header: Depth=1
	s_load_dwordx2 s[10:11], s[2:3], 0x4
	s_load_dword s9, s[2:3], 0xc
	s_load_dwordx2 s[12:13], s[0:1], 0x0
	s_add_u32 s2, s2, 12
	s_addc_u32 s3, s3, 0
	s_waitcnt lgkmcnt(0)
	v_mul_hi_u32 v3, s11, v1
	s_add_u32 s0, s0, 8
	s_addc_u32 s1, s1, 0
	s_add_i32 s8, s8, -1
	v_add_u32_e32 v3, v1, v3
	v_lshrrev_b32_e32 v4, s9, v3
	v_mul_lo_u32 v3, v4, s10
	s_cmp_lg_u32 s8, 0
	v_sub_u32_e32 v3, v1, v3
	v_mad_u64_u32 v[0:1], s[10:11], v3, s12, v[0:1]
	v_mad_u64_u32 v[2:3], s[10:11], v3, s13, v[2:3]
	v_mov_b32_e32 v1, v4
	s_cbranch_scc1 .LBB15_12
.LBB15_13:
	s_cbranch_execnz .LBB15_16
.LBB15_14:
	v_mul_hi_u32 v0, s29, v8
	s_andn2_b64 vcc, exec, s[48:49]
	v_add_u32_e32 v0, v8, v0
	v_lshrrev_b32_e32 v1, s30, v0
	v_mul_lo_u32 v0, v1, s28
	v_sub_u32_e32 v2, v8, v0
	v_mul_lo_u32 v0, v2, s36
	v_mul_lo_u32 v2, v2, s37
	s_cbranch_vccnz .LBB15_16
; %bb.15:
	v_mul_hi_u32 v3, s46, v1
	v_add_u32_e32 v3, v1, v3
	v_lshrrev_b32_e32 v3, s47, v3
	v_mul_lo_u32 v3, v3, s31
	v_sub_u32_e32 v3, v1, v3
	v_mad_u64_u32 v[0:1], s[0:1], v3, s38, v[0:1]
	v_mad_u64_u32 v[2:3], s[0:1], v3, s39, v[2:3]
.LBB15_16:
	v_mov_b32_e32 v3, s27
	s_and_b32 s12, 0xffff, s75
	v_add_co_u32_e32 v1, vcc, s26, v2
	s_cmp_lt_i32 s12, 11
	v_addc_co_u32_e32 v2, vcc, 0, v3, vcc
	s_cbranch_scc1 .LBB15_23
; %bb.17:
	s_cmp_gt_i32 s12, 25
	s_cbranch_scc0 .LBB15_32
; %bb.18:
	s_cmp_gt_i32 s12, 28
	s_cbranch_scc0 .LBB15_35
	;; [unrolled: 3-line block ×4, first 2 shown]
; %bb.21:
	s_cmp_eq_u32 s12, 46
	s_mov_b64 s[8:9], 0
	s_cbranch_scc0 .LBB15_41
; %bb.22:
	global_load_dword v3, v[1:2], off
	s_mov_b64 s[0:1], -1
	s_mov_b64 s[2:3], 0
	s_waitcnt vmcnt(0)
	v_lshlrev_b32_e32 v3, 16, v3
	s_branch .LBB15_43
.LBB15_23:
	s_mov_b64 s[2:3], 0
                                        ; implicit-def: $vgpr3
	s_mov_b64 s[0:1], 0
	s_cbranch_execnz .LBB15_216
.LBB15_24:
	s_andn2_b64 vcc, exec, s[0:1]
	s_cbranch_vccnz .LBB15_263
.LBB15_25:
	s_waitcnt vmcnt(0)
	v_cmp_nge_f32_e64 s[0:1], v3, -s44
	v_cmp_nge_f32_e32 vcc, s44, v3
	s_or_b64 vcc, s[0:1], vcc
	v_cndmask_b32_e32 v2, 0, v3, vcc
	v_mov_b32_e32 v1, s25
	s_and_b32 s14, s45, 0xff
	v_add_co_u32_e32 v0, vcc, s24, v0
	s_cmp_lt_i32 s14, 11
	v_addc_co_u32_e32 v1, vcc, 0, v1, vcc
	s_cbranch_scc1 .LBB15_33
; %bb.26:
	s_and_b32 s15, 0xffff, s14
	s_cmp_gt_i32 s15, 25
	s_cbranch_scc0 .LBB15_36
; %bb.27:
	s_cmp_gt_i32 s15, 28
	s_cbranch_scc0 .LBB15_38
; %bb.28:
	;; [unrolled: 3-line block ×4, first 2 shown]
	s_mov_b64 s[10:11], 0
	s_mov_b64 s[0:1], -1
	s_cmp_eq_u32 s15, 46
	s_mov_b64 s[8:9], 0
	s_cbranch_scc0 .LBB15_47
; %bb.31:
	v_bfe_u32 v3, v2, 16, 1
	s_movk_i32 s0, 0x7fff
	v_add3_u32 v3, v2, v3, s0
	v_cmp_o_f32_e32 vcc, v2, v2
	v_mov_b32_e32 v4, 0x7fc0
	v_cndmask_b32_sdwa v3, v4, v3, vcc dst_sel:DWORD dst_unused:UNUSED_PAD src0_sel:DWORD src1_sel:WORD_1
	global_store_dword v[0:1], v3, off
	s_mov_b64 s[8:9], -1
	s_mov_b64 s[0:1], 0
	s_branch .LBB15_47
.LBB15_32:
	s_mov_b64 s[2:3], 0
	s_mov_b64 s[0:1], 0
                                        ; implicit-def: $vgpr3
	s_cbranch_execnz .LBB15_181
	s_branch .LBB15_215
.LBB15_33:
	s_mov_b64 s[0:1], 0
	s_mov_b64 s[8:9], 0
	s_cbranch_execnz .LBB15_116
.LBB15_34:
	s_andn2_b64 vcc, exec, s[8:9]
	s_cbranch_vccnz .LBB15_264
	s_branch .LBB15_154
.LBB15_35:
	s_mov_b64 s[8:9], -1
	s_mov_b64 s[2:3], 0
	s_mov_b64 s[0:1], 0
                                        ; implicit-def: $vgpr3
	s_branch .LBB15_162
.LBB15_36:
	s_mov_b64 s[10:11], -1
	s_mov_b64 s[0:1], 0
	s_mov_b64 s[8:9], 0
	s_branch .LBB15_74
.LBB15_37:
	s_mov_b64 s[8:9], -1
	s_mov_b64 s[2:3], 0
	s_mov_b64 s[0:1], 0
                                        ; implicit-def: $vgpr3
	s_branch .LBB15_157
.LBB15_38:
	s_mov_b64 s[10:11], -1
	s_mov_b64 s[0:1], 0
	s_mov_b64 s[8:9], 0
	s_branch .LBB15_57
.LBB15_39:
	s_mov_b64 s[8:9], -1
	s_mov_b64 s[2:3], 0
	s_branch .LBB15_42
.LBB15_40:
	s_mov_b64 s[10:11], -1
	s_mov_b64 s[0:1], 0
	s_mov_b64 s[8:9], 0
	s_branch .LBB15_53
.LBB15_41:
	s_mov_b64 s[2:3], -1
.LBB15_42:
	s_mov_b64 s[0:1], 0
                                        ; implicit-def: $vgpr3
.LBB15_43:
	s_and_b64 vcc, exec, s[8:9]
	s_cbranch_vccz .LBB15_156
; %bb.44:
	s_cmp_eq_u32 s12, 44
	s_cbranch_scc0 .LBB15_155
; %bb.45:
	global_load_ubyte v3, v[1:2], off
	s_movk_i32 s2, 0xff
	v_mov_b32_e32 v4, 0x7f800001
	v_mov_b32_e32 v5, 0x400000
	s_mov_b64 s[0:1], -1
	s_waitcnt vmcnt(0)
	v_lshlrev_b32_e32 v6, 23, v3
	v_cmp_ne_u32_e32 vcc, s2, v3
	v_cndmask_b32_e32 v4, v4, v6, vcc
	v_cmp_ne_u32_e32 vcc, 0, v3
	v_cndmask_b32_e32 v3, v5, v4, vcc
	s_mov_b64 s[2:3], 0
	s_branch .LBB15_156
.LBB15_46:
	s_mov_b64 s[10:11], -1
	s_mov_b64 s[0:1], 0
	s_mov_b64 s[8:9], 0
.LBB15_47:
	s_and_b64 vcc, exec, s[10:11]
	s_cbranch_vccz .LBB15_52
; %bb.48:
	s_cmp_eq_u32 s15, 44
	s_mov_b64 s[0:1], -1
	s_cbranch_scc0 .LBB15_52
; %bb.49:
	v_bfe_u32 v3, v2, 23, 8
	s_movk_i32 s0, 0xff
	v_cmp_ne_u32_e32 vcc, s0, v3
	v_mov_b32_e32 v4, 0xff
	s_and_saveexec_b64 s[8:9], vcc
; %bb.50:
	s_mov_b32 s0, 0x3fffff
	v_and_b32_e32 v5, 0x400000, v2
	v_and_or_b32 v3, v2, s0, v3
	v_cmp_ne_u32_e32 vcc, 0, v5
	v_cmp_ne_u32_e64 s[0:1], 0, v3
	s_and_b64 s[0:1], vcc, s[0:1]
	v_lshrrev_b32_e32 v4, 23, v2
	v_cndmask_b32_e64 v3, 0, 1, s[0:1]
	v_add_u32_e32 v4, v4, v3
; %bb.51:
	s_or_b64 exec, exec, s[8:9]
	s_mov_b64 s[8:9], -1
	s_mov_b64 s[0:1], 0
	global_store_byte v[0:1], v4, off
.LBB15_52:
	s_mov_b64 s[10:11], 0
.LBB15_53:
	s_and_b64 vcc, exec, s[10:11]
	s_cbranch_vccz .LBB15_56
; %bb.54:
	s_cmp_eq_u32 s15, 29
	s_mov_b64 s[0:1], -1
	s_cbranch_scc0 .LBB15_56
; %bb.55:
	v_trunc_f32_e32 v3, v2
	v_mul_f32_e32 v4, 0x2f800000, v3
	v_floor_f32_e32 v5, v4
	v_fmac_f32_e32 v3, 0xcf800000, v5
	v_cvt_u32_f32_e32 v4, v5
	v_cvt_u32_f32_e32 v3, v3
	s_mov_b64 s[8:9], -1
	s_mov_b64 s[0:1], 0
	s_mov_b64 s[10:11], 0
	global_store_dwordx2 v[0:1], v[3:4], off
	s_branch .LBB15_57
.LBB15_56:
	s_mov_b64 s[10:11], 0
.LBB15_57:
	s_and_b64 vcc, exec, s[10:11]
	s_cbranch_vccz .LBB15_73
; %bb.58:
	s_cmp_lt_i32 s15, 27
	s_mov_b64 s[8:9], -1
	s_cbranch_scc1 .LBB15_64
; %bb.59:
	v_cvt_u32_f32_e32 v3, v2
	s_cmp_gt_i32 s15, 27
	s_cbranch_scc0 .LBB15_61
; %bb.60:
	s_mov_b64 s[8:9], 0
	global_store_dword v[0:1], v3, off
.LBB15_61:
	s_andn2_b64 vcc, exec, s[8:9]
	s_cbranch_vccnz .LBB15_63
; %bb.62:
	global_store_short v[0:1], v3, off
.LBB15_63:
	s_mov_b64 s[8:9], 0
.LBB15_64:
	s_andn2_b64 vcc, exec, s[8:9]
	s_cbranch_vccnz .LBB15_72
; %bb.65:
	v_and_b32_e32 v3, 0x7fffffff, v2
	s_mov_b32 s8, 0x43800000
	v_cmp_gt_u32_e32 vcc, s8, v3
	v_mov_b32_e32 v4, 0x80
	s_and_saveexec_b64 s[8:9], vcc
	s_cbranch_execz .LBB15_71
; %bb.66:
	s_mov_b32 s10, 0x3bffffff
	v_cmp_lt_u32_e32 vcc, s10, v3
	s_mov_b64 s[10:11], 0
                                        ; implicit-def: $vgpr3
	s_and_saveexec_b64 s[12:13], vcc
	s_xor_b64 s[12:13], exec, s[12:13]
	s_cbranch_execz .LBB15_307
; %bb.67:
	v_bfe_u32 v3, v2, 20, 1
	s_mov_b32 s16, 0x487ffff
	v_add3_u32 v3, v2, v3, s16
	s_mov_b64 s[10:11], exec
	v_lshrrev_b32_e32 v3, 20, v3
	s_andn2_saveexec_b64 s[12:13], s[12:13]
	s_cbranch_execnz .LBB15_308
.LBB15_68:
	s_or_b64 exec, exec, s[12:13]
	v_mov_b32_e32 v4, 0
	s_and_saveexec_b64 s[12:13], s[10:11]
.LBB15_69:
	v_lshrrev_b32_e32 v4, 24, v2
	s_movk_i32 s10, 0x80
	v_and_or_b32 v4, v4, s10, v3
.LBB15_70:
	s_or_b64 exec, exec, s[12:13]
.LBB15_71:
	s_or_b64 exec, exec, s[8:9]
	global_store_byte v[0:1], v4, off
.LBB15_72:
	s_mov_b64 s[8:9], -1
.LBB15_73:
	s_mov_b64 s[10:11], 0
.LBB15_74:
	s_and_b64 vcc, exec, s[10:11]
	s_cbranch_vccz .LBB15_115
; %bb.75:
	s_cmp_gt_i32 s15, 22
	s_mov_b64 s[10:11], -1
	s_cbranch_scc0 .LBB15_107
; %bb.76:
	s_cmp_lt_i32 s15, 24
	s_mov_b64 s[8:9], -1
	s_cbranch_scc1 .LBB15_96
; %bb.77:
	s_cmp_gt_i32 s15, 24
	s_cbranch_scc0 .LBB15_85
; %bb.78:
	v_and_b32_e32 v3, 0x7fffffff, v2
	s_mov_b32 s8, 0x47800000
	v_cmp_gt_u32_e32 vcc, s8, v3
	v_mov_b32_e32 v4, 0x80
	s_and_saveexec_b64 s[8:9], vcc
	s_cbranch_execz .LBB15_84
; %bb.79:
	s_mov_b32 s10, 0x37ffffff
	v_cmp_lt_u32_e32 vcc, s10, v3
	s_mov_b64 s[10:11], 0
                                        ; implicit-def: $vgpr3
	s_and_saveexec_b64 s[12:13], vcc
	s_xor_b64 s[12:13], exec, s[12:13]
	s_cbranch_execz .LBB15_311
; %bb.80:
	v_bfe_u32 v3, v2, 21, 1
	s_mov_b32 s16, 0x88fffff
	v_add3_u32 v3, v2, v3, s16
	s_mov_b64 s[10:11], exec
	v_lshrrev_b32_e32 v3, 21, v3
	s_andn2_saveexec_b64 s[12:13], s[12:13]
	s_cbranch_execnz .LBB15_312
.LBB15_81:
	s_or_b64 exec, exec, s[12:13]
	v_mov_b32_e32 v4, 0
	s_and_saveexec_b64 s[12:13], s[10:11]
.LBB15_82:
	v_lshrrev_b32_e32 v4, 24, v2
	s_movk_i32 s10, 0x80
	v_and_or_b32 v4, v4, s10, v3
.LBB15_83:
	s_or_b64 exec, exec, s[12:13]
.LBB15_84:
	s_or_b64 exec, exec, s[8:9]
	s_mov_b64 s[8:9], 0
	global_store_byte v[0:1], v4, off
.LBB15_85:
	s_and_b64 vcc, exec, s[8:9]
	s_cbranch_vccz .LBB15_95
; %bb.86:
	v_and_b32_e32 v4, 0x7fffffff, v2
	s_mov_b32 s8, 0x43f00000
	v_cmp_gt_u32_e32 vcc, s8, v4
                                        ; implicit-def: $vgpr3
	s_and_saveexec_b64 s[8:9], vcc
	s_xor_b64 s[8:9], exec, s[8:9]
	s_cbranch_execz .LBB15_92
; %bb.87:
	s_mov_b32 s10, 0x3c7fffff
	v_cmp_lt_u32_e32 vcc, s10, v4
                                        ; implicit-def: $vgpr3
	s_and_saveexec_b64 s[10:11], vcc
	s_xor_b64 s[10:11], exec, s[10:11]
; %bb.88:
	v_bfe_u32 v3, v2, 20, 1
	s_mov_b32 s12, 0x407ffff
	v_add3_u32 v3, v2, v3, s12
	v_lshrrev_b32_e32 v4, 20, v3
	v_and_b32_e32 v3, 0xff00000, v3
	s_mov_b32 s12, 0x7f00000
	v_mov_b32_e32 v5, 0x7e
	v_cmp_ne_u32_e32 vcc, s12, v3
	v_cndmask_b32_e32 v3, v5, v4, vcc
; %bb.89:
	s_andn2_saveexec_b64 s[10:11], s[10:11]
; %bb.90:
	s_mov_b32 s12, 0x46800000
	v_add_f32_e64 v3, |v2|, s12
; %bb.91:
	s_or_b64 exec, exec, s[10:11]
                                        ; implicit-def: $vgpr4
.LBB15_92:
	s_andn2_saveexec_b64 s[8:9], s[8:9]
; %bb.93:
	s_mov_b32 s10, 0x7f800000
	v_mov_b32_e32 v3, 0x7e
	v_mov_b32_e32 v5, 0x7f
	v_cmp_lt_u32_e32 vcc, s10, v4
	v_cndmask_b32_e32 v3, v3, v5, vcc
; %bb.94:
	s_or_b64 exec, exec, s[8:9]
	v_lshrrev_b32_e32 v4, 24, v2
	s_movk_i32 s8, 0x80
	v_and_or_b32 v3, v4, s8, v3
	global_store_byte v[0:1], v3, off
.LBB15_95:
	s_mov_b64 s[8:9], 0
.LBB15_96:
	s_andn2_b64 vcc, exec, s[8:9]
	s_cbranch_vccnz .LBB15_106
; %bb.97:
	v_and_b32_e32 v4, 0x7fffffff, v2
	s_mov_b32 s8, 0x47800000
	v_cmp_gt_u32_e32 vcc, s8, v4
                                        ; implicit-def: $vgpr3
	s_and_saveexec_b64 s[8:9], vcc
	s_xor_b64 s[8:9], exec, s[8:9]
	s_cbranch_execz .LBB15_103
; %bb.98:
	s_mov_b32 s10, 0x387fffff
	v_cmp_lt_u32_e32 vcc, s10, v4
                                        ; implicit-def: $vgpr3
	s_and_saveexec_b64 s[10:11], vcc
	s_xor_b64 s[10:11], exec, s[10:11]
; %bb.99:
	v_bfe_u32 v3, v2, 21, 1
	s_mov_b32 s12, 0x80fffff
	v_add3_u32 v3, v2, v3, s12
	v_lshrrev_b32_e32 v3, 21, v3
; %bb.100:
	s_andn2_saveexec_b64 s[10:11], s[10:11]
; %bb.101:
	s_mov_b32 s12, 0x43000000
	v_add_f32_e64 v3, |v2|, s12
; %bb.102:
	s_or_b64 exec, exec, s[10:11]
                                        ; implicit-def: $vgpr4
.LBB15_103:
	s_andn2_saveexec_b64 s[8:9], s[8:9]
; %bb.104:
	s_mov_b32 s10, 0x7f800000
	v_mov_b32_e32 v3, 0x7c
	v_mov_b32_e32 v5, 0x7f
	v_cmp_lt_u32_e32 vcc, s10, v4
	v_cndmask_b32_e32 v3, v3, v5, vcc
; %bb.105:
	s_or_b64 exec, exec, s[8:9]
	v_lshrrev_b32_e32 v4, 24, v2
	s_movk_i32 s8, 0x80
	v_and_or_b32 v3, v4, s8, v3
	global_store_byte v[0:1], v3, off
.LBB15_106:
	s_mov_b64 s[10:11], 0
	s_mov_b64 s[8:9], -1
.LBB15_107:
	s_andn2_b64 vcc, exec, s[10:11]
	s_cbranch_vccnz .LBB15_115
; %bb.108:
	s_cmp_gt_i32 s15, 14
	s_mov_b64 s[10:11], -1
	s_cbranch_scc0 .LBB15_112
; %bb.109:
	s_cmp_eq_u32 s15, 15
	s_mov_b64 s[0:1], -1
	s_cbranch_scc0 .LBB15_111
; %bb.110:
	v_bfe_u32 v3, v2, 16, 1
	s_movk_i32 s0, 0x7fff
	v_add3_u32 v3, v2, v3, s0
	v_cmp_o_f32_e32 vcc, v2, v2
	v_mov_b32_e32 v4, 0x7fc0
	v_cndmask_b32_sdwa v3, v4, v3, vcc dst_sel:DWORD dst_unused:UNUSED_PAD src0_sel:DWORD src1_sel:WORD_1
	global_store_short v[0:1], v3, off
	s_mov_b64 s[8:9], -1
	s_mov_b64 s[0:1], 0
.LBB15_111:
	s_mov_b64 s[10:11], 0
.LBB15_112:
	s_and_b64 vcc, exec, s[10:11]
	s_cbranch_vccz .LBB15_115
; %bb.113:
	s_cmp_eq_u32 s15, 11
	s_mov_b64 s[0:1], -1
	s_cbranch_scc0 .LBB15_115
; %bb.114:
	v_cmp_neq_f32_e32 vcc, 0, v2
	v_cndmask_b32_e64 v3, 0, 1, vcc
	s_mov_b64 s[8:9], -1
	s_mov_b64 s[0:1], 0
	global_store_byte v[0:1], v3, off
.LBB15_115:
	s_branch .LBB15_34
.LBB15_116:
	s_and_b32 s10, 0xffff, s14
	s_cmp_lt_i32 s10, 5
	s_mov_b64 s[8:9], -1
	s_cbranch_scc1 .LBB15_137
; %bb.117:
	s_cmp_lt_i32 s10, 8
	s_cbranch_scc1 .LBB15_127
; %bb.118:
	s_cmp_lt_i32 s10, 9
	s_cbranch_scc1 .LBB15_124
; %bb.119:
	s_cmp_gt_i32 s10, 9
	s_cbranch_scc0 .LBB15_121
; %bb.120:
	v_cvt_f64_f32_e32 v[3:4], v2
	v_mov_b32_e32 v5, 0
	v_mov_b32_e32 v6, v5
	s_mov_b64 s[8:9], 0
	global_store_dwordx4 v[0:1], v[3:6], off
.LBB15_121:
	s_andn2_b64 vcc, exec, s[8:9]
	s_cbranch_vccnz .LBB15_123
; %bb.122:
	v_mov_b32_e32 v3, 0
	global_store_dwordx2 v[0:1], v[2:3], off
.LBB15_123:
	s_mov_b64 s[8:9], 0
.LBB15_124:
	s_andn2_b64 vcc, exec, s[8:9]
	s_cbranch_vccnz .LBB15_126
; %bb.125:
	v_cvt_f16_f32_e32 v3, v2
	global_store_dword v[0:1], v3, off
.LBB15_126:
	s_mov_b64 s[8:9], 0
.LBB15_127:
	s_andn2_b64 vcc, exec, s[8:9]
	s_cbranch_vccnz .LBB15_136
; %bb.128:
	s_cmp_lt_i32 s10, 6
	s_mov_b64 s[8:9], -1
	s_cbranch_scc1 .LBB15_134
; %bb.129:
	s_cmp_gt_i32 s10, 6
	s_cbranch_scc0 .LBB15_131
; %bb.130:
	v_cvt_f64_f32_e32 v[3:4], v2
	s_mov_b64 s[8:9], 0
	global_store_dwordx2 v[0:1], v[3:4], off
.LBB15_131:
	s_andn2_b64 vcc, exec, s[8:9]
	s_cbranch_vccnz .LBB15_133
; %bb.132:
	global_store_dword v[0:1], v2, off
.LBB15_133:
	s_mov_b64 s[8:9], 0
.LBB15_134:
	s_andn2_b64 vcc, exec, s[8:9]
	s_cbranch_vccnz .LBB15_136
; %bb.135:
	v_cvt_f16_f32_e32 v3, v2
	global_store_short v[0:1], v3, off
.LBB15_136:
	s_mov_b64 s[8:9], 0
.LBB15_137:
	s_andn2_b64 vcc, exec, s[8:9]
	s_cbranch_vccnz .LBB15_153
; %bb.138:
	s_cmp_lt_i32 s10, 2
	s_mov_b64 s[8:9], -1
	s_cbranch_scc1 .LBB15_148
; %bb.139:
	s_cmp_lt_i32 s10, 3
	s_cbranch_scc1 .LBB15_145
; %bb.140:
	s_cmp_gt_i32 s10, 3
	s_cbranch_scc0 .LBB15_142
; %bb.141:
	v_trunc_f32_e32 v3, v2
	s_mov_b32 s8, 0x2f800000
	v_mul_f32_e64 v4, |v3|, s8
	v_floor_f32_e32 v4, v4
	s_mov_b32 s8, 0xcf800000
	v_cvt_u32_f32_e32 v5, v4
	v_fma_f32 v4, v4, s8, |v3|
	v_cvt_u32_f32_e32 v4, v4
	v_ashrrev_i32_e32 v6, 31, v3
	v_xor_b32_e32 v5, v5, v6
	s_mov_b64 s[8:9], 0
	v_xor_b32_e32 v3, v4, v6
	v_sub_co_u32_e32 v3, vcc, v3, v6
	v_subb_co_u32_e32 v4, vcc, v5, v6, vcc
	global_store_dwordx2 v[0:1], v[3:4], off
.LBB15_142:
	s_andn2_b64 vcc, exec, s[8:9]
	s_cbranch_vccnz .LBB15_144
; %bb.143:
	v_cvt_i32_f32_e32 v3, v2
	global_store_dword v[0:1], v3, off
.LBB15_144:
	s_mov_b64 s[8:9], 0
.LBB15_145:
	s_andn2_b64 vcc, exec, s[8:9]
	s_cbranch_vccnz .LBB15_147
; %bb.146:
	v_cvt_i32_f32_e32 v3, v2
	global_store_short v[0:1], v3, off
.LBB15_147:
	s_mov_b64 s[8:9], 0
.LBB15_148:
	s_andn2_b64 vcc, exec, s[8:9]
	s_cbranch_vccnz .LBB15_153
; %bb.149:
	s_cmp_gt_i32 s10, 0
	s_mov_b64 s[8:9], -1
	s_cbranch_scc0 .LBB15_151
; %bb.150:
	v_cvt_i32_f32_e32 v3, v2
	s_mov_b64 s[8:9], 0
	global_store_byte v[0:1], v3, off
.LBB15_151:
	s_andn2_b64 vcc, exec, s[8:9]
	s_cbranch_vccnz .LBB15_153
; %bb.152:
	v_trunc_f32_e32 v2, v2
	s_mov_b32 s8, 0x2f800000
	v_mul_f32_e64 v3, |v2|, s8
	v_floor_f32_e32 v3, v3
	s_mov_b32 s8, 0xcf800000
	v_fma_f32 v3, v3, s8, |v2|
	v_cvt_u32_f32_e32 v3, v3
	v_ashrrev_i32_e32 v2, 31, v2
	v_xor_b32_e32 v3, v3, v2
	v_sub_u32_e32 v2, v3, v2
	global_store_byte v[0:1], v2, off
.LBB15_153:
.LBB15_154:
	v_add_u32_e32 v8, 0x80, v8
	s_mov_b64 s[8:9], -1
	s_branch .LBB15_265
.LBB15_155:
	s_mov_b64 s[2:3], -1
                                        ; implicit-def: $vgpr3
.LBB15_156:
	s_mov_b64 s[8:9], 0
.LBB15_157:
	s_and_b64 vcc, exec, s[8:9]
	s_cbranch_vccz .LBB15_161
; %bb.158:
	s_cmp_eq_u32 s12, 29
	s_cbranch_scc0 .LBB15_160
; %bb.159:
	global_load_dwordx2 v[3:4], v[1:2], off
	s_mov_b64 s[0:1], -1
	s_mov_b64 s[2:3], 0
	s_mov_b64 s[8:9], 0
	s_waitcnt vmcnt(0)
	v_ffbh_u32_e32 v5, v4
	v_min_u32_e32 v5, 32, v5
	v_lshlrev_b64 v[3:4], v5, v[3:4]
	v_min_u32_e32 v3, 1, v3
	v_or_b32_e32 v3, v4, v3
	v_cvt_f32_u32_e32 v3, v3
	v_sub_u32_e32 v4, 32, v5
	v_ldexp_f32 v3, v3, v4
	s_branch .LBB15_162
.LBB15_160:
	s_mov_b64 s[2:3], -1
                                        ; implicit-def: $vgpr3
.LBB15_161:
	s_mov_b64 s[8:9], 0
.LBB15_162:
	s_and_b64 vcc, exec, s[8:9]
	s_cbranch_vccz .LBB15_180
; %bb.163:
	s_cmp_lt_i32 s12, 27
	s_cbranch_scc1 .LBB15_166
; %bb.164:
	s_cmp_gt_i32 s12, 27
	s_cbranch_scc0 .LBB15_167
; %bb.165:
	global_load_dword v3, v[1:2], off
	s_mov_b64 s[0:1], 0
	s_waitcnt vmcnt(0)
	v_cvt_f32_u32_e32 v3, v3
	s_branch .LBB15_168
.LBB15_166:
	s_mov_b64 s[0:1], -1
                                        ; implicit-def: $vgpr3
	s_branch .LBB15_171
.LBB15_167:
	s_mov_b64 s[0:1], -1
                                        ; implicit-def: $vgpr3
.LBB15_168:
	s_andn2_b64 vcc, exec, s[0:1]
	s_cbranch_vccnz .LBB15_170
; %bb.169:
	global_load_ushort v3, v[1:2], off
	s_waitcnt vmcnt(0)
	v_cvt_f32_u32_e32 v3, v3
.LBB15_170:
	s_mov_b64 s[0:1], 0
.LBB15_171:
	s_andn2_b64 vcc, exec, s[0:1]
	s_cbranch_vccnz .LBB15_179
; %bb.172:
	global_load_ubyte v4, v[1:2], off
	s_movk_i32 s0, 0x7f
	s_waitcnt vmcnt(0)
	v_cmp_lt_i16_e32 vcc, s0, v4
	s_mov_b64 s[0:1], 0
	s_and_saveexec_b64 s[8:9], vcc
	s_xor_b64 s[8:9], exec, s[8:9]
	s_cbranch_execz .LBB15_192
; %bb.173:
	s_movk_i32 s0, 0x80
	v_cmp_eq_u16_e32 vcc, s0, v4
	s_mov_b64 s[0:1], -1
	s_and_saveexec_b64 s[10:11], vcc
; %bb.174:
	s_xor_b64 s[0:1], exec, -1
; %bb.175:
	s_or_b64 exec, exec, s[10:11]
	s_and_b64 s[0:1], s[0:1], exec
	s_or_saveexec_b64 s[8:9], s[8:9]
	v_mov_b32_e32 v3, 0x7f800001
	s_xor_b64 exec, exec, s[8:9]
	s_cbranch_execnz .LBB15_193
.LBB15_176:
	s_or_b64 exec, exec, s[8:9]
	s_and_saveexec_b64 s[8:9], s[0:1]
	s_cbranch_execz .LBB15_178
.LBB15_177:
	v_lshlrev_b32_e32 v3, 24, v4
	v_and_b32_e32 v4, 0xffff, v4
	v_and_b32_e32 v5, 7, v4
	v_ffbh_u32_e32 v7, v5
	v_min_u32_e32 v7, 32, v7
	v_subrev_u32_e32 v9, 28, v7
	v_bfe_u32 v6, v4, 3, 4
	v_lshlrev_b32_e32 v4, v9, v4
	v_sub_u32_e32 v7, 29, v7
	v_and_b32_e32 v4, 7, v4
	v_cmp_eq_u32_e32 vcc, 0, v6
	v_cndmask_b32_e32 v6, v6, v7, vcc
	v_cndmask_b32_e32 v4, v5, v4, vcc
	v_mov_b32_e32 v5, 0x3b800000
	v_lshlrev_b32_e32 v4, 20, v4
	v_and_b32_e32 v3, 0x80000000, v3
	v_lshl_add_u32 v5, v6, 23, v5
	v_or3_b32 v3, v3, v5, v4
.LBB15_178:
	s_or_b64 exec, exec, s[8:9]
.LBB15_179:
	s_mov_b64 s[0:1], -1
.LBB15_180:
	s_branch .LBB15_215
.LBB15_181:
	s_cmp_gt_i32 s12, 22
	s_cbranch_scc0 .LBB15_191
; %bb.182:
	s_cmp_lt_i32 s12, 24
	s_cbranch_scc1 .LBB15_194
; %bb.183:
	s_cmp_gt_i32 s12, 24
	s_cbranch_scc0 .LBB15_195
; %bb.184:
	global_load_ubyte v4, v[1:2], off
	s_movk_i32 s0, 0x7f
	s_waitcnt vmcnt(0)
	v_cmp_lt_i16_e32 vcc, s0, v4
	s_mov_b64 s[0:1], 0
	s_and_saveexec_b64 s[8:9], vcc
	s_xor_b64 s[8:9], exec, s[8:9]
	s_cbranch_execz .LBB15_207
; %bb.185:
	s_movk_i32 s0, 0x80
	v_cmp_eq_u16_e32 vcc, s0, v4
	s_mov_b64 s[0:1], -1
	s_and_saveexec_b64 s[10:11], vcc
; %bb.186:
	s_xor_b64 s[0:1], exec, -1
; %bb.187:
	s_or_b64 exec, exec, s[10:11]
	s_and_b64 s[0:1], s[0:1], exec
	s_or_saveexec_b64 s[8:9], s[8:9]
	v_mov_b32_e32 v3, 0x7f800001
	s_xor_b64 exec, exec, s[8:9]
	s_cbranch_execnz .LBB15_208
.LBB15_188:
	s_or_b64 exec, exec, s[8:9]
	s_and_saveexec_b64 s[8:9], s[0:1]
	s_cbranch_execz .LBB15_190
.LBB15_189:
	v_lshlrev_b32_e32 v3, 24, v4
	v_and_b32_e32 v4, 0xffff, v4
	v_and_b32_e32 v5, 3, v4
	v_ffbh_u32_e32 v7, v5
	v_min_u32_e32 v7, 32, v7
	v_subrev_u32_e32 v9, 29, v7
	v_bfe_u32 v6, v4, 2, 5
	v_lshlrev_b32_e32 v4, v9, v4
	v_sub_u32_e32 v7, 30, v7
	v_and_b32_e32 v4, 3, v4
	v_cmp_eq_u32_e32 vcc, 0, v6
	v_cndmask_b32_e32 v6, v6, v7, vcc
	v_cndmask_b32_e32 v4, v5, v4, vcc
	v_mov_b32_e32 v5, 0x37800000
	v_lshlrev_b32_e32 v4, 21, v4
	v_and_b32_e32 v3, 0x80000000, v3
	v_lshl_add_u32 v5, v6, 23, v5
	v_or3_b32 v3, v3, v5, v4
.LBB15_190:
	s_or_b64 exec, exec, s[8:9]
	s_mov_b64 s[0:1], 0
	s_branch .LBB15_196
.LBB15_191:
	s_mov_b64 s[8:9], -1
                                        ; implicit-def: $vgpr3
	s_branch .LBB15_202
.LBB15_192:
	s_or_saveexec_b64 s[8:9], s[8:9]
	v_mov_b32_e32 v3, 0x7f800001
	s_xor_b64 exec, exec, s[8:9]
	s_cbranch_execz .LBB15_176
.LBB15_193:
	v_cmp_ne_u16_e32 vcc, 0, v4
	s_andn2_b64 s[0:1], s[0:1], exec
	s_and_b64 s[10:11], vcc, exec
	v_mov_b32_e32 v3, 0
	s_or_b64 s[0:1], s[0:1], s[10:11]
	s_or_b64 exec, exec, s[8:9]
	s_and_saveexec_b64 s[8:9], s[0:1]
	s_cbranch_execnz .LBB15_177
	s_branch .LBB15_178
.LBB15_194:
	s_mov_b64 s[0:1], -1
                                        ; implicit-def: $vgpr3
	s_branch .LBB15_199
.LBB15_195:
	s_mov_b64 s[0:1], -1
                                        ; implicit-def: $vgpr3
.LBB15_196:
	s_and_b64 vcc, exec, s[0:1]
	s_cbranch_vccz .LBB15_198
; %bb.197:
	global_load_ubyte v3, v[1:2], off
	s_mov_b32 s0, 0x7f800000
	s_waitcnt vmcnt(0)
	v_lshlrev_b32_e32 v3, 24, v3
	v_and_b32_e32 v4, 0x7f000000, v3
	v_ffbh_u32_e32 v5, v4
	v_min_u32_e32 v5, 32, v5
	v_sub_u32_e64 v5, v5, 4 clamp
	v_lshlrev_b32_e32 v7, v5, v4
	v_lshlrev_b32_e32 v5, 23, v5
	v_lshrrev_b32_e32 v7, 4, v7
	v_add_u32_e32 v6, 0x1000000, v4
	v_sub_u32_e32 v5, v7, v5
	v_ashrrev_i32_e32 v6, 8, v6
	v_add_u32_e32 v5, 0x3c000000, v5
	v_and_or_b32 v5, v6, s0, v5
	v_cmp_ne_u32_e32 vcc, 0, v4
	v_cndmask_b32_e32 v4, 0, v5, vcc
	s_brev_b32 s0, 1
	v_and_or_b32 v3, v3, s0, v4
.LBB15_198:
	s_mov_b64 s[0:1], 0
.LBB15_199:
	s_andn2_b64 vcc, exec, s[0:1]
	s_cbranch_vccnz .LBB15_201
; %bb.200:
	global_load_ubyte v3, v[1:2], off
	s_movk_i32 s0, 0x7f00
	s_brev_b32 s1, 16
	s_waitcnt vmcnt(0)
	v_lshlrev_b16_e32 v4, 8, v3
	v_lshlrev_b32_e32 v3, 25, v3
	v_lshrrev_b32_e32 v5, 4, v3
	v_and_or_b32 v6, v4, s0, 0.5
	v_or_b32_e32 v5, 0x70000000, v5
	v_add_f32_e32 v6, -0.5, v6
	v_mul_f32_e32 v5, 0x7800000, v5
	v_cmp_gt_u32_e32 vcc, s1, v3
	v_bfe_i32 v4, v4, 0, 16
	v_cndmask_b32_e32 v3, v5, v6, vcc
	s_brev_b32 s0, 1
	v_and_or_b32 v3, v4, s0, v3
.LBB15_201:
	s_mov_b64 s[8:9], 0
	s_mov_b64 s[0:1], -1
.LBB15_202:
	s_andn2_b64 vcc, exec, s[8:9]
	s_cbranch_vccnz .LBB15_215
; %bb.203:
	s_cmp_gt_i32 s12, 14
	s_cbranch_scc0 .LBB15_206
; %bb.204:
	s_cmp_eq_u32 s12, 15
	s_cbranch_scc0 .LBB15_209
; %bb.205:
	global_load_ushort v3, v[1:2], off
	s_mov_b64 s[0:1], -1
	s_mov_b64 s[2:3], 0
	s_waitcnt vmcnt(0)
	v_lshlrev_b32_e32 v3, 16, v3
	s_branch .LBB15_210
.LBB15_206:
	s_mov_b64 s[8:9], -1
                                        ; implicit-def: $vgpr3
	s_branch .LBB15_211
.LBB15_207:
	s_or_saveexec_b64 s[8:9], s[8:9]
	v_mov_b32_e32 v3, 0x7f800001
	s_xor_b64 exec, exec, s[8:9]
	s_cbranch_execz .LBB15_188
.LBB15_208:
	v_cmp_ne_u16_e32 vcc, 0, v4
	s_andn2_b64 s[0:1], s[0:1], exec
	s_and_b64 s[10:11], vcc, exec
	v_mov_b32_e32 v3, 0
	s_or_b64 s[0:1], s[0:1], s[10:11]
	s_or_b64 exec, exec, s[8:9]
	s_and_saveexec_b64 s[8:9], s[0:1]
	s_cbranch_execnz .LBB15_189
	s_branch .LBB15_190
.LBB15_209:
	s_mov_b64 s[2:3], -1
                                        ; implicit-def: $vgpr3
.LBB15_210:
	s_mov_b64 s[8:9], 0
.LBB15_211:
	s_and_b64 vcc, exec, s[8:9]
	s_cbranch_vccz .LBB15_215
; %bb.212:
	s_cmp_eq_u32 s12, 11
	s_cbranch_scc0 .LBB15_214
; %bb.213:
	global_load_ubyte v3, v[1:2], off
	s_mov_b64 s[0:1], -1
	s_mov_b64 s[2:3], 0
	s_waitcnt vmcnt(0)
	v_cmp_ne_u16_e32 vcc, 0, v3
	v_cndmask_b32_e64 v3, 0, 1.0, vcc
	s_branch .LBB15_215
.LBB15_214:
	s_mov_b64 s[2:3], -1
                                        ; implicit-def: $vgpr3
.LBB15_215:
	s_branch .LBB15_24
.LBB15_216:
	s_cmp_lt_i32 s12, 5
	s_cbranch_scc1 .LBB15_221
; %bb.217:
	s_cmp_lt_i32 s12, 8
	s_cbranch_scc1 .LBB15_222
; %bb.218:
	;; [unrolled: 3-line block ×3, first 2 shown]
	s_cmp_gt_i32 s12, 9
	s_cbranch_scc0 .LBB15_224
; %bb.220:
	global_load_dwordx2 v[3:4], v[1:2], off
	s_mov_b64 s[0:1], 0
	s_waitcnt vmcnt(0)
	v_cvt_f32_f64_e32 v3, v[3:4]
	s_branch .LBB15_225
.LBB15_221:
                                        ; implicit-def: $vgpr3
	s_branch .LBB15_243
.LBB15_222:
	s_mov_b64 s[0:1], -1
                                        ; implicit-def: $vgpr3
	s_branch .LBB15_231
.LBB15_223:
	s_mov_b64 s[0:1], -1
                                        ; implicit-def: $vgpr3
	s_branch .LBB15_228
.LBB15_224:
	s_mov_b64 s[0:1], -1
                                        ; implicit-def: $vgpr3
.LBB15_225:
	s_andn2_b64 vcc, exec, s[0:1]
	s_cbranch_vccnz .LBB15_227
; %bb.226:
	global_load_dword v3, v[1:2], off
.LBB15_227:
	s_mov_b64 s[0:1], 0
.LBB15_228:
	s_andn2_b64 vcc, exec, s[0:1]
	s_cbranch_vccnz .LBB15_230
; %bb.229:
	global_load_dword v3, v[1:2], off
	s_waitcnt vmcnt(0)
	v_cvt_f32_f16_e32 v3, v3
.LBB15_230:
	s_mov_b64 s[0:1], 0
.LBB15_231:
	s_andn2_b64 vcc, exec, s[0:1]
	s_cbranch_vccnz .LBB15_242
; %bb.232:
	s_cmp_lt_i32 s12, 6
	s_cbranch_scc1 .LBB15_235
; %bb.233:
	s_cmp_gt_i32 s12, 6
	s_cbranch_scc0 .LBB15_236
; %bb.234:
	global_load_dwordx2 v[3:4], v[1:2], off
	s_mov_b64 s[0:1], 0
	s_waitcnt vmcnt(0)
	v_cvt_f32_f64_e32 v3, v[3:4]
	s_branch .LBB15_237
.LBB15_235:
	s_mov_b64 s[0:1], -1
                                        ; implicit-def: $vgpr3
	s_branch .LBB15_240
.LBB15_236:
	s_mov_b64 s[0:1], -1
                                        ; implicit-def: $vgpr3
.LBB15_237:
	s_andn2_b64 vcc, exec, s[0:1]
	s_cbranch_vccnz .LBB15_239
; %bb.238:
	global_load_dword v3, v[1:2], off
.LBB15_239:
	s_mov_b64 s[0:1], 0
.LBB15_240:
	s_andn2_b64 vcc, exec, s[0:1]
	s_cbranch_vccnz .LBB15_242
; %bb.241:
	global_load_ushort v3, v[1:2], off
	s_waitcnt vmcnt(0)
	v_cvt_f32_f16_e32 v3, v3
.LBB15_242:
	s_cbranch_execnz .LBB15_262
.LBB15_243:
	s_cmp_lt_i32 s12, 2
	s_cbranch_scc1 .LBB15_247
; %bb.244:
	s_cmp_lt_i32 s12, 3
	s_cbranch_scc1 .LBB15_248
; %bb.245:
	s_cmp_gt_i32 s12, 3
	s_cbranch_scc0 .LBB15_249
; %bb.246:
	global_load_dwordx2 v[3:4], v[1:2], off
	s_mov_b64 s[0:1], 0
	s_waitcnt vmcnt(0)
	v_xor_b32_e32 v6, v3, v4
	v_ffbh_i32_e32 v5, v4
	v_ashrrev_i32_e32 v6, 31, v6
	v_add_u32_e32 v5, -1, v5
	v_add_u32_e32 v6, 32, v6
	v_min_u32_e32 v5, v5, v6
	v_lshlrev_b64 v[3:4], v5, v[3:4]
	v_min_u32_e32 v3, 1, v3
	v_or_b32_e32 v3, v4, v3
	v_cvt_f32_i32_e32 v3, v3
	v_sub_u32_e32 v4, 32, v5
	v_ldexp_f32 v3, v3, v4
	s_branch .LBB15_250
.LBB15_247:
	s_mov_b64 s[0:1], -1
                                        ; implicit-def: $vgpr3
	s_branch .LBB15_256
.LBB15_248:
	s_mov_b64 s[0:1], -1
                                        ; implicit-def: $vgpr3
	s_branch .LBB15_253
.LBB15_249:
	s_mov_b64 s[0:1], -1
                                        ; implicit-def: $vgpr3
.LBB15_250:
	s_andn2_b64 vcc, exec, s[0:1]
	s_cbranch_vccnz .LBB15_252
; %bb.251:
	global_load_dword v3, v[1:2], off
	s_waitcnt vmcnt(0)
	v_cvt_f32_i32_e32 v3, v3
.LBB15_252:
	s_mov_b64 s[0:1], 0
.LBB15_253:
	s_andn2_b64 vcc, exec, s[0:1]
	s_cbranch_vccnz .LBB15_255
; %bb.254:
	global_load_sshort v3, v[1:2], off
	s_waitcnt vmcnt(0)
	v_cvt_f32_i32_e32 v3, v3
.LBB15_255:
	s_mov_b64 s[0:1], 0
.LBB15_256:
	s_andn2_b64 vcc, exec, s[0:1]
	s_cbranch_vccnz .LBB15_262
; %bb.257:
	s_cmp_gt_i32 s12, 0
	s_cbranch_scc0 .LBB15_259
; %bb.258:
	global_load_sbyte v3, v[1:2], off
	s_mov_b64 s[0:1], 0
	s_waitcnt vmcnt(0)
	v_cvt_f32_i32_e32 v3, v3
	s_branch .LBB15_260
.LBB15_259:
	s_mov_b64 s[0:1], -1
                                        ; implicit-def: $vgpr3
.LBB15_260:
	s_andn2_b64 vcc, exec, s[0:1]
	s_cbranch_vccnz .LBB15_262
; %bb.261:
	global_load_ubyte v1, v[1:2], off
	s_waitcnt vmcnt(0)
	v_cvt_f32_ubyte0_e32 v3, v1
.LBB15_262:
	s_branch .LBB15_25
.LBB15_263:
	s_mov_b64 s[0:1], 0
.LBB15_264:
	s_mov_b64 s[8:9], 0
                                        ; implicit-def: $vgpr8
.LBB15_265:
	s_and_b64 s[54:55], s[0:1], exec
	s_and_b64 s[56:57], s[2:3], exec
	s_orn2_b64 s[2:3], s[8:9], exec
.LBB15_266:
	s_or_b64 exec, exec, s[58:59]
	s_mov_b64 s[10:11], 0
	s_mov_b64 s[0:1], 0
                                        ; implicit-def: $vgpr1_vgpr2
                                        ; implicit-def: $vgpr0
                                        ; implicit-def: $vgpr4
	s_and_saveexec_b64 s[58:59], s[2:3]
	s_cbranch_execz .LBB15_273
; %bb.267:
	v_cmp_gt_i32_e32 vcc, s72, v8
	s_mov_b64 s[0:1], -1
	s_mov_b64 s[60:61], s[56:57]
	s_mov_b64 s[62:63], s[54:55]
	s_and_saveexec_b64 s[64:65], vcc
	s_cbranch_execz .LBB15_542
; %bb.268:
	s_andn2_b64 vcc, exec, s[40:41]
	s_cbranch_vccnz .LBB15_276
; %bb.269:
	s_andn2_b64 vcc, exec, s[52:53]
	s_cbranch_vccnz .LBB15_277
; %bb.270:
	s_add_i32 s67, s76, 1
	s_cmp_eq_u32 s74, 2
	s_cbranch_scc1 .LBB15_278
; %bb.271:
	s_and_b32 s66, s67, 28
	v_mov_b32_e32 v2, 0
	s_mov_b32 s68, 0
	s_mov_b64 s[60:61], s[34:35]
	s_mov_b64 s[62:63], s[50:51]
	v_mov_b32_e32 v0, 0
	v_mov_b32_e32 v1, v8
.LBB15_272:                             ; =>This Inner Loop Header: Depth=1
	s_load_dwordx8 s[16:23], s[60:61], 0x4
	s_load_dwordx4 s[0:3], s[60:61], 0x24
	s_load_dwordx8 s[8:15], s[62:63], 0x0
	s_add_u32 s60, s60, 48
	s_addc_u32 s61, s61, 0
	s_waitcnt vmcnt(0) lgkmcnt(0)
	v_mul_hi_u32 v3, s17, v1
	s_add_i32 s68, s68, 4
	s_add_u32 s62, s62, 32
	s_addc_u32 s63, s63, 0
	v_add_u32_e32 v3, v1, v3
	v_lshrrev_b32_e32 v3, s18, v3
	v_mul_lo_u32 v4, v3, s16
	v_mul_hi_u32 v5, s20, v3
	s_cmp_eq_u32 s66, s68
	v_sub_u32_e32 v1, v1, v4
	v_add_u32_e32 v4, v3, v5
	v_mul_lo_u32 v5, v1, s8
	v_mul_lo_u32 v6, v1, s9
	v_lshrrev_b32_e32 v1, s21, v4
	v_mul_lo_u32 v4, v1, s19
	v_mul_hi_u32 v7, s23, v1
	v_sub_u32_e32 v3, v3, v4
	v_add_u32_e32 v4, v1, v7
	v_lshrrev_b32_e32 v4, s0, v4
	v_mul_hi_u32 v9, s2, v4
	v_mul_lo_u32 v10, v4, s22
	v_mul_lo_u32 v7, v3, s10
	;; [unrolled: 1-line block ×3, first 2 shown]
	v_sub_u32_e32 v10, v1, v10
	v_add_u32_e32 v1, v4, v9
	v_lshrrev_b32_e32 v1, s3, v1
	v_mul_lo_u32 v9, v1, s1
	v_mul_lo_u32 v11, v10, s12
	;; [unrolled: 1-line block ×3, first 2 shown]
	v_add3_u32 v0, v5, v0, v7
	v_sub_u32_e32 v4, v4, v9
	v_mul_lo_u32 v9, v4, s14
	v_mul_lo_u32 v4, v4, s15
	v_add3_u32 v2, v6, v2, v3
	v_add3_u32 v0, v11, v0, v9
	;; [unrolled: 1-line block ×3, first 2 shown]
	s_cbranch_scc0 .LBB15_272
	s_branch .LBB15_279
.LBB15_273:
	s_or_b64 exec, exec, s[58:59]
	s_mov_b64 s[2:3], 0
	s_and_saveexec_b64 s[8:9], s[56:57]
	s_cbranch_execnz .LBB15_918
.LBB15_274:
	s_or_b64 exec, exec, s[8:9]
	s_and_saveexec_b64 s[8:9], s[62:63]
	s_xor_b64 s[8:9], exec, s[8:9]
	s_cbranch_execz .LBB15_919
.LBB15_275:
	global_load_ubyte v3, v[1:2], off
	s_or_b64 s[0:1], s[0:1], exec
	s_waitcnt vmcnt(0)
	v_cmp_ne_u16_e32 vcc, 0, v3
	v_cndmask_b32_e64 v4, 0, 1.0, vcc
	s_or_b64 exec, exec, s[8:9]
	s_and_saveexec_b64 s[8:9], s[10:11]
	s_cbranch_execz .LBB15_965
	s_branch .LBB15_920
.LBB15_276:
                                        ; implicit-def: $vgpr0
                                        ; implicit-def: $vgpr2
	s_andn2_b64 vcc, exec, s[0:1]
	s_cbranch_vccz .LBB15_283
	s_branch .LBB15_285
.LBB15_277:
	v_mov_b32_e32 v0, 0
	v_mov_b32_e32 v2, 0
	s_branch .LBB15_282
.LBB15_278:
	s_mov_b32 s66, 0
	v_mov_b32_e32 v0, 0
	v_mov_b32_e32 v2, 0
	v_mov_b32_e32 v1, v8
.LBB15_279:
	s_and_b32 s8, s67, 3
	s_cmp_eq_u32 s8, 0
	s_cbranch_scc1 .LBB15_282
; %bb.280:
	s_lshl_b32 s0, s66, 3
	s_add_u32 s0, s34, s0
	s_addc_u32 s1, s35, 0
	s_add_u32 s0, s0, 0xc4
	s_addc_u32 s1, s1, 0
	s_mul_i32 s2, s66, 12
	s_add_u32 s2, s34, s2
	s_addc_u32 s3, s35, 0
.LBB15_281:                             ; =>This Inner Loop Header: Depth=1
	s_load_dwordx2 s[10:11], s[2:3], 0x4
	s_load_dword s9, s[2:3], 0xc
	s_load_dwordx2 s[12:13], s[0:1], 0x0
	s_add_u32 s2, s2, 12
	s_addc_u32 s3, s3, 0
	s_waitcnt vmcnt(0) lgkmcnt(0)
	v_mul_hi_u32 v3, s11, v1
	s_add_u32 s0, s0, 8
	s_addc_u32 s1, s1, 0
	s_add_i32 s8, s8, -1
	v_add_u32_e32 v3, v1, v3
	v_lshrrev_b32_e32 v4, s9, v3
	v_mul_lo_u32 v3, v4, s10
	s_cmp_lg_u32 s8, 0
	v_sub_u32_e32 v3, v1, v3
	v_mad_u64_u32 v[0:1], s[10:11], v3, s12, v[0:1]
	v_mad_u64_u32 v[2:3], s[10:11], v3, s13, v[2:3]
	v_mov_b32_e32 v1, v4
	s_cbranch_scc1 .LBB15_281
.LBB15_282:
	s_cbranch_execnz .LBB15_285
.LBB15_283:
	v_mul_hi_u32 v0, s29, v8
	s_andn2_b64 vcc, exec, s[48:49]
	v_add_u32_e32 v0, v8, v0
	v_lshrrev_b32_e32 v1, s30, v0
	v_mul_lo_u32 v0, v1, s28
	v_sub_u32_e32 v2, v8, v0
	v_mul_lo_u32 v0, v2, s36
	v_mul_lo_u32 v2, v2, s37
	s_cbranch_vccnz .LBB15_285
; %bb.284:
	s_waitcnt vmcnt(0)
	v_mul_hi_u32 v3, s46, v1
	v_add_u32_e32 v3, v1, v3
	v_lshrrev_b32_e32 v3, s47, v3
	v_mul_lo_u32 v3, v3, s31
	v_sub_u32_e32 v3, v1, v3
	v_mad_u64_u32 v[0:1], s[0:1], v3, s38, v[0:1]
	v_mad_u64_u32 v[2:3], s[0:1], v3, s39, v[2:3]
.LBB15_285:
	s_waitcnt vmcnt(0)
	v_mov_b32_e32 v3, s27
	s_and_b32 s12, 0xffff, s75
	v_add_co_u32_e32 v1, vcc, s26, v2
	s_cmp_lt_i32 s12, 11
	v_addc_co_u32_e32 v2, vcc, 0, v3, vcc
	s_cbranch_scc1 .LBB15_292
; %bb.286:
	s_cmp_gt_i32 s12, 25
	s_cbranch_scc0 .LBB15_301
; %bb.287:
	s_cmp_gt_i32 s12, 28
	s_cbranch_scc0 .LBB15_303
	;; [unrolled: 3-line block ×4, first 2 shown]
; %bb.290:
	s_cmp_eq_u32 s12, 46
	s_mov_b64 s[8:9], 0
	s_cbranch_scc0 .LBB15_313
; %bb.291:
	global_load_dword v3, v[1:2], off
	s_mov_b64 s[0:1], -1
	s_mov_b64 s[2:3], 0
	s_waitcnt vmcnt(0)
	v_lshlrev_b32_e32 v3, 16, v3
	s_branch .LBB15_314
.LBB15_292:
	s_mov_b64 s[0:1], 0
                                        ; implicit-def: $vgpr3
	s_mov_b64 s[2:3], s[56:57]
	s_cbranch_execnz .LBB15_491
.LBB15_293:
	s_andn2_b64 vcc, exec, s[0:1]
	s_cbranch_vccnz .LBB15_539
.LBB15_294:
	s_waitcnt vmcnt(0)
	v_cmp_nge_f32_e64 s[0:1], v3, -s44
	v_cmp_nge_f32_e32 vcc, s44, v3
	s_or_b64 vcc, s[0:1], vcc
	v_cndmask_b32_e32 v2, 0, v3, vcc
	v_mov_b32_e32 v1, s25
	s_and_b32 s14, s45, 0xff
	v_add_co_u32_e32 v0, vcc, s24, v0
	s_cmp_lt_i32 s14, 11
	v_addc_co_u32_e32 v1, vcc, 0, v1, vcc
	s_cbranch_scc1 .LBB15_302
; %bb.295:
	s_and_b32 s15, 0xffff, s14
	s_cmp_gt_i32 s15, 25
	s_cbranch_scc0 .LBB15_304
; %bb.296:
	s_cmp_gt_i32 s15, 28
	s_cbranch_scc0 .LBB15_306
; %bb.297:
	;; [unrolled: 3-line block ×4, first 2 shown]
	s_mov_b64 s[10:11], 0
	s_mov_b64 s[0:1], -1
	s_cmp_eq_u32 s15, 46
	s_mov_b64 s[8:9], 0
	s_cbranch_scc0 .LBB15_318
; %bb.300:
	v_bfe_u32 v3, v2, 16, 1
	s_movk_i32 s0, 0x7fff
	v_add3_u32 v3, v2, v3, s0
	v_cmp_o_f32_e32 vcc, v2, v2
	v_mov_b32_e32 v4, 0x7fc0
	v_cndmask_b32_sdwa v3, v4, v3, vcc dst_sel:DWORD dst_unused:UNUSED_PAD src0_sel:DWORD src1_sel:WORD_1
	global_store_dword v[0:1], v3, off
	s_mov_b64 s[8:9], -1
	s_mov_b64 s[0:1], 0
	s_branch .LBB15_318
.LBB15_301:
	s_mov_b64 s[8:9], -1
	s_mov_b64 s[0:1], 0
	s_mov_b64 s[2:3], s[56:57]
                                        ; implicit-def: $vgpr3
	s_branch .LBB15_455
.LBB15_302:
	s_mov_b64 s[10:11], -1
	s_mov_b64 s[8:9], 0
	s_mov_b64 s[0:1], s[54:55]
	s_branch .LBB15_387
.LBB15_303:
	s_mov_b64 s[8:9], -1
	s_mov_b64 s[0:1], 0
	s_mov_b64 s[2:3], s[56:57]
                                        ; implicit-def: $vgpr3
	s_branch .LBB15_436
.LBB15_304:
	s_mov_b64 s[10:11], -1
	s_mov_b64 s[8:9], 0
	s_mov_b64 s[0:1], s[54:55]
	s_branch .LBB15_345
.LBB15_305:
	s_mov_b64 s[8:9], -1
	s_mov_b64 s[0:1], 0
	s_mov_b64 s[2:3], s[56:57]
                                        ; implicit-def: $vgpr3
	s_branch .LBB15_431
.LBB15_306:
	s_mov_b64 s[10:11], -1
	s_mov_b64 s[8:9], 0
	s_mov_b64 s[0:1], s[54:55]
	s_branch .LBB15_328
.LBB15_307:
	s_andn2_saveexec_b64 s[12:13], s[12:13]
	s_cbranch_execz .LBB15_68
.LBB15_308:
	s_mov_b32 s16, 0x46000000
	v_add_f32_e64 v3, |v2|, s16
	v_and_b32_e32 v3, 0xff, v3
	v_cmp_ne_u32_e32 vcc, 0, v3
	s_andn2_b64 s[10:11], s[10:11], exec
	s_and_b64 s[16:17], vcc, exec
	s_or_b64 s[10:11], s[10:11], s[16:17]
	s_or_b64 exec, exec, s[12:13]
	v_mov_b32_e32 v4, 0
	s_and_saveexec_b64 s[12:13], s[10:11]
	s_cbranch_execnz .LBB15_69
	s_branch .LBB15_70
.LBB15_309:
	s_mov_b64 s[8:9], -1
	s_mov_b64 s[0:1], 0
	s_mov_b64 s[2:3], s[56:57]
                                        ; implicit-def: $vgpr3
	s_branch .LBB15_314
.LBB15_310:
	s_mov_b64 s[10:11], -1
	s_mov_b64 s[8:9], 0
	s_mov_b64 s[0:1], s[54:55]
	s_branch .LBB15_324
.LBB15_311:
	s_andn2_saveexec_b64 s[12:13], s[12:13]
	s_cbranch_execz .LBB15_81
.LBB15_312:
	s_mov_b32 s16, 0x42800000
	v_add_f32_e64 v3, |v2|, s16
	v_and_b32_e32 v3, 0xff, v3
	v_cmp_ne_u32_e32 vcc, 0, v3
	s_andn2_b64 s[10:11], s[10:11], exec
	s_and_b64 s[16:17], vcc, exec
	s_or_b64 s[10:11], s[10:11], s[16:17]
	s_or_b64 exec, exec, s[12:13]
	v_mov_b32_e32 v4, 0
	s_and_saveexec_b64 s[12:13], s[10:11]
	s_cbranch_execnz .LBB15_82
	s_branch .LBB15_83
.LBB15_313:
	s_mov_b64 s[2:3], -1
                                        ; implicit-def: $vgpr3
	s_mov_b64 s[0:1], 0
.LBB15_314:
	s_and_b64 vcc, exec, s[8:9]
	s_cbranch_vccz .LBB15_430
; %bb.315:
	s_cmp_eq_u32 s12, 44
	s_cbranch_scc0 .LBB15_429
; %bb.316:
	global_load_ubyte v3, v[1:2], off
	s_movk_i32 s2, 0xff
	v_mov_b32_e32 v4, 0x7f800001
	v_mov_b32_e32 v5, 0x400000
	s_mov_b64 s[0:1], -1
	s_waitcnt vmcnt(0)
	v_lshlrev_b32_e32 v6, 23, v3
	v_cmp_ne_u32_e32 vcc, s2, v3
	v_cndmask_b32_e32 v4, v4, v6, vcc
	v_cmp_ne_u32_e32 vcc, 0, v3
	v_cndmask_b32_e32 v3, v5, v4, vcc
	s_mov_b64 s[2:3], 0
	s_branch .LBB15_430
.LBB15_317:
	s_mov_b64 s[10:11], -1
	s_mov_b64 s[8:9], 0
	s_mov_b64 s[0:1], s[54:55]
.LBB15_318:
	s_and_b64 vcc, exec, s[10:11]
	s_cbranch_vccz .LBB15_323
; %bb.319:
	s_cmp_eq_u32 s15, 44
	s_mov_b64 s[0:1], -1
	s_cbranch_scc0 .LBB15_323
; %bb.320:
	v_bfe_u32 v3, v2, 23, 8
	s_movk_i32 s0, 0xff
	v_cmp_ne_u32_e32 vcc, s0, v3
	v_mov_b32_e32 v4, 0xff
	s_and_saveexec_b64 s[8:9], vcc
; %bb.321:
	s_mov_b32 s0, 0x3fffff
	v_and_b32_e32 v5, 0x400000, v2
	v_and_or_b32 v3, v2, s0, v3
	v_cmp_ne_u32_e32 vcc, 0, v5
	v_cmp_ne_u32_e64 s[0:1], 0, v3
	s_and_b64 s[0:1], vcc, s[0:1]
	v_lshrrev_b32_e32 v4, 23, v2
	v_cndmask_b32_e64 v3, 0, 1, s[0:1]
	v_add_u32_e32 v4, v4, v3
; %bb.322:
	s_or_b64 exec, exec, s[8:9]
	s_mov_b64 s[8:9], -1
	s_mov_b64 s[0:1], 0
	global_store_byte v[0:1], v4, off
.LBB15_323:
	s_mov_b64 s[10:11], 0
.LBB15_324:
	s_and_b64 vcc, exec, s[10:11]
	s_cbranch_vccz .LBB15_327
; %bb.325:
	s_cmp_eq_u32 s15, 29
	s_mov_b64 s[0:1], -1
	s_cbranch_scc0 .LBB15_327
; %bb.326:
	v_trunc_f32_e32 v3, v2
	v_mul_f32_e32 v4, 0x2f800000, v3
	v_floor_f32_e32 v5, v4
	v_fmac_f32_e32 v3, 0xcf800000, v5
	v_cvt_u32_f32_e32 v4, v5
	v_cvt_u32_f32_e32 v3, v3
	s_mov_b64 s[8:9], -1
	s_mov_b64 s[0:1], 0
	s_mov_b64 s[10:11], 0
	global_store_dwordx2 v[0:1], v[3:4], off
	s_branch .LBB15_328
.LBB15_327:
	s_mov_b64 s[10:11], 0
.LBB15_328:
	s_and_b64 vcc, exec, s[10:11]
	s_cbranch_vccz .LBB15_344
; %bb.329:
	s_cmp_lt_i32 s15, 27
	s_mov_b64 s[8:9], -1
	s_cbranch_scc1 .LBB15_335
; %bb.330:
	v_cvt_u32_f32_e32 v3, v2
	s_cmp_gt_i32 s15, 27
	s_cbranch_scc0 .LBB15_332
; %bb.331:
	s_mov_b64 s[8:9], 0
	global_store_dword v[0:1], v3, off
.LBB15_332:
	s_andn2_b64 vcc, exec, s[8:9]
	s_cbranch_vccnz .LBB15_334
; %bb.333:
	global_store_short v[0:1], v3, off
.LBB15_334:
	s_mov_b64 s[8:9], 0
.LBB15_335:
	s_andn2_b64 vcc, exec, s[8:9]
	s_cbranch_vccnz .LBB15_343
; %bb.336:
	v_and_b32_e32 v3, 0x7fffffff, v2
	s_mov_b32 s8, 0x43800000
	v_cmp_gt_u32_e32 vcc, s8, v3
	v_mov_b32_e32 v4, 0x80
	s_and_saveexec_b64 s[8:9], vcc
	s_cbranch_execz .LBB15_342
; %bb.337:
	s_mov_b32 s10, 0x3bffffff
	v_cmp_lt_u32_e32 vcc, s10, v3
	s_mov_b64 s[10:11], 0
                                        ; implicit-def: $vgpr3
	s_and_saveexec_b64 s[12:13], vcc
	s_xor_b64 s[12:13], exec, s[12:13]
	s_cbranch_execz .LBB15_570
; %bb.338:
	v_bfe_u32 v3, v2, 20, 1
	s_mov_b32 s16, 0x487ffff
	v_add3_u32 v3, v2, v3, s16
	s_mov_b64 s[10:11], exec
	v_lshrrev_b32_e32 v3, 20, v3
	s_andn2_saveexec_b64 s[12:13], s[12:13]
	s_cbranch_execnz .LBB15_571
.LBB15_339:
	s_or_b64 exec, exec, s[12:13]
	v_mov_b32_e32 v4, 0
	s_and_saveexec_b64 s[12:13], s[10:11]
.LBB15_340:
	v_lshrrev_b32_e32 v4, 24, v2
	s_movk_i32 s10, 0x80
	v_and_or_b32 v4, v4, s10, v3
.LBB15_341:
	s_or_b64 exec, exec, s[12:13]
.LBB15_342:
	s_or_b64 exec, exec, s[8:9]
	global_store_byte v[0:1], v4, off
.LBB15_343:
	s_mov_b64 s[8:9], -1
.LBB15_344:
	s_mov_b64 s[10:11], 0
.LBB15_345:
	s_and_b64 vcc, exec, s[10:11]
	s_cbranch_vccz .LBB15_386
; %bb.346:
	s_cmp_gt_i32 s15, 22
	s_mov_b64 s[10:11], -1
	s_cbranch_scc0 .LBB15_378
; %bb.347:
	s_cmp_lt_i32 s15, 24
	s_mov_b64 s[8:9], -1
	s_cbranch_scc1 .LBB15_367
; %bb.348:
	s_cmp_gt_i32 s15, 24
	s_cbranch_scc0 .LBB15_356
; %bb.349:
	v_and_b32_e32 v3, 0x7fffffff, v2
	s_mov_b32 s8, 0x47800000
	v_cmp_gt_u32_e32 vcc, s8, v3
	v_mov_b32_e32 v4, 0x80
	s_and_saveexec_b64 s[8:9], vcc
	s_cbranch_execz .LBB15_355
; %bb.350:
	s_mov_b32 s10, 0x37ffffff
	v_cmp_lt_u32_e32 vcc, s10, v3
	s_mov_b64 s[10:11], 0
                                        ; implicit-def: $vgpr3
	s_and_saveexec_b64 s[12:13], vcc
	s_xor_b64 s[12:13], exec, s[12:13]
	s_cbranch_execz .LBB15_573
; %bb.351:
	v_bfe_u32 v3, v2, 21, 1
	s_mov_b32 s16, 0x88fffff
	v_add3_u32 v3, v2, v3, s16
	s_mov_b64 s[10:11], exec
	v_lshrrev_b32_e32 v3, 21, v3
	s_andn2_saveexec_b64 s[12:13], s[12:13]
	s_cbranch_execnz .LBB15_574
.LBB15_352:
	s_or_b64 exec, exec, s[12:13]
	v_mov_b32_e32 v4, 0
	s_and_saveexec_b64 s[12:13], s[10:11]
.LBB15_353:
	v_lshrrev_b32_e32 v4, 24, v2
	s_movk_i32 s10, 0x80
	v_and_or_b32 v4, v4, s10, v3
.LBB15_354:
	s_or_b64 exec, exec, s[12:13]
.LBB15_355:
	s_or_b64 exec, exec, s[8:9]
	s_mov_b64 s[8:9], 0
	global_store_byte v[0:1], v4, off
.LBB15_356:
	s_and_b64 vcc, exec, s[8:9]
	s_cbranch_vccz .LBB15_366
; %bb.357:
	v_and_b32_e32 v4, 0x7fffffff, v2
	s_mov_b32 s8, 0x43f00000
	v_cmp_gt_u32_e32 vcc, s8, v4
                                        ; implicit-def: $vgpr3
	s_and_saveexec_b64 s[8:9], vcc
	s_xor_b64 s[8:9], exec, s[8:9]
	s_cbranch_execz .LBB15_363
; %bb.358:
	s_mov_b32 s10, 0x3c7fffff
	v_cmp_lt_u32_e32 vcc, s10, v4
                                        ; implicit-def: $vgpr3
	s_and_saveexec_b64 s[10:11], vcc
	s_xor_b64 s[10:11], exec, s[10:11]
; %bb.359:
	v_bfe_u32 v3, v2, 20, 1
	s_mov_b32 s12, 0x407ffff
	v_add3_u32 v3, v2, v3, s12
	v_lshrrev_b32_e32 v4, 20, v3
	v_and_b32_e32 v3, 0xff00000, v3
	s_mov_b32 s12, 0x7f00000
	v_mov_b32_e32 v5, 0x7e
	v_cmp_ne_u32_e32 vcc, s12, v3
	v_cndmask_b32_e32 v3, v5, v4, vcc
; %bb.360:
	s_andn2_saveexec_b64 s[10:11], s[10:11]
; %bb.361:
	s_mov_b32 s12, 0x46800000
	v_add_f32_e64 v3, |v2|, s12
; %bb.362:
	s_or_b64 exec, exec, s[10:11]
                                        ; implicit-def: $vgpr4
.LBB15_363:
	s_andn2_saveexec_b64 s[8:9], s[8:9]
; %bb.364:
	s_mov_b32 s10, 0x7f800000
	v_mov_b32_e32 v3, 0x7e
	v_mov_b32_e32 v5, 0x7f
	v_cmp_lt_u32_e32 vcc, s10, v4
	v_cndmask_b32_e32 v3, v3, v5, vcc
; %bb.365:
	s_or_b64 exec, exec, s[8:9]
	v_lshrrev_b32_e32 v4, 24, v2
	s_movk_i32 s8, 0x80
	v_and_or_b32 v3, v4, s8, v3
	global_store_byte v[0:1], v3, off
.LBB15_366:
	s_mov_b64 s[8:9], 0
.LBB15_367:
	s_andn2_b64 vcc, exec, s[8:9]
	s_cbranch_vccnz .LBB15_377
; %bb.368:
	v_and_b32_e32 v4, 0x7fffffff, v2
	s_mov_b32 s8, 0x47800000
	v_cmp_gt_u32_e32 vcc, s8, v4
                                        ; implicit-def: $vgpr3
	s_and_saveexec_b64 s[8:9], vcc
	s_xor_b64 s[8:9], exec, s[8:9]
	s_cbranch_execz .LBB15_374
; %bb.369:
	s_mov_b32 s10, 0x387fffff
	v_cmp_lt_u32_e32 vcc, s10, v4
                                        ; implicit-def: $vgpr3
	s_and_saveexec_b64 s[10:11], vcc
	s_xor_b64 s[10:11], exec, s[10:11]
; %bb.370:
	v_bfe_u32 v3, v2, 21, 1
	s_mov_b32 s12, 0x80fffff
	v_add3_u32 v3, v2, v3, s12
	v_lshrrev_b32_e32 v3, 21, v3
; %bb.371:
	s_andn2_saveexec_b64 s[10:11], s[10:11]
; %bb.372:
	s_mov_b32 s12, 0x43000000
	v_add_f32_e64 v3, |v2|, s12
; %bb.373:
	s_or_b64 exec, exec, s[10:11]
                                        ; implicit-def: $vgpr4
.LBB15_374:
	s_andn2_saveexec_b64 s[8:9], s[8:9]
; %bb.375:
	s_mov_b32 s10, 0x7f800000
	v_mov_b32_e32 v3, 0x7c
	v_mov_b32_e32 v5, 0x7f
	v_cmp_lt_u32_e32 vcc, s10, v4
	v_cndmask_b32_e32 v3, v3, v5, vcc
; %bb.376:
	s_or_b64 exec, exec, s[8:9]
	v_lshrrev_b32_e32 v4, 24, v2
	s_movk_i32 s8, 0x80
	v_and_or_b32 v3, v4, s8, v3
	global_store_byte v[0:1], v3, off
.LBB15_377:
	s_mov_b64 s[10:11], 0
	s_mov_b64 s[8:9], -1
.LBB15_378:
	s_andn2_b64 vcc, exec, s[10:11]
	s_cbranch_vccnz .LBB15_386
; %bb.379:
	s_cmp_gt_i32 s15, 14
	s_mov_b64 s[10:11], -1
	s_cbranch_scc0 .LBB15_383
; %bb.380:
	s_cmp_eq_u32 s15, 15
	s_mov_b64 s[0:1], -1
	s_cbranch_scc0 .LBB15_382
; %bb.381:
	v_bfe_u32 v3, v2, 16, 1
	s_movk_i32 s0, 0x7fff
	v_add3_u32 v3, v2, v3, s0
	v_cmp_o_f32_e32 vcc, v2, v2
	v_mov_b32_e32 v4, 0x7fc0
	v_cndmask_b32_sdwa v3, v4, v3, vcc dst_sel:DWORD dst_unused:UNUSED_PAD src0_sel:DWORD src1_sel:WORD_1
	global_store_short v[0:1], v3, off
	s_mov_b64 s[8:9], -1
	s_mov_b64 s[0:1], 0
.LBB15_382:
	s_mov_b64 s[10:11], 0
.LBB15_383:
	s_and_b64 vcc, exec, s[10:11]
	s_cbranch_vccz .LBB15_386
; %bb.384:
	s_cmp_eq_u32 s15, 11
	s_mov_b64 s[0:1], -1
	s_cbranch_scc0 .LBB15_386
; %bb.385:
	v_cmp_neq_f32_e32 vcc, 0, v2
	v_cndmask_b32_e64 v3, 0, 1, vcc
	s_mov_b64 s[8:9], -1
	s_mov_b64 s[0:1], 0
	global_store_byte v[0:1], v3, off
.LBB15_386:
	s_mov_b64 s[10:11], 0
.LBB15_387:
	s_and_b64 vcc, exec, s[10:11]
	s_cbranch_vccz .LBB15_426
; %bb.388:
	s_and_b32 s10, 0xffff, s14
	s_cmp_lt_i32 s10, 5
	s_mov_b64 s[8:9], -1
	s_cbranch_scc1 .LBB15_409
; %bb.389:
	s_cmp_lt_i32 s10, 8
	s_cbranch_scc1 .LBB15_399
; %bb.390:
	s_cmp_lt_i32 s10, 9
	s_cbranch_scc1 .LBB15_396
; %bb.391:
	s_cmp_gt_i32 s10, 9
	s_cbranch_scc0 .LBB15_393
; %bb.392:
	v_cvt_f64_f32_e32 v[3:4], v2
	v_mov_b32_e32 v5, 0
	v_mov_b32_e32 v6, v5
	s_mov_b64 s[8:9], 0
	global_store_dwordx4 v[0:1], v[3:6], off
.LBB15_393:
	s_andn2_b64 vcc, exec, s[8:9]
	s_cbranch_vccnz .LBB15_395
; %bb.394:
	v_mov_b32_e32 v3, 0
	global_store_dwordx2 v[0:1], v[2:3], off
.LBB15_395:
	s_mov_b64 s[8:9], 0
.LBB15_396:
	s_andn2_b64 vcc, exec, s[8:9]
	s_cbranch_vccnz .LBB15_398
; %bb.397:
	v_cvt_f16_f32_e32 v3, v2
	global_store_dword v[0:1], v3, off
.LBB15_398:
	s_mov_b64 s[8:9], 0
.LBB15_399:
	s_andn2_b64 vcc, exec, s[8:9]
	s_cbranch_vccnz .LBB15_408
; %bb.400:
	s_cmp_lt_i32 s10, 6
	s_mov_b64 s[8:9], -1
	s_cbranch_scc1 .LBB15_406
; %bb.401:
	s_cmp_gt_i32 s10, 6
	s_cbranch_scc0 .LBB15_403
; %bb.402:
	v_cvt_f64_f32_e32 v[3:4], v2
	s_mov_b64 s[8:9], 0
	global_store_dwordx2 v[0:1], v[3:4], off
.LBB15_403:
	s_andn2_b64 vcc, exec, s[8:9]
	s_cbranch_vccnz .LBB15_405
; %bb.404:
	global_store_dword v[0:1], v2, off
.LBB15_405:
	s_mov_b64 s[8:9], 0
.LBB15_406:
	s_andn2_b64 vcc, exec, s[8:9]
	s_cbranch_vccnz .LBB15_408
; %bb.407:
	v_cvt_f16_f32_e32 v3, v2
	global_store_short v[0:1], v3, off
.LBB15_408:
	s_mov_b64 s[8:9], 0
.LBB15_409:
	s_andn2_b64 vcc, exec, s[8:9]
	s_cbranch_vccnz .LBB15_425
; %bb.410:
	s_cmp_lt_i32 s10, 2
	s_mov_b64 s[8:9], -1
	s_cbranch_scc1 .LBB15_420
; %bb.411:
	s_cmp_lt_i32 s10, 3
	s_cbranch_scc1 .LBB15_417
; %bb.412:
	s_cmp_gt_i32 s10, 3
	s_cbranch_scc0 .LBB15_414
; %bb.413:
	v_trunc_f32_e32 v3, v2
	s_mov_b32 s8, 0x2f800000
	v_mul_f32_e64 v4, |v3|, s8
	v_floor_f32_e32 v4, v4
	s_mov_b32 s8, 0xcf800000
	v_cvt_u32_f32_e32 v5, v4
	v_fma_f32 v4, v4, s8, |v3|
	v_cvt_u32_f32_e32 v4, v4
	v_ashrrev_i32_e32 v6, 31, v3
	v_xor_b32_e32 v5, v5, v6
	s_mov_b64 s[8:9], 0
	v_xor_b32_e32 v3, v4, v6
	v_sub_co_u32_e32 v3, vcc, v3, v6
	v_subb_co_u32_e32 v4, vcc, v5, v6, vcc
	global_store_dwordx2 v[0:1], v[3:4], off
.LBB15_414:
	s_andn2_b64 vcc, exec, s[8:9]
	s_cbranch_vccnz .LBB15_416
; %bb.415:
	v_cvt_i32_f32_e32 v3, v2
	global_store_dword v[0:1], v3, off
.LBB15_416:
	s_mov_b64 s[8:9], 0
.LBB15_417:
	s_andn2_b64 vcc, exec, s[8:9]
	s_cbranch_vccnz .LBB15_419
; %bb.418:
	v_cvt_i32_f32_e32 v3, v2
	global_store_short v[0:1], v3, off
.LBB15_419:
	s_mov_b64 s[8:9], 0
.LBB15_420:
	s_andn2_b64 vcc, exec, s[8:9]
	s_cbranch_vccnz .LBB15_425
; %bb.421:
	s_cmp_gt_i32 s10, 0
	s_mov_b64 s[8:9], -1
	s_cbranch_scc0 .LBB15_423
; %bb.422:
	v_cvt_i32_f32_e32 v3, v2
	s_mov_b64 s[8:9], 0
	global_store_byte v[0:1], v3, off
.LBB15_423:
	s_andn2_b64 vcc, exec, s[8:9]
	s_cbranch_vccnz .LBB15_425
; %bb.424:
	v_trunc_f32_e32 v2, v2
	s_mov_b32 s8, 0x2f800000
	v_mul_f32_e64 v3, |v2|, s8
	v_floor_f32_e32 v3, v3
	s_mov_b32 s8, 0xcf800000
	v_fma_f32 v3, v3, s8, |v2|
	v_cvt_u32_f32_e32 v3, v3
	v_ashrrev_i32_e32 v2, 31, v2
	v_xor_b32_e32 v3, v3, v2
	v_sub_u32_e32 v2, v3, v2
	global_store_byte v[0:1], v2, off
.LBB15_425:
	s_mov_b64 s[8:9], -1
.LBB15_426:
	s_andn2_b64 vcc, exec, s[8:9]
	s_cbranch_vccnz .LBB15_428
; %bb.427:
	v_add_u32_e32 v8, 0x80, v8
	s_mov_b64 s[8:9], -1
	s_branch .LBB15_541
.LBB15_428:
	s_mov_b64 s[8:9], 0
	s_branch .LBB15_540
.LBB15_429:
	s_mov_b64 s[2:3], -1
                                        ; implicit-def: $vgpr3
.LBB15_430:
	s_mov_b64 s[8:9], 0
.LBB15_431:
	s_and_b64 vcc, exec, s[8:9]
	s_cbranch_vccz .LBB15_435
; %bb.432:
	s_cmp_eq_u32 s12, 29
	s_cbranch_scc0 .LBB15_434
; %bb.433:
	global_load_dwordx2 v[3:4], v[1:2], off
	s_mov_b64 s[0:1], -1
	s_mov_b64 s[2:3], 0
	s_mov_b64 s[8:9], 0
	s_waitcnt vmcnt(0)
	v_ffbh_u32_e32 v5, v4
	v_min_u32_e32 v5, 32, v5
	v_lshlrev_b64 v[3:4], v5, v[3:4]
	v_min_u32_e32 v3, 1, v3
	v_or_b32_e32 v3, v4, v3
	v_cvt_f32_u32_e32 v3, v3
	v_sub_u32_e32 v4, 32, v5
	v_ldexp_f32 v3, v3, v4
	s_branch .LBB15_436
.LBB15_434:
	s_mov_b64 s[2:3], -1
                                        ; implicit-def: $vgpr3
.LBB15_435:
	s_mov_b64 s[8:9], 0
.LBB15_436:
	s_and_b64 vcc, exec, s[8:9]
	s_cbranch_vccz .LBB15_454
; %bb.437:
	s_cmp_lt_i32 s12, 27
	s_cbranch_scc1 .LBB15_440
; %bb.438:
	s_cmp_gt_i32 s12, 27
	s_cbranch_scc0 .LBB15_441
; %bb.439:
	global_load_dword v3, v[1:2], off
	s_mov_b64 s[0:1], 0
	s_waitcnt vmcnt(0)
	v_cvt_f32_u32_e32 v3, v3
	s_branch .LBB15_442
.LBB15_440:
	s_mov_b64 s[0:1], -1
                                        ; implicit-def: $vgpr3
	s_branch .LBB15_445
.LBB15_441:
	s_mov_b64 s[0:1], -1
                                        ; implicit-def: $vgpr3
.LBB15_442:
	s_andn2_b64 vcc, exec, s[0:1]
	s_cbranch_vccnz .LBB15_444
; %bb.443:
	global_load_ushort v3, v[1:2], off
	s_waitcnt vmcnt(0)
	v_cvt_f32_u32_e32 v3, v3
.LBB15_444:
	s_mov_b64 s[0:1], 0
.LBB15_445:
	s_andn2_b64 vcc, exec, s[0:1]
	s_cbranch_vccnz .LBB15_453
; %bb.446:
	global_load_ubyte v4, v[1:2], off
	s_movk_i32 s0, 0x7f
	s_waitcnt vmcnt(0)
	v_cmp_lt_i16_e32 vcc, s0, v4
	s_mov_b64 s[0:1], 0
	s_and_saveexec_b64 s[8:9], vcc
	s_xor_b64 s[8:9], exec, s[8:9]
	s_cbranch_execz .LBB15_467
; %bb.447:
	s_movk_i32 s0, 0x80
	v_cmp_eq_u16_e32 vcc, s0, v4
	s_mov_b64 s[0:1], -1
	s_and_saveexec_b64 s[10:11], vcc
; %bb.448:
	s_xor_b64 s[0:1], exec, -1
; %bb.449:
	s_or_b64 exec, exec, s[10:11]
	s_and_b64 s[0:1], s[0:1], exec
	s_or_saveexec_b64 s[8:9], s[8:9]
	v_mov_b32_e32 v3, 0x7f800001
	s_xor_b64 exec, exec, s[8:9]
	s_cbranch_execnz .LBB15_468
.LBB15_450:
	s_or_b64 exec, exec, s[8:9]
	s_and_saveexec_b64 s[8:9], s[0:1]
	s_cbranch_execz .LBB15_452
.LBB15_451:
	v_lshlrev_b32_e32 v3, 24, v4
	v_and_b32_e32 v4, 0xffff, v4
	v_and_b32_e32 v5, 7, v4
	v_ffbh_u32_e32 v7, v5
	v_min_u32_e32 v7, 32, v7
	v_subrev_u32_e32 v9, 28, v7
	v_bfe_u32 v6, v4, 3, 4
	v_lshlrev_b32_e32 v4, v9, v4
	v_sub_u32_e32 v7, 29, v7
	v_and_b32_e32 v4, 7, v4
	v_cmp_eq_u32_e32 vcc, 0, v6
	v_cndmask_b32_e32 v6, v6, v7, vcc
	v_cndmask_b32_e32 v4, v5, v4, vcc
	v_mov_b32_e32 v5, 0x3b800000
	v_lshlrev_b32_e32 v4, 20, v4
	v_and_b32_e32 v3, 0x80000000, v3
	v_lshl_add_u32 v5, v6, 23, v5
	v_or3_b32 v3, v3, v5, v4
.LBB15_452:
	s_or_b64 exec, exec, s[8:9]
.LBB15_453:
	s_mov_b64 s[0:1], -1
.LBB15_454:
	s_mov_b64 s[8:9], 0
.LBB15_455:
	s_and_b64 vcc, exec, s[8:9]
	s_cbranch_vccz .LBB15_490
; %bb.456:
	s_cmp_gt_i32 s12, 22
	s_cbranch_scc0 .LBB15_466
; %bb.457:
	s_cmp_lt_i32 s12, 24
	s_cbranch_scc1 .LBB15_469
; %bb.458:
	s_cmp_gt_i32 s12, 24
	s_cbranch_scc0 .LBB15_470
; %bb.459:
	global_load_ubyte v4, v[1:2], off
	s_movk_i32 s0, 0x7f
	s_waitcnt vmcnt(0)
	v_cmp_lt_i16_e32 vcc, s0, v4
	s_mov_b64 s[0:1], 0
	s_and_saveexec_b64 s[8:9], vcc
	s_xor_b64 s[8:9], exec, s[8:9]
	s_cbranch_execz .LBB15_482
; %bb.460:
	s_movk_i32 s0, 0x80
	v_cmp_eq_u16_e32 vcc, s0, v4
	s_mov_b64 s[0:1], -1
	s_and_saveexec_b64 s[10:11], vcc
; %bb.461:
	s_xor_b64 s[0:1], exec, -1
; %bb.462:
	s_or_b64 exec, exec, s[10:11]
	s_and_b64 s[0:1], s[0:1], exec
	s_or_saveexec_b64 s[8:9], s[8:9]
	v_mov_b32_e32 v3, 0x7f800001
	s_xor_b64 exec, exec, s[8:9]
	s_cbranch_execnz .LBB15_483
.LBB15_463:
	s_or_b64 exec, exec, s[8:9]
	s_and_saveexec_b64 s[8:9], s[0:1]
	s_cbranch_execz .LBB15_465
.LBB15_464:
	v_lshlrev_b32_e32 v3, 24, v4
	v_and_b32_e32 v4, 0xffff, v4
	v_and_b32_e32 v5, 3, v4
	v_ffbh_u32_e32 v7, v5
	v_min_u32_e32 v7, 32, v7
	v_subrev_u32_e32 v9, 29, v7
	v_bfe_u32 v6, v4, 2, 5
	v_lshlrev_b32_e32 v4, v9, v4
	v_sub_u32_e32 v7, 30, v7
	v_and_b32_e32 v4, 3, v4
	v_cmp_eq_u32_e32 vcc, 0, v6
	v_cndmask_b32_e32 v6, v6, v7, vcc
	v_cndmask_b32_e32 v4, v5, v4, vcc
	v_mov_b32_e32 v5, 0x37800000
	v_lshlrev_b32_e32 v4, 21, v4
	v_and_b32_e32 v3, 0x80000000, v3
	v_lshl_add_u32 v5, v6, 23, v5
	v_or3_b32 v3, v3, v5, v4
.LBB15_465:
	s_or_b64 exec, exec, s[8:9]
	s_mov_b64 s[0:1], 0
	s_branch .LBB15_471
.LBB15_466:
	s_mov_b64 s[8:9], -1
                                        ; implicit-def: $vgpr3
	s_branch .LBB15_477
.LBB15_467:
	s_or_saveexec_b64 s[8:9], s[8:9]
	v_mov_b32_e32 v3, 0x7f800001
	s_xor_b64 exec, exec, s[8:9]
	s_cbranch_execz .LBB15_450
.LBB15_468:
	v_cmp_ne_u16_e32 vcc, 0, v4
	s_andn2_b64 s[0:1], s[0:1], exec
	s_and_b64 s[10:11], vcc, exec
	v_mov_b32_e32 v3, 0
	s_or_b64 s[0:1], s[0:1], s[10:11]
	s_or_b64 exec, exec, s[8:9]
	s_and_saveexec_b64 s[8:9], s[0:1]
	s_cbranch_execnz .LBB15_451
	s_branch .LBB15_452
.LBB15_469:
	s_mov_b64 s[0:1], -1
                                        ; implicit-def: $vgpr3
	s_branch .LBB15_474
.LBB15_470:
	s_mov_b64 s[0:1], -1
                                        ; implicit-def: $vgpr3
.LBB15_471:
	s_and_b64 vcc, exec, s[0:1]
	s_cbranch_vccz .LBB15_473
; %bb.472:
	global_load_ubyte v3, v[1:2], off
	s_mov_b32 s0, 0x7f800000
	s_waitcnt vmcnt(0)
	v_lshlrev_b32_e32 v3, 24, v3
	v_and_b32_e32 v4, 0x7f000000, v3
	v_ffbh_u32_e32 v5, v4
	v_min_u32_e32 v5, 32, v5
	v_sub_u32_e64 v5, v5, 4 clamp
	v_lshlrev_b32_e32 v7, v5, v4
	v_lshlrev_b32_e32 v5, 23, v5
	v_lshrrev_b32_e32 v7, 4, v7
	v_add_u32_e32 v6, 0x1000000, v4
	v_sub_u32_e32 v5, v7, v5
	v_ashrrev_i32_e32 v6, 8, v6
	v_add_u32_e32 v5, 0x3c000000, v5
	v_and_or_b32 v5, v6, s0, v5
	v_cmp_ne_u32_e32 vcc, 0, v4
	v_cndmask_b32_e32 v4, 0, v5, vcc
	s_brev_b32 s0, 1
	v_and_or_b32 v3, v3, s0, v4
.LBB15_473:
	s_mov_b64 s[0:1], 0
.LBB15_474:
	s_andn2_b64 vcc, exec, s[0:1]
	s_cbranch_vccnz .LBB15_476
; %bb.475:
	global_load_ubyte v3, v[1:2], off
	s_movk_i32 s0, 0x7f00
	s_brev_b32 s1, 16
	s_waitcnt vmcnt(0)
	v_lshlrev_b16_e32 v4, 8, v3
	v_lshlrev_b32_e32 v3, 25, v3
	v_lshrrev_b32_e32 v5, 4, v3
	v_and_or_b32 v6, v4, s0, 0.5
	v_or_b32_e32 v5, 0x70000000, v5
	v_add_f32_e32 v6, -0.5, v6
	v_mul_f32_e32 v5, 0x7800000, v5
	v_cmp_gt_u32_e32 vcc, s1, v3
	v_bfe_i32 v4, v4, 0, 16
	v_cndmask_b32_e32 v3, v5, v6, vcc
	s_brev_b32 s0, 1
	v_and_or_b32 v3, v4, s0, v3
.LBB15_476:
	s_mov_b64 s[8:9], 0
	s_mov_b64 s[0:1], -1
.LBB15_477:
	s_andn2_b64 vcc, exec, s[8:9]
	s_cbranch_vccnz .LBB15_490
; %bb.478:
	s_cmp_gt_i32 s12, 14
	s_cbranch_scc0 .LBB15_481
; %bb.479:
	s_cmp_eq_u32 s12, 15
	s_cbranch_scc0 .LBB15_484
; %bb.480:
	global_load_ushort v3, v[1:2], off
	s_mov_b64 s[0:1], -1
	s_mov_b64 s[2:3], 0
	s_waitcnt vmcnt(0)
	v_lshlrev_b32_e32 v3, 16, v3
	s_branch .LBB15_485
.LBB15_481:
	s_mov_b64 s[8:9], -1
                                        ; implicit-def: $vgpr3
	s_branch .LBB15_486
.LBB15_482:
	s_or_saveexec_b64 s[8:9], s[8:9]
	v_mov_b32_e32 v3, 0x7f800001
	s_xor_b64 exec, exec, s[8:9]
	s_cbranch_execz .LBB15_463
.LBB15_483:
	v_cmp_ne_u16_e32 vcc, 0, v4
	s_andn2_b64 s[0:1], s[0:1], exec
	s_and_b64 s[10:11], vcc, exec
	v_mov_b32_e32 v3, 0
	s_or_b64 s[0:1], s[0:1], s[10:11]
	s_or_b64 exec, exec, s[8:9]
	s_and_saveexec_b64 s[8:9], s[0:1]
	s_cbranch_execnz .LBB15_464
	s_branch .LBB15_465
.LBB15_484:
	s_mov_b64 s[2:3], -1
                                        ; implicit-def: $vgpr3
.LBB15_485:
	s_mov_b64 s[8:9], 0
.LBB15_486:
	s_and_b64 vcc, exec, s[8:9]
	s_cbranch_vccz .LBB15_490
; %bb.487:
	s_cmp_eq_u32 s12, 11
	s_cbranch_scc0 .LBB15_489
; %bb.488:
	global_load_ubyte v3, v[1:2], off
	s_mov_b64 s[0:1], -1
	s_mov_b64 s[2:3], 0
	s_waitcnt vmcnt(0)
	v_cmp_ne_u16_e32 vcc, 0, v3
	v_cndmask_b32_e64 v3, 0, 1.0, vcc
	s_branch .LBB15_490
.LBB15_489:
	s_mov_b64 s[2:3], -1
                                        ; implicit-def: $vgpr3
.LBB15_490:
	s_branch .LBB15_293
.LBB15_491:
	s_cmp_lt_i32 s12, 5
	s_cbranch_scc1 .LBB15_496
; %bb.492:
	s_cmp_lt_i32 s12, 8
	s_cbranch_scc1 .LBB15_497
; %bb.493:
	;; [unrolled: 3-line block ×3, first 2 shown]
	s_cmp_gt_i32 s12, 9
	s_cbranch_scc0 .LBB15_499
; %bb.495:
	global_load_dwordx2 v[3:4], v[1:2], off
	s_mov_b64 s[0:1], 0
	s_waitcnt vmcnt(0)
	v_cvt_f32_f64_e32 v3, v[3:4]
	s_branch .LBB15_500
.LBB15_496:
	s_mov_b64 s[0:1], -1
                                        ; implicit-def: $vgpr3
	s_branch .LBB15_518
.LBB15_497:
	s_mov_b64 s[0:1], -1
                                        ; implicit-def: $vgpr3
	s_branch .LBB15_506
.LBB15_498:
	s_mov_b64 s[0:1], -1
                                        ; implicit-def: $vgpr3
	s_branch .LBB15_503
.LBB15_499:
	s_mov_b64 s[0:1], -1
                                        ; implicit-def: $vgpr3
.LBB15_500:
	s_andn2_b64 vcc, exec, s[0:1]
	s_cbranch_vccnz .LBB15_502
; %bb.501:
	global_load_dword v3, v[1:2], off
.LBB15_502:
	s_mov_b64 s[0:1], 0
.LBB15_503:
	s_andn2_b64 vcc, exec, s[0:1]
	s_cbranch_vccnz .LBB15_505
; %bb.504:
	global_load_dword v3, v[1:2], off
	s_waitcnt vmcnt(0)
	v_cvt_f32_f16_e32 v3, v3
.LBB15_505:
	s_mov_b64 s[0:1], 0
.LBB15_506:
	s_andn2_b64 vcc, exec, s[0:1]
	s_cbranch_vccnz .LBB15_517
; %bb.507:
	s_cmp_lt_i32 s12, 6
	s_cbranch_scc1 .LBB15_510
; %bb.508:
	s_cmp_gt_i32 s12, 6
	s_cbranch_scc0 .LBB15_511
; %bb.509:
	global_load_dwordx2 v[3:4], v[1:2], off
	s_mov_b64 s[0:1], 0
	s_waitcnt vmcnt(0)
	v_cvt_f32_f64_e32 v3, v[3:4]
	s_branch .LBB15_512
.LBB15_510:
	s_mov_b64 s[0:1], -1
                                        ; implicit-def: $vgpr3
	s_branch .LBB15_515
.LBB15_511:
	s_mov_b64 s[0:1], -1
                                        ; implicit-def: $vgpr3
.LBB15_512:
	s_andn2_b64 vcc, exec, s[0:1]
	s_cbranch_vccnz .LBB15_514
; %bb.513:
	global_load_dword v3, v[1:2], off
.LBB15_514:
	s_mov_b64 s[0:1], 0
.LBB15_515:
	s_andn2_b64 vcc, exec, s[0:1]
	s_cbranch_vccnz .LBB15_517
; %bb.516:
	global_load_ushort v3, v[1:2], off
	s_waitcnt vmcnt(0)
	v_cvt_f32_f16_e32 v3, v3
.LBB15_517:
	s_mov_b64 s[0:1], 0
.LBB15_518:
	s_andn2_b64 vcc, exec, s[0:1]
	s_cbranch_vccnz .LBB15_538
; %bb.519:
	s_cmp_lt_i32 s12, 2
	s_cbranch_scc1 .LBB15_523
; %bb.520:
	s_cmp_lt_i32 s12, 3
	s_cbranch_scc1 .LBB15_524
; %bb.521:
	s_cmp_gt_i32 s12, 3
	s_cbranch_scc0 .LBB15_525
; %bb.522:
	global_load_dwordx2 v[3:4], v[1:2], off
	s_mov_b64 s[0:1], 0
	s_waitcnt vmcnt(0)
	v_xor_b32_e32 v6, v3, v4
	v_ffbh_i32_e32 v5, v4
	v_ashrrev_i32_e32 v6, 31, v6
	v_add_u32_e32 v5, -1, v5
	v_add_u32_e32 v6, 32, v6
	v_min_u32_e32 v5, v5, v6
	v_lshlrev_b64 v[3:4], v5, v[3:4]
	v_min_u32_e32 v3, 1, v3
	v_or_b32_e32 v3, v4, v3
	v_cvt_f32_i32_e32 v3, v3
	v_sub_u32_e32 v4, 32, v5
	v_ldexp_f32 v3, v3, v4
	s_branch .LBB15_526
.LBB15_523:
	s_mov_b64 s[0:1], -1
                                        ; implicit-def: $vgpr3
	s_branch .LBB15_532
.LBB15_524:
	s_mov_b64 s[0:1], -1
                                        ; implicit-def: $vgpr3
	s_branch .LBB15_529
.LBB15_525:
	s_mov_b64 s[0:1], -1
                                        ; implicit-def: $vgpr3
.LBB15_526:
	s_andn2_b64 vcc, exec, s[0:1]
	s_cbranch_vccnz .LBB15_528
; %bb.527:
	global_load_dword v3, v[1:2], off
	s_waitcnt vmcnt(0)
	v_cvt_f32_i32_e32 v3, v3
.LBB15_528:
	s_mov_b64 s[0:1], 0
.LBB15_529:
	s_andn2_b64 vcc, exec, s[0:1]
	s_cbranch_vccnz .LBB15_531
; %bb.530:
	global_load_sshort v3, v[1:2], off
	s_waitcnt vmcnt(0)
	v_cvt_f32_i32_e32 v3, v3
.LBB15_531:
	s_mov_b64 s[0:1], 0
.LBB15_532:
	s_andn2_b64 vcc, exec, s[0:1]
	s_cbranch_vccnz .LBB15_538
; %bb.533:
	s_cmp_gt_i32 s12, 0
	s_cbranch_scc0 .LBB15_535
; %bb.534:
	global_load_sbyte v3, v[1:2], off
	s_mov_b64 s[0:1], 0
	s_waitcnt vmcnt(0)
	v_cvt_f32_i32_e32 v3, v3
	s_branch .LBB15_536
.LBB15_535:
	s_mov_b64 s[0:1], -1
                                        ; implicit-def: $vgpr3
.LBB15_536:
	s_andn2_b64 vcc, exec, s[0:1]
	s_cbranch_vccnz .LBB15_538
; %bb.537:
	global_load_ubyte v1, v[1:2], off
	s_waitcnt vmcnt(0)
	v_cvt_f32_ubyte0_e32 v3, v1
.LBB15_538:
	s_branch .LBB15_294
.LBB15_539:
	s_mov_b64 s[8:9], 0
	s_mov_b64 s[0:1], s[54:55]
.LBB15_540:
                                        ; implicit-def: $vgpr8
.LBB15_541:
	s_andn2_b64 s[10:11], s[54:55], exec
	s_and_b64 s[0:1], s[0:1], exec
	s_or_b64 s[62:63], s[10:11], s[0:1]
	s_andn2_b64 s[0:1], s[56:57], exec
	s_and_b64 s[2:3], s[2:3], exec
	s_or_b64 s[60:61], s[0:1], s[2:3]
	s_orn2_b64 s[0:1], s[8:9], exec
.LBB15_542:
	s_or_b64 exec, exec, s[64:65]
	s_mov_b64 s[2:3], 0
	s_mov_b64 s[8:9], 0
	;; [unrolled: 1-line block ×3, first 2 shown]
                                        ; implicit-def: $vgpr1_vgpr2
                                        ; implicit-def: $vgpr0
                                        ; implicit-def: $vgpr4
	s_and_saveexec_b64 s[64:65], s[0:1]
	s_cbranch_execz .LBB15_917
; %bb.543:
	v_cmp_gt_i32_e32 vcc, s72, v8
	s_mov_b64 s[2:3], -1
	s_mov_b64 s[68:69], s[60:61]
	s_mov_b64 s[70:71], s[62:63]
	s_and_saveexec_b64 s[66:67], vcc
	s_cbranch_execz .LBB15_817
; %bb.544:
	s_andn2_b64 vcc, exec, s[40:41]
	s_cbranch_vccnz .LBB15_549
; %bb.545:
	s_andn2_b64 vcc, exec, s[52:53]
	s_cbranch_vccnz .LBB15_550
; %bb.546:
	s_add_i32 s77, s76, 1
	s_cmp_eq_u32 s74, 2
	s_cbranch_scc1 .LBB15_551
; %bb.547:
	s_and_b32 s73, s77, 28
	v_mov_b32_e32 v2, 0
	s_mov_b32 s78, 0
	s_mov_b64 s[68:69], s[34:35]
	s_mov_b64 s[70:71], s[50:51]
	v_mov_b32_e32 v0, 0
	v_mov_b32_e32 v1, v8
.LBB15_548:                             ; =>This Inner Loop Header: Depth=1
	s_load_dwordx8 s[16:23], s[68:69], 0x4
	s_load_dwordx4 s[0:3], s[68:69], 0x24
	s_load_dwordx8 s[8:15], s[70:71], 0x0
	s_add_u32 s68, s68, 48
	s_addc_u32 s69, s69, 0
	s_waitcnt vmcnt(0) lgkmcnt(0)
	v_mul_hi_u32 v3, s17, v1
	s_add_i32 s78, s78, 4
	s_add_u32 s70, s70, 32
	s_addc_u32 s71, s71, 0
	v_add_u32_e32 v3, v1, v3
	v_lshrrev_b32_e32 v3, s18, v3
	v_mul_lo_u32 v4, v3, s16
	v_mul_hi_u32 v5, s20, v3
	s_cmp_eq_u32 s73, s78
	v_sub_u32_e32 v1, v1, v4
	v_add_u32_e32 v4, v3, v5
	v_mul_lo_u32 v5, v1, s8
	v_mul_lo_u32 v6, v1, s9
	v_lshrrev_b32_e32 v1, s21, v4
	v_mul_lo_u32 v4, v1, s19
	v_mul_hi_u32 v7, s23, v1
	v_sub_u32_e32 v3, v3, v4
	v_add_u32_e32 v4, v1, v7
	v_lshrrev_b32_e32 v4, s0, v4
	v_mul_hi_u32 v9, s2, v4
	v_mul_lo_u32 v10, v4, s22
	v_mul_lo_u32 v7, v3, s10
	v_mul_lo_u32 v3, v3, s11
	v_sub_u32_e32 v10, v1, v10
	v_add_u32_e32 v1, v4, v9
	v_lshrrev_b32_e32 v1, s3, v1
	v_mul_lo_u32 v9, v1, s1
	v_mul_lo_u32 v11, v10, s12
	;; [unrolled: 1-line block ×3, first 2 shown]
	v_add3_u32 v0, v5, v0, v7
	v_sub_u32_e32 v4, v4, v9
	v_mul_lo_u32 v9, v4, s14
	v_mul_lo_u32 v4, v4, s15
	v_add3_u32 v2, v6, v2, v3
	v_add3_u32 v0, v11, v0, v9
	;; [unrolled: 1-line block ×3, first 2 shown]
	s_cbranch_scc0 .LBB15_548
	s_branch .LBB15_552
.LBB15_549:
	s_mov_b64 s[0:1], -1
                                        ; implicit-def: $vgpr0
                                        ; implicit-def: $vgpr2
	s_branch .LBB15_556
.LBB15_550:
	v_mov_b32_e32 v0, 0
	v_mov_b32_e32 v2, 0
	s_branch .LBB15_555
.LBB15_551:
	s_mov_b32 s73, 0
	v_mov_b32_e32 v0, 0
	v_mov_b32_e32 v2, 0
	;; [unrolled: 1-line block ×3, first 2 shown]
.LBB15_552:
	s_and_b32 s8, s77, 3
	s_cmp_eq_u32 s8, 0
	s_cbranch_scc1 .LBB15_555
; %bb.553:
	s_lshl_b32 s0, s73, 3
	s_add_u32 s0, s34, s0
	s_addc_u32 s1, s35, 0
	s_add_u32 s0, s0, 0xc4
	s_addc_u32 s1, s1, 0
	s_mul_i32 s2, s73, 12
	s_add_u32 s2, s34, s2
	s_addc_u32 s3, s35, 0
.LBB15_554:                             ; =>This Inner Loop Header: Depth=1
	s_load_dwordx2 s[10:11], s[2:3], 0x4
	s_load_dword s9, s[2:3], 0xc
	s_load_dwordx2 s[12:13], s[0:1], 0x0
	s_add_u32 s2, s2, 12
	s_addc_u32 s3, s3, 0
	s_waitcnt vmcnt(0) lgkmcnt(0)
	v_mul_hi_u32 v3, s11, v1
	s_add_u32 s0, s0, 8
	s_addc_u32 s1, s1, 0
	s_add_i32 s8, s8, -1
	v_add_u32_e32 v3, v1, v3
	v_lshrrev_b32_e32 v4, s9, v3
	v_mul_lo_u32 v3, v4, s10
	s_cmp_lg_u32 s8, 0
	v_sub_u32_e32 v3, v1, v3
	v_mad_u64_u32 v[0:1], s[10:11], v3, s12, v[0:1]
	v_mad_u64_u32 v[2:3], s[10:11], v3, s13, v[2:3]
	v_mov_b32_e32 v1, v4
	s_cbranch_scc1 .LBB15_554
.LBB15_555:
	s_mov_b64 s[0:1], 0
.LBB15_556:
	s_andn2_b64 vcc, exec, s[0:1]
	s_cbranch_vccnz .LBB15_559
; %bb.557:
	v_mul_hi_u32 v0, s29, v8
	s_andn2_b64 vcc, exec, s[48:49]
	v_add_u32_e32 v0, v8, v0
	v_lshrrev_b32_e32 v1, s30, v0
	v_mul_lo_u32 v0, v1, s28
	v_sub_u32_e32 v2, v8, v0
	v_mul_lo_u32 v0, v2, s36
	v_mul_lo_u32 v2, v2, s37
	s_cbranch_vccnz .LBB15_559
; %bb.558:
	s_waitcnt vmcnt(0)
	v_mul_hi_u32 v3, s46, v1
	v_add_u32_e32 v3, v1, v3
	v_lshrrev_b32_e32 v3, s47, v3
	v_mul_lo_u32 v3, v3, s31
	v_sub_u32_e32 v3, v1, v3
	v_mad_u64_u32 v[0:1], s[0:1], v3, s38, v[0:1]
	v_mad_u64_u32 v[2:3], s[0:1], v3, s39, v[2:3]
.LBB15_559:
	s_waitcnt vmcnt(0)
	v_mov_b32_e32 v3, s27
	s_and_b32 s12, 0xffff, s75
	v_add_co_u32_e32 v1, vcc, s26, v2
	s_cmp_lt_i32 s12, 11
	v_addc_co_u32_e32 v2, vcc, 0, v3, vcc
	s_cbranch_scc1 .LBB15_566
; %bb.560:
	s_cmp_gt_i32 s12, 25
	s_cbranch_scc0 .LBB15_567
; %bb.561:
	s_cmp_gt_i32 s12, 28
	s_cbranch_scc0 .LBB15_568
	;; [unrolled: 3-line block ×4, first 2 shown]
; %bb.564:
	s_cmp_eq_u32 s12, 46
	s_mov_b64 s[8:9], 0
	s_cbranch_scc0 .LBB15_575
; %bb.565:
	global_load_dword v3, v[1:2], off
	s_mov_b64 s[0:1], -1
	s_mov_b64 s[2:3], 0
	s_waitcnt vmcnt(0)
	v_lshlrev_b32_e32 v3, 16, v3
	s_branch .LBB15_576
.LBB15_566:
	s_mov_b64 s[8:9], -1
	s_mov_b64 s[0:1], 0
                                        ; implicit-def: $vgpr3
	s_mov_b64 s[2:3], s[60:61]
	s_branch .LBB15_641
.LBB15_567:
	s_mov_b64 s[8:9], -1
	s_mov_b64 s[0:1], 0
	s_mov_b64 s[2:3], s[60:61]
                                        ; implicit-def: $vgpr3
	s_branch .LBB15_605
.LBB15_568:
	s_mov_b64 s[8:9], -1
	s_mov_b64 s[0:1], 0
	s_mov_b64 s[2:3], s[60:61]
                                        ; implicit-def: $vgpr3
	s_branch .LBB15_586
.LBB15_569:
	s_mov_b64 s[8:9], -1
	s_mov_b64 s[0:1], 0
	s_mov_b64 s[2:3], s[60:61]
                                        ; implicit-def: $vgpr3
	s_branch .LBB15_581
.LBB15_570:
	s_andn2_saveexec_b64 s[12:13], s[12:13]
	s_cbranch_execz .LBB15_339
.LBB15_571:
	s_mov_b32 s16, 0x46000000
	v_add_f32_e64 v3, |v2|, s16
	v_and_b32_e32 v3, 0xff, v3
	v_cmp_ne_u32_e32 vcc, 0, v3
	s_andn2_b64 s[10:11], s[10:11], exec
	s_and_b64 s[16:17], vcc, exec
	s_or_b64 s[10:11], s[10:11], s[16:17]
	s_or_b64 exec, exec, s[12:13]
	v_mov_b32_e32 v4, 0
	s_and_saveexec_b64 s[12:13], s[10:11]
	s_cbranch_execnz .LBB15_340
	s_branch .LBB15_341
.LBB15_572:
	s_mov_b64 s[8:9], -1
	s_mov_b64 s[0:1], 0
	s_mov_b64 s[2:3], s[60:61]
                                        ; implicit-def: $vgpr3
	s_branch .LBB15_576
.LBB15_573:
	s_andn2_saveexec_b64 s[12:13], s[12:13]
	s_cbranch_execz .LBB15_352
.LBB15_574:
	s_mov_b32 s16, 0x42800000
	v_add_f32_e64 v3, |v2|, s16
	v_and_b32_e32 v3, 0xff, v3
	v_cmp_ne_u32_e32 vcc, 0, v3
	s_andn2_b64 s[10:11], s[10:11], exec
	s_and_b64 s[16:17], vcc, exec
	s_or_b64 s[10:11], s[10:11], s[16:17]
	s_or_b64 exec, exec, s[12:13]
	v_mov_b32_e32 v4, 0
	s_and_saveexec_b64 s[12:13], s[10:11]
	s_cbranch_execnz .LBB15_353
	s_branch .LBB15_354
.LBB15_575:
	s_mov_b64 s[2:3], -1
                                        ; implicit-def: $vgpr3
	s_mov_b64 s[0:1], 0
.LBB15_576:
	s_and_b64 vcc, exec, s[8:9]
	s_cbranch_vccz .LBB15_580
; %bb.577:
	s_cmp_eq_u32 s12, 44
	s_cbranch_scc0 .LBB15_579
; %bb.578:
	global_load_ubyte v3, v[1:2], off
	s_movk_i32 s2, 0xff
	v_mov_b32_e32 v4, 0x7f800001
	v_mov_b32_e32 v5, 0x400000
	s_mov_b64 s[0:1], -1
	s_waitcnt vmcnt(0)
	v_lshlrev_b32_e32 v6, 23, v3
	v_cmp_ne_u32_e32 vcc, s2, v3
	v_cndmask_b32_e32 v4, v4, v6, vcc
	v_cmp_ne_u32_e32 vcc, 0, v3
	v_cndmask_b32_e32 v3, v5, v4, vcc
	s_mov_b64 s[2:3], 0
	s_branch .LBB15_580
.LBB15_579:
	s_mov_b64 s[2:3], -1
                                        ; implicit-def: $vgpr3
.LBB15_580:
	s_mov_b64 s[8:9], 0
.LBB15_581:
	s_and_b64 vcc, exec, s[8:9]
	s_cbranch_vccz .LBB15_585
; %bb.582:
	s_cmp_eq_u32 s12, 29
	s_cbranch_scc0 .LBB15_584
; %bb.583:
	global_load_dwordx2 v[3:4], v[1:2], off
	s_mov_b64 s[0:1], -1
	s_mov_b64 s[2:3], 0
	s_mov_b64 s[8:9], 0
	s_waitcnt vmcnt(0)
	v_ffbh_u32_e32 v5, v4
	v_min_u32_e32 v5, 32, v5
	v_lshlrev_b64 v[3:4], v5, v[3:4]
	v_min_u32_e32 v3, 1, v3
	v_or_b32_e32 v3, v4, v3
	v_cvt_f32_u32_e32 v3, v3
	v_sub_u32_e32 v4, 32, v5
	v_ldexp_f32 v3, v3, v4
	s_branch .LBB15_586
.LBB15_584:
	s_mov_b64 s[2:3], -1
                                        ; implicit-def: $vgpr3
.LBB15_585:
	s_mov_b64 s[8:9], 0
.LBB15_586:
	s_and_b64 vcc, exec, s[8:9]
	s_cbranch_vccz .LBB15_604
; %bb.587:
	s_cmp_lt_i32 s12, 27
	s_cbranch_scc1 .LBB15_590
; %bb.588:
	s_cmp_gt_i32 s12, 27
	s_cbranch_scc0 .LBB15_591
; %bb.589:
	global_load_dword v3, v[1:2], off
	s_mov_b64 s[0:1], 0
	s_waitcnt vmcnt(0)
	v_cvt_f32_u32_e32 v3, v3
	s_branch .LBB15_592
.LBB15_590:
	s_mov_b64 s[0:1], -1
                                        ; implicit-def: $vgpr3
	s_branch .LBB15_595
.LBB15_591:
	s_mov_b64 s[0:1], -1
                                        ; implicit-def: $vgpr3
.LBB15_592:
	s_andn2_b64 vcc, exec, s[0:1]
	s_cbranch_vccnz .LBB15_594
; %bb.593:
	global_load_ushort v3, v[1:2], off
	s_waitcnt vmcnt(0)
	v_cvt_f32_u32_e32 v3, v3
.LBB15_594:
	s_mov_b64 s[0:1], 0
.LBB15_595:
	s_andn2_b64 vcc, exec, s[0:1]
	s_cbranch_vccnz .LBB15_603
; %bb.596:
	global_load_ubyte v4, v[1:2], off
	s_movk_i32 s0, 0x7f
	s_waitcnt vmcnt(0)
	v_cmp_lt_i16_e32 vcc, s0, v4
	s_mov_b64 s[0:1], 0
	s_and_saveexec_b64 s[8:9], vcc
	s_xor_b64 s[8:9], exec, s[8:9]
	s_cbranch_execz .LBB15_617
; %bb.597:
	s_movk_i32 s0, 0x80
	v_cmp_eq_u16_e32 vcc, s0, v4
	s_mov_b64 s[0:1], -1
	s_and_saveexec_b64 s[10:11], vcc
; %bb.598:
	s_xor_b64 s[0:1], exec, -1
; %bb.599:
	s_or_b64 exec, exec, s[10:11]
	s_and_b64 s[0:1], s[0:1], exec
	s_or_saveexec_b64 s[8:9], s[8:9]
	v_mov_b32_e32 v3, 0x7f800001
	s_xor_b64 exec, exec, s[8:9]
	s_cbranch_execnz .LBB15_618
.LBB15_600:
	s_or_b64 exec, exec, s[8:9]
	s_and_saveexec_b64 s[8:9], s[0:1]
	s_cbranch_execz .LBB15_602
.LBB15_601:
	v_lshlrev_b32_e32 v3, 24, v4
	v_and_b32_e32 v4, 0xffff, v4
	v_and_b32_e32 v5, 7, v4
	v_ffbh_u32_e32 v7, v5
	v_min_u32_e32 v7, 32, v7
	v_subrev_u32_e32 v9, 28, v7
	v_bfe_u32 v6, v4, 3, 4
	v_lshlrev_b32_e32 v4, v9, v4
	v_sub_u32_e32 v7, 29, v7
	v_and_b32_e32 v4, 7, v4
	v_cmp_eq_u32_e32 vcc, 0, v6
	v_cndmask_b32_e32 v6, v6, v7, vcc
	v_cndmask_b32_e32 v4, v5, v4, vcc
	v_mov_b32_e32 v5, 0x3b800000
	v_lshlrev_b32_e32 v4, 20, v4
	v_and_b32_e32 v3, 0x80000000, v3
	v_lshl_add_u32 v5, v6, 23, v5
	v_or3_b32 v3, v3, v5, v4
.LBB15_602:
	s_or_b64 exec, exec, s[8:9]
.LBB15_603:
	s_mov_b64 s[0:1], -1
.LBB15_604:
	s_mov_b64 s[8:9], 0
.LBB15_605:
	s_and_b64 vcc, exec, s[8:9]
	s_cbranch_vccz .LBB15_640
; %bb.606:
	s_cmp_gt_i32 s12, 22
	s_cbranch_scc0 .LBB15_616
; %bb.607:
	s_cmp_lt_i32 s12, 24
	s_cbranch_scc1 .LBB15_619
; %bb.608:
	s_cmp_gt_i32 s12, 24
	s_cbranch_scc0 .LBB15_620
; %bb.609:
	global_load_ubyte v4, v[1:2], off
	s_movk_i32 s0, 0x7f
	s_waitcnt vmcnt(0)
	v_cmp_lt_i16_e32 vcc, s0, v4
	s_mov_b64 s[0:1], 0
	s_and_saveexec_b64 s[8:9], vcc
	s_xor_b64 s[8:9], exec, s[8:9]
	s_cbranch_execz .LBB15_632
; %bb.610:
	s_movk_i32 s0, 0x80
	v_cmp_eq_u16_e32 vcc, s0, v4
	s_mov_b64 s[0:1], -1
	s_and_saveexec_b64 s[10:11], vcc
; %bb.611:
	s_xor_b64 s[0:1], exec, -1
; %bb.612:
	s_or_b64 exec, exec, s[10:11]
	s_and_b64 s[0:1], s[0:1], exec
	s_or_saveexec_b64 s[8:9], s[8:9]
	v_mov_b32_e32 v3, 0x7f800001
	s_xor_b64 exec, exec, s[8:9]
	s_cbranch_execnz .LBB15_633
.LBB15_613:
	s_or_b64 exec, exec, s[8:9]
	s_and_saveexec_b64 s[8:9], s[0:1]
	s_cbranch_execz .LBB15_615
.LBB15_614:
	v_lshlrev_b32_e32 v3, 24, v4
	v_and_b32_e32 v4, 0xffff, v4
	v_and_b32_e32 v5, 3, v4
	v_ffbh_u32_e32 v7, v5
	v_min_u32_e32 v7, 32, v7
	v_subrev_u32_e32 v9, 29, v7
	v_bfe_u32 v6, v4, 2, 5
	v_lshlrev_b32_e32 v4, v9, v4
	v_sub_u32_e32 v7, 30, v7
	v_and_b32_e32 v4, 3, v4
	v_cmp_eq_u32_e32 vcc, 0, v6
	v_cndmask_b32_e32 v6, v6, v7, vcc
	v_cndmask_b32_e32 v4, v5, v4, vcc
	v_mov_b32_e32 v5, 0x37800000
	v_lshlrev_b32_e32 v4, 21, v4
	v_and_b32_e32 v3, 0x80000000, v3
	v_lshl_add_u32 v5, v6, 23, v5
	v_or3_b32 v3, v3, v5, v4
.LBB15_615:
	s_or_b64 exec, exec, s[8:9]
	s_mov_b64 s[0:1], 0
	s_branch .LBB15_621
.LBB15_616:
	s_mov_b64 s[8:9], -1
                                        ; implicit-def: $vgpr3
	s_branch .LBB15_627
.LBB15_617:
	s_or_saveexec_b64 s[8:9], s[8:9]
	v_mov_b32_e32 v3, 0x7f800001
	s_xor_b64 exec, exec, s[8:9]
	s_cbranch_execz .LBB15_600
.LBB15_618:
	v_cmp_ne_u16_e32 vcc, 0, v4
	s_andn2_b64 s[0:1], s[0:1], exec
	s_and_b64 s[10:11], vcc, exec
	v_mov_b32_e32 v3, 0
	s_or_b64 s[0:1], s[0:1], s[10:11]
	s_or_b64 exec, exec, s[8:9]
	s_and_saveexec_b64 s[8:9], s[0:1]
	s_cbranch_execnz .LBB15_601
	s_branch .LBB15_602
.LBB15_619:
	s_mov_b64 s[0:1], -1
                                        ; implicit-def: $vgpr3
	s_branch .LBB15_624
.LBB15_620:
	s_mov_b64 s[0:1], -1
                                        ; implicit-def: $vgpr3
.LBB15_621:
	s_and_b64 vcc, exec, s[0:1]
	s_cbranch_vccz .LBB15_623
; %bb.622:
	global_load_ubyte v3, v[1:2], off
	s_mov_b32 s0, 0x7f800000
	s_waitcnt vmcnt(0)
	v_lshlrev_b32_e32 v3, 24, v3
	v_and_b32_e32 v4, 0x7f000000, v3
	v_ffbh_u32_e32 v5, v4
	v_min_u32_e32 v5, 32, v5
	v_sub_u32_e64 v5, v5, 4 clamp
	v_lshlrev_b32_e32 v7, v5, v4
	v_lshlrev_b32_e32 v5, 23, v5
	v_lshrrev_b32_e32 v7, 4, v7
	v_add_u32_e32 v6, 0x1000000, v4
	v_sub_u32_e32 v5, v7, v5
	v_ashrrev_i32_e32 v6, 8, v6
	v_add_u32_e32 v5, 0x3c000000, v5
	v_and_or_b32 v5, v6, s0, v5
	v_cmp_ne_u32_e32 vcc, 0, v4
	v_cndmask_b32_e32 v4, 0, v5, vcc
	s_brev_b32 s0, 1
	v_and_or_b32 v3, v3, s0, v4
.LBB15_623:
	s_mov_b64 s[0:1], 0
.LBB15_624:
	s_andn2_b64 vcc, exec, s[0:1]
	s_cbranch_vccnz .LBB15_626
; %bb.625:
	global_load_ubyte v3, v[1:2], off
	s_movk_i32 s0, 0x7f00
	s_brev_b32 s1, 16
	s_waitcnt vmcnt(0)
	v_lshlrev_b16_e32 v4, 8, v3
	v_lshlrev_b32_e32 v3, 25, v3
	v_lshrrev_b32_e32 v5, 4, v3
	v_and_or_b32 v6, v4, s0, 0.5
	v_or_b32_e32 v5, 0x70000000, v5
	v_add_f32_e32 v6, -0.5, v6
	v_mul_f32_e32 v5, 0x7800000, v5
	v_cmp_gt_u32_e32 vcc, s1, v3
	v_bfe_i32 v4, v4, 0, 16
	v_cndmask_b32_e32 v3, v5, v6, vcc
	s_brev_b32 s0, 1
	v_and_or_b32 v3, v4, s0, v3
.LBB15_626:
	s_mov_b64 s[8:9], 0
	s_mov_b64 s[0:1], -1
.LBB15_627:
	s_andn2_b64 vcc, exec, s[8:9]
	s_cbranch_vccnz .LBB15_640
; %bb.628:
	s_cmp_gt_i32 s12, 14
	s_cbranch_scc0 .LBB15_631
; %bb.629:
	s_cmp_eq_u32 s12, 15
	s_cbranch_scc0 .LBB15_634
; %bb.630:
	global_load_ushort v3, v[1:2], off
	s_mov_b64 s[0:1], -1
	s_mov_b64 s[2:3], 0
	s_waitcnt vmcnt(0)
	v_lshlrev_b32_e32 v3, 16, v3
	s_branch .LBB15_635
.LBB15_631:
	s_mov_b64 s[8:9], -1
                                        ; implicit-def: $vgpr3
	s_branch .LBB15_636
.LBB15_632:
	s_or_saveexec_b64 s[8:9], s[8:9]
	v_mov_b32_e32 v3, 0x7f800001
	s_xor_b64 exec, exec, s[8:9]
	s_cbranch_execz .LBB15_613
.LBB15_633:
	v_cmp_ne_u16_e32 vcc, 0, v4
	s_andn2_b64 s[0:1], s[0:1], exec
	s_and_b64 s[10:11], vcc, exec
	v_mov_b32_e32 v3, 0
	s_or_b64 s[0:1], s[0:1], s[10:11]
	s_or_b64 exec, exec, s[8:9]
	s_and_saveexec_b64 s[8:9], s[0:1]
	s_cbranch_execnz .LBB15_614
	s_branch .LBB15_615
.LBB15_634:
	s_mov_b64 s[2:3], -1
                                        ; implicit-def: $vgpr3
.LBB15_635:
	s_mov_b64 s[8:9], 0
.LBB15_636:
	s_and_b64 vcc, exec, s[8:9]
	s_cbranch_vccz .LBB15_640
; %bb.637:
	s_cmp_eq_u32 s12, 11
	s_cbranch_scc0 .LBB15_639
; %bb.638:
	global_load_ubyte v3, v[1:2], off
	s_mov_b64 s[0:1], -1
	s_mov_b64 s[2:3], 0
	s_waitcnt vmcnt(0)
	v_cmp_ne_u16_e32 vcc, 0, v3
	v_cndmask_b32_e64 v3, 0, 1.0, vcc
	s_branch .LBB15_640
.LBB15_639:
	s_mov_b64 s[2:3], -1
                                        ; implicit-def: $vgpr3
.LBB15_640:
	s_mov_b64 s[8:9], 0
.LBB15_641:
	s_and_b64 vcc, exec, s[8:9]
	s_cbranch_vccz .LBB15_690
; %bb.642:
	s_cmp_lt_i32 s12, 5
	s_cbranch_scc1 .LBB15_647
; %bb.643:
	s_cmp_lt_i32 s12, 8
	s_cbranch_scc1 .LBB15_648
	;; [unrolled: 3-line block ×3, first 2 shown]
; %bb.645:
	s_cmp_gt_i32 s12, 9
	s_cbranch_scc0 .LBB15_650
; %bb.646:
	global_load_dwordx2 v[3:4], v[1:2], off
	s_mov_b64 s[0:1], 0
	s_waitcnt vmcnt(0)
	v_cvt_f32_f64_e32 v3, v[3:4]
	s_branch .LBB15_651
.LBB15_647:
	s_mov_b64 s[0:1], -1
                                        ; implicit-def: $vgpr3
	s_branch .LBB15_669
.LBB15_648:
	s_mov_b64 s[0:1], -1
                                        ; implicit-def: $vgpr3
	s_branch .LBB15_657
.LBB15_649:
	s_mov_b64 s[0:1], -1
                                        ; implicit-def: $vgpr3
	s_branch .LBB15_654
.LBB15_650:
	s_mov_b64 s[0:1], -1
                                        ; implicit-def: $vgpr3
.LBB15_651:
	s_andn2_b64 vcc, exec, s[0:1]
	s_cbranch_vccnz .LBB15_653
; %bb.652:
	global_load_dword v3, v[1:2], off
.LBB15_653:
	s_mov_b64 s[0:1], 0
.LBB15_654:
	s_andn2_b64 vcc, exec, s[0:1]
	s_cbranch_vccnz .LBB15_656
; %bb.655:
	global_load_dword v3, v[1:2], off
	s_waitcnt vmcnt(0)
	v_cvt_f32_f16_e32 v3, v3
.LBB15_656:
	s_mov_b64 s[0:1], 0
.LBB15_657:
	s_andn2_b64 vcc, exec, s[0:1]
	s_cbranch_vccnz .LBB15_668
; %bb.658:
	s_cmp_lt_i32 s12, 6
	s_cbranch_scc1 .LBB15_661
; %bb.659:
	s_cmp_gt_i32 s12, 6
	s_cbranch_scc0 .LBB15_662
; %bb.660:
	global_load_dwordx2 v[3:4], v[1:2], off
	s_mov_b64 s[0:1], 0
	s_waitcnt vmcnt(0)
	v_cvt_f32_f64_e32 v3, v[3:4]
	s_branch .LBB15_663
.LBB15_661:
	s_mov_b64 s[0:1], -1
                                        ; implicit-def: $vgpr3
	s_branch .LBB15_666
.LBB15_662:
	s_mov_b64 s[0:1], -1
                                        ; implicit-def: $vgpr3
.LBB15_663:
	s_andn2_b64 vcc, exec, s[0:1]
	s_cbranch_vccnz .LBB15_665
; %bb.664:
	global_load_dword v3, v[1:2], off
.LBB15_665:
	s_mov_b64 s[0:1], 0
.LBB15_666:
	s_andn2_b64 vcc, exec, s[0:1]
	s_cbranch_vccnz .LBB15_668
; %bb.667:
	global_load_ushort v3, v[1:2], off
	s_waitcnt vmcnt(0)
	v_cvt_f32_f16_e32 v3, v3
.LBB15_668:
	s_mov_b64 s[0:1], 0
.LBB15_669:
	s_andn2_b64 vcc, exec, s[0:1]
	s_cbranch_vccnz .LBB15_689
; %bb.670:
	s_cmp_lt_i32 s12, 2
	s_cbranch_scc1 .LBB15_674
; %bb.671:
	s_cmp_lt_i32 s12, 3
	s_cbranch_scc1 .LBB15_675
; %bb.672:
	s_cmp_gt_i32 s12, 3
	s_cbranch_scc0 .LBB15_676
; %bb.673:
	global_load_dwordx2 v[3:4], v[1:2], off
	s_mov_b64 s[0:1], 0
	s_waitcnt vmcnt(0)
	v_xor_b32_e32 v6, v3, v4
	v_ffbh_i32_e32 v5, v4
	v_ashrrev_i32_e32 v6, 31, v6
	v_add_u32_e32 v5, -1, v5
	v_add_u32_e32 v6, 32, v6
	v_min_u32_e32 v5, v5, v6
	v_lshlrev_b64 v[3:4], v5, v[3:4]
	v_min_u32_e32 v3, 1, v3
	v_or_b32_e32 v3, v4, v3
	v_cvt_f32_i32_e32 v3, v3
	v_sub_u32_e32 v4, 32, v5
	v_ldexp_f32 v3, v3, v4
	s_branch .LBB15_677
.LBB15_674:
	s_mov_b64 s[0:1], -1
                                        ; implicit-def: $vgpr3
	s_branch .LBB15_683
.LBB15_675:
	s_mov_b64 s[0:1], -1
                                        ; implicit-def: $vgpr3
	s_branch .LBB15_680
.LBB15_676:
	s_mov_b64 s[0:1], -1
                                        ; implicit-def: $vgpr3
.LBB15_677:
	s_andn2_b64 vcc, exec, s[0:1]
	s_cbranch_vccnz .LBB15_679
; %bb.678:
	global_load_dword v3, v[1:2], off
	s_waitcnt vmcnt(0)
	v_cvt_f32_i32_e32 v3, v3
.LBB15_679:
	s_mov_b64 s[0:1], 0
.LBB15_680:
	s_andn2_b64 vcc, exec, s[0:1]
	s_cbranch_vccnz .LBB15_682
; %bb.681:
	global_load_sshort v3, v[1:2], off
	s_waitcnt vmcnt(0)
	v_cvt_f32_i32_e32 v3, v3
.LBB15_682:
	s_mov_b64 s[0:1], 0
.LBB15_683:
	s_andn2_b64 vcc, exec, s[0:1]
	s_cbranch_vccnz .LBB15_689
; %bb.684:
	s_cmp_gt_i32 s12, 0
	s_cbranch_scc0 .LBB15_686
; %bb.685:
	global_load_sbyte v3, v[1:2], off
	s_mov_b64 s[0:1], 0
	s_waitcnt vmcnt(0)
	v_cvt_f32_i32_e32 v3, v3
	s_branch .LBB15_687
.LBB15_686:
	s_mov_b64 s[0:1], -1
                                        ; implicit-def: $vgpr3
.LBB15_687:
	s_andn2_b64 vcc, exec, s[0:1]
	s_cbranch_vccnz .LBB15_689
; %bb.688:
	global_load_ubyte v1, v[1:2], off
	s_waitcnt vmcnt(0)
	v_cvt_f32_ubyte0_e32 v3, v1
.LBB15_689:
	s_mov_b64 s[0:1], -1
.LBB15_690:
	s_andn2_b64 vcc, exec, s[0:1]
	s_cbranch_vccnz .LBB15_698
; %bb.691:
	s_waitcnt vmcnt(0)
	v_cmp_nge_f32_e64 s[0:1], v3, -s44
	v_cmp_nge_f32_e32 vcc, s44, v3
	s_or_b64 vcc, s[0:1], vcc
	v_cndmask_b32_e32 v2, 0, v3, vcc
	v_mov_b32_e32 v1, s25
	s_and_b32 s14, s45, 0xff
	v_add_co_u32_e32 v0, vcc, s24, v0
	s_cmp_lt_i32 s14, 11
	v_addc_co_u32_e32 v1, vcc, 0, v1, vcc
	s_cbranch_scc1 .LBB15_699
; %bb.692:
	s_and_b32 s15, 0xffff, s14
	s_cmp_gt_i32 s15, 25
	s_cbranch_scc0 .LBB15_700
; %bb.693:
	s_cmp_gt_i32 s15, 28
	s_cbranch_scc0 .LBB15_701
; %bb.694:
	;; [unrolled: 3-line block ×4, first 2 shown]
	s_mov_b64 s[10:11], 0
	s_mov_b64 s[0:1], -1
	s_cmp_eq_u32 s15, 46
	s_mov_b64 s[8:9], 0
	s_cbranch_scc0 .LBB15_704
; %bb.697:
	v_bfe_u32 v3, v2, 16, 1
	s_movk_i32 s0, 0x7fff
	v_add3_u32 v3, v2, v3, s0
	v_cmp_o_f32_e32 vcc, v2, v2
	v_mov_b32_e32 v4, 0x7fc0
	v_cndmask_b32_sdwa v3, v4, v3, vcc dst_sel:DWORD dst_unused:UNUSED_PAD src0_sel:DWORD src1_sel:WORD_1
	global_store_dword v[0:1], v3, off
	s_mov_b64 s[8:9], -1
	s_mov_b64 s[0:1], 0
	s_branch .LBB15_704
.LBB15_698:
	s_mov_b64 s[8:9], 0
	s_mov_b64 s[0:1], s[62:63]
	s_branch .LBB15_815
.LBB15_699:
	s_mov_b64 s[10:11], -1
	s_mov_b64 s[8:9], 0
	s_mov_b64 s[0:1], s[62:63]
	s_branch .LBB15_773
.LBB15_700:
	s_mov_b64 s[10:11], -1
	s_mov_b64 s[8:9], 0
	s_mov_b64 s[0:1], s[62:63]
	s_branch .LBB15_731
.LBB15_701:
	s_mov_b64 s[10:11], -1
	s_mov_b64 s[8:9], 0
	s_mov_b64 s[0:1], s[62:63]
	s_branch .LBB15_714
.LBB15_702:
	s_mov_b64 s[10:11], -1
	s_mov_b64 s[8:9], 0
	s_mov_b64 s[0:1], s[62:63]
	s_branch .LBB15_710
.LBB15_703:
	s_mov_b64 s[10:11], -1
	s_mov_b64 s[8:9], 0
	s_mov_b64 s[0:1], s[62:63]
.LBB15_704:
	s_and_b64 vcc, exec, s[10:11]
	s_cbranch_vccz .LBB15_709
; %bb.705:
	s_cmp_eq_u32 s15, 44
	s_mov_b64 s[0:1], -1
	s_cbranch_scc0 .LBB15_709
; %bb.706:
	v_bfe_u32 v3, v2, 23, 8
	s_movk_i32 s0, 0xff
	v_cmp_ne_u32_e32 vcc, s0, v3
	v_mov_b32_e32 v4, 0xff
	s_and_saveexec_b64 s[8:9], vcc
; %bb.707:
	s_mov_b32 s0, 0x3fffff
	v_and_b32_e32 v5, 0x400000, v2
	v_and_or_b32 v3, v2, s0, v3
	v_cmp_ne_u32_e32 vcc, 0, v5
	v_cmp_ne_u32_e64 s[0:1], 0, v3
	s_and_b64 s[0:1], vcc, s[0:1]
	v_lshrrev_b32_e32 v4, 23, v2
	v_cndmask_b32_e64 v3, 0, 1, s[0:1]
	v_add_u32_e32 v4, v4, v3
; %bb.708:
	s_or_b64 exec, exec, s[8:9]
	s_mov_b64 s[8:9], -1
	s_mov_b64 s[0:1], 0
	global_store_byte v[0:1], v4, off
.LBB15_709:
	s_mov_b64 s[10:11], 0
.LBB15_710:
	s_and_b64 vcc, exec, s[10:11]
	s_cbranch_vccz .LBB15_713
; %bb.711:
	s_cmp_eq_u32 s15, 29
	s_mov_b64 s[0:1], -1
	s_cbranch_scc0 .LBB15_713
; %bb.712:
	v_trunc_f32_e32 v3, v2
	v_mul_f32_e32 v4, 0x2f800000, v3
	v_floor_f32_e32 v5, v4
	v_fmac_f32_e32 v3, 0xcf800000, v5
	v_cvt_u32_f32_e32 v4, v5
	v_cvt_u32_f32_e32 v3, v3
	s_mov_b64 s[8:9], -1
	s_mov_b64 s[0:1], 0
	s_mov_b64 s[10:11], 0
	global_store_dwordx2 v[0:1], v[3:4], off
	s_branch .LBB15_714
.LBB15_713:
	s_mov_b64 s[10:11], 0
.LBB15_714:
	s_and_b64 vcc, exec, s[10:11]
	s_cbranch_vccz .LBB15_730
; %bb.715:
	s_cmp_lt_i32 s15, 27
	s_mov_b64 s[8:9], -1
	s_cbranch_scc1 .LBB15_721
; %bb.716:
	v_cvt_u32_f32_e32 v3, v2
	s_cmp_gt_i32 s15, 27
	s_cbranch_scc0 .LBB15_718
; %bb.717:
	s_mov_b64 s[8:9], 0
	global_store_dword v[0:1], v3, off
.LBB15_718:
	s_andn2_b64 vcc, exec, s[8:9]
	s_cbranch_vccnz .LBB15_720
; %bb.719:
	global_store_short v[0:1], v3, off
.LBB15_720:
	s_mov_b64 s[8:9], 0
.LBB15_721:
	s_andn2_b64 vcc, exec, s[8:9]
	s_cbranch_vccnz .LBB15_729
; %bb.722:
	v_and_b32_e32 v3, 0x7fffffff, v2
	s_mov_b32 s8, 0x43800000
	v_cmp_gt_u32_e32 vcc, s8, v3
	v_mov_b32_e32 v4, 0x80
	s_and_saveexec_b64 s[8:9], vcc
	s_cbranch_execz .LBB15_728
; %bb.723:
	s_mov_b32 s10, 0x3bffffff
	v_cmp_lt_u32_e32 vcc, s10, v3
	s_mov_b64 s[10:11], 0
                                        ; implicit-def: $vgpr3
	s_and_saveexec_b64 s[12:13], vcc
	s_xor_b64 s[12:13], exec, s[12:13]
	s_cbranch_execz .LBB15_845
; %bb.724:
	v_bfe_u32 v3, v2, 20, 1
	s_mov_b32 s16, 0x487ffff
	v_add3_u32 v3, v2, v3, s16
	s_mov_b64 s[10:11], exec
	v_lshrrev_b32_e32 v3, 20, v3
	s_andn2_saveexec_b64 s[12:13], s[12:13]
	s_cbranch_execnz .LBB15_846
.LBB15_725:
	s_or_b64 exec, exec, s[12:13]
	v_mov_b32_e32 v4, 0
	s_and_saveexec_b64 s[12:13], s[10:11]
.LBB15_726:
	v_lshrrev_b32_e32 v4, 24, v2
	s_movk_i32 s10, 0x80
	v_and_or_b32 v4, v4, s10, v3
.LBB15_727:
	s_or_b64 exec, exec, s[12:13]
.LBB15_728:
	s_or_b64 exec, exec, s[8:9]
	global_store_byte v[0:1], v4, off
.LBB15_729:
	s_mov_b64 s[8:9], -1
.LBB15_730:
	s_mov_b64 s[10:11], 0
.LBB15_731:
	s_and_b64 vcc, exec, s[10:11]
	s_cbranch_vccz .LBB15_772
; %bb.732:
	s_cmp_gt_i32 s15, 22
	s_mov_b64 s[10:11], -1
	s_cbranch_scc0 .LBB15_764
; %bb.733:
	s_cmp_lt_i32 s15, 24
	s_mov_b64 s[8:9], -1
	s_cbranch_scc1 .LBB15_753
; %bb.734:
	s_cmp_gt_i32 s15, 24
	s_cbranch_scc0 .LBB15_742
; %bb.735:
	v_and_b32_e32 v3, 0x7fffffff, v2
	s_mov_b32 s8, 0x47800000
	v_cmp_gt_u32_e32 vcc, s8, v3
	v_mov_b32_e32 v4, 0x80
	s_and_saveexec_b64 s[8:9], vcc
	s_cbranch_execz .LBB15_741
; %bb.736:
	s_mov_b32 s10, 0x37ffffff
	v_cmp_lt_u32_e32 vcc, s10, v3
	s_mov_b64 s[10:11], 0
                                        ; implicit-def: $vgpr3
	s_and_saveexec_b64 s[12:13], vcc
	s_xor_b64 s[12:13], exec, s[12:13]
	s_cbranch_execz .LBB15_848
; %bb.737:
	v_bfe_u32 v3, v2, 21, 1
	s_mov_b32 s16, 0x88fffff
	v_add3_u32 v3, v2, v3, s16
	s_mov_b64 s[10:11], exec
	v_lshrrev_b32_e32 v3, 21, v3
	s_andn2_saveexec_b64 s[12:13], s[12:13]
	s_cbranch_execnz .LBB15_849
.LBB15_738:
	s_or_b64 exec, exec, s[12:13]
	v_mov_b32_e32 v4, 0
	s_and_saveexec_b64 s[12:13], s[10:11]
.LBB15_739:
	v_lshrrev_b32_e32 v4, 24, v2
	s_movk_i32 s10, 0x80
	v_and_or_b32 v4, v4, s10, v3
.LBB15_740:
	s_or_b64 exec, exec, s[12:13]
.LBB15_741:
	s_or_b64 exec, exec, s[8:9]
	s_mov_b64 s[8:9], 0
	global_store_byte v[0:1], v4, off
.LBB15_742:
	s_and_b64 vcc, exec, s[8:9]
	s_cbranch_vccz .LBB15_752
; %bb.743:
	v_and_b32_e32 v4, 0x7fffffff, v2
	s_mov_b32 s8, 0x43f00000
	v_cmp_gt_u32_e32 vcc, s8, v4
                                        ; implicit-def: $vgpr3
	s_and_saveexec_b64 s[8:9], vcc
	s_xor_b64 s[8:9], exec, s[8:9]
	s_cbranch_execz .LBB15_749
; %bb.744:
	s_mov_b32 s10, 0x3c7fffff
	v_cmp_lt_u32_e32 vcc, s10, v4
                                        ; implicit-def: $vgpr3
	s_and_saveexec_b64 s[10:11], vcc
	s_xor_b64 s[10:11], exec, s[10:11]
; %bb.745:
	v_bfe_u32 v3, v2, 20, 1
	s_mov_b32 s12, 0x407ffff
	v_add3_u32 v3, v2, v3, s12
	v_lshrrev_b32_e32 v4, 20, v3
	v_and_b32_e32 v3, 0xff00000, v3
	s_mov_b32 s12, 0x7f00000
	v_mov_b32_e32 v5, 0x7e
	v_cmp_ne_u32_e32 vcc, s12, v3
	v_cndmask_b32_e32 v3, v5, v4, vcc
; %bb.746:
	s_andn2_saveexec_b64 s[10:11], s[10:11]
; %bb.747:
	s_mov_b32 s12, 0x46800000
	v_add_f32_e64 v3, |v2|, s12
; %bb.748:
	s_or_b64 exec, exec, s[10:11]
                                        ; implicit-def: $vgpr4
.LBB15_749:
	s_andn2_saveexec_b64 s[8:9], s[8:9]
; %bb.750:
	s_mov_b32 s10, 0x7f800000
	v_mov_b32_e32 v3, 0x7e
	v_mov_b32_e32 v5, 0x7f
	v_cmp_lt_u32_e32 vcc, s10, v4
	v_cndmask_b32_e32 v3, v3, v5, vcc
; %bb.751:
	s_or_b64 exec, exec, s[8:9]
	v_lshrrev_b32_e32 v4, 24, v2
	s_movk_i32 s8, 0x80
	v_and_or_b32 v3, v4, s8, v3
	global_store_byte v[0:1], v3, off
.LBB15_752:
	s_mov_b64 s[8:9], 0
.LBB15_753:
	s_andn2_b64 vcc, exec, s[8:9]
	s_cbranch_vccnz .LBB15_763
; %bb.754:
	v_and_b32_e32 v4, 0x7fffffff, v2
	s_mov_b32 s8, 0x47800000
	v_cmp_gt_u32_e32 vcc, s8, v4
                                        ; implicit-def: $vgpr3
	s_and_saveexec_b64 s[8:9], vcc
	s_xor_b64 s[8:9], exec, s[8:9]
	s_cbranch_execz .LBB15_760
; %bb.755:
	s_mov_b32 s10, 0x387fffff
	v_cmp_lt_u32_e32 vcc, s10, v4
                                        ; implicit-def: $vgpr3
	s_and_saveexec_b64 s[10:11], vcc
	s_xor_b64 s[10:11], exec, s[10:11]
; %bb.756:
	v_bfe_u32 v3, v2, 21, 1
	s_mov_b32 s12, 0x80fffff
	v_add3_u32 v3, v2, v3, s12
	v_lshrrev_b32_e32 v3, 21, v3
; %bb.757:
	s_andn2_saveexec_b64 s[10:11], s[10:11]
; %bb.758:
	s_mov_b32 s12, 0x43000000
	v_add_f32_e64 v3, |v2|, s12
; %bb.759:
	s_or_b64 exec, exec, s[10:11]
                                        ; implicit-def: $vgpr4
.LBB15_760:
	s_andn2_saveexec_b64 s[8:9], s[8:9]
; %bb.761:
	s_mov_b32 s10, 0x7f800000
	v_mov_b32_e32 v3, 0x7c
	v_mov_b32_e32 v5, 0x7f
	v_cmp_lt_u32_e32 vcc, s10, v4
	v_cndmask_b32_e32 v3, v3, v5, vcc
; %bb.762:
	s_or_b64 exec, exec, s[8:9]
	v_lshrrev_b32_e32 v4, 24, v2
	s_movk_i32 s8, 0x80
	v_and_or_b32 v3, v4, s8, v3
	global_store_byte v[0:1], v3, off
.LBB15_763:
	s_mov_b64 s[10:11], 0
	s_mov_b64 s[8:9], -1
.LBB15_764:
	s_andn2_b64 vcc, exec, s[10:11]
	s_cbranch_vccnz .LBB15_772
; %bb.765:
	s_cmp_gt_i32 s15, 14
	s_mov_b64 s[10:11], -1
	s_cbranch_scc0 .LBB15_769
; %bb.766:
	s_cmp_eq_u32 s15, 15
	s_mov_b64 s[0:1], -1
	s_cbranch_scc0 .LBB15_768
; %bb.767:
	v_bfe_u32 v3, v2, 16, 1
	s_movk_i32 s0, 0x7fff
	v_add3_u32 v3, v2, v3, s0
	v_cmp_o_f32_e32 vcc, v2, v2
	v_mov_b32_e32 v4, 0x7fc0
	v_cndmask_b32_sdwa v3, v4, v3, vcc dst_sel:DWORD dst_unused:UNUSED_PAD src0_sel:DWORD src1_sel:WORD_1
	global_store_short v[0:1], v3, off
	s_mov_b64 s[8:9], -1
	s_mov_b64 s[0:1], 0
.LBB15_768:
	s_mov_b64 s[10:11], 0
.LBB15_769:
	s_and_b64 vcc, exec, s[10:11]
	s_cbranch_vccz .LBB15_772
; %bb.770:
	s_cmp_eq_u32 s15, 11
	s_mov_b64 s[0:1], -1
	s_cbranch_scc0 .LBB15_772
; %bb.771:
	v_cmp_neq_f32_e32 vcc, 0, v2
	v_cndmask_b32_e64 v3, 0, 1, vcc
	s_mov_b64 s[8:9], -1
	s_mov_b64 s[0:1], 0
	global_store_byte v[0:1], v3, off
.LBB15_772:
	s_mov_b64 s[10:11], 0
.LBB15_773:
	s_and_b64 vcc, exec, s[10:11]
	s_cbranch_vccz .LBB15_812
; %bb.774:
	s_and_b32 s10, 0xffff, s14
	s_cmp_lt_i32 s10, 5
	s_mov_b64 s[8:9], -1
	s_cbranch_scc1 .LBB15_795
; %bb.775:
	s_cmp_lt_i32 s10, 8
	s_cbranch_scc1 .LBB15_785
; %bb.776:
	s_cmp_lt_i32 s10, 9
	s_cbranch_scc1 .LBB15_782
; %bb.777:
	s_cmp_gt_i32 s10, 9
	s_cbranch_scc0 .LBB15_779
; %bb.778:
	v_cvt_f64_f32_e32 v[3:4], v2
	v_mov_b32_e32 v5, 0
	v_mov_b32_e32 v6, v5
	s_mov_b64 s[8:9], 0
	global_store_dwordx4 v[0:1], v[3:6], off
.LBB15_779:
	s_andn2_b64 vcc, exec, s[8:9]
	s_cbranch_vccnz .LBB15_781
; %bb.780:
	v_mov_b32_e32 v3, 0
	global_store_dwordx2 v[0:1], v[2:3], off
.LBB15_781:
	s_mov_b64 s[8:9], 0
.LBB15_782:
	s_andn2_b64 vcc, exec, s[8:9]
	s_cbranch_vccnz .LBB15_784
; %bb.783:
	v_cvt_f16_f32_e32 v3, v2
	global_store_dword v[0:1], v3, off
.LBB15_784:
	s_mov_b64 s[8:9], 0
.LBB15_785:
	s_andn2_b64 vcc, exec, s[8:9]
	s_cbranch_vccnz .LBB15_794
; %bb.786:
	s_cmp_lt_i32 s10, 6
	s_mov_b64 s[8:9], -1
	s_cbranch_scc1 .LBB15_792
; %bb.787:
	s_cmp_gt_i32 s10, 6
	s_cbranch_scc0 .LBB15_789
; %bb.788:
	v_cvt_f64_f32_e32 v[3:4], v2
	s_mov_b64 s[8:9], 0
	global_store_dwordx2 v[0:1], v[3:4], off
.LBB15_789:
	s_andn2_b64 vcc, exec, s[8:9]
	s_cbranch_vccnz .LBB15_791
; %bb.790:
	global_store_dword v[0:1], v2, off
.LBB15_791:
	s_mov_b64 s[8:9], 0
.LBB15_792:
	s_andn2_b64 vcc, exec, s[8:9]
	s_cbranch_vccnz .LBB15_794
; %bb.793:
	v_cvt_f16_f32_e32 v3, v2
	global_store_short v[0:1], v3, off
.LBB15_794:
	s_mov_b64 s[8:9], 0
.LBB15_795:
	s_andn2_b64 vcc, exec, s[8:9]
	s_cbranch_vccnz .LBB15_811
; %bb.796:
	s_cmp_lt_i32 s10, 2
	s_mov_b64 s[8:9], -1
	s_cbranch_scc1 .LBB15_806
; %bb.797:
	s_cmp_lt_i32 s10, 3
	s_cbranch_scc1 .LBB15_803
; %bb.798:
	s_cmp_gt_i32 s10, 3
	s_cbranch_scc0 .LBB15_800
; %bb.799:
	v_trunc_f32_e32 v3, v2
	s_mov_b32 s8, 0x2f800000
	v_mul_f32_e64 v4, |v3|, s8
	v_floor_f32_e32 v4, v4
	s_mov_b32 s8, 0xcf800000
	v_cvt_u32_f32_e32 v5, v4
	v_fma_f32 v4, v4, s8, |v3|
	v_cvt_u32_f32_e32 v4, v4
	v_ashrrev_i32_e32 v6, 31, v3
	v_xor_b32_e32 v5, v5, v6
	s_mov_b64 s[8:9], 0
	v_xor_b32_e32 v3, v4, v6
	v_sub_co_u32_e32 v3, vcc, v3, v6
	v_subb_co_u32_e32 v4, vcc, v5, v6, vcc
	global_store_dwordx2 v[0:1], v[3:4], off
.LBB15_800:
	s_andn2_b64 vcc, exec, s[8:9]
	s_cbranch_vccnz .LBB15_802
; %bb.801:
	v_cvt_i32_f32_e32 v3, v2
	global_store_dword v[0:1], v3, off
.LBB15_802:
	s_mov_b64 s[8:9], 0
.LBB15_803:
	s_andn2_b64 vcc, exec, s[8:9]
	s_cbranch_vccnz .LBB15_805
; %bb.804:
	v_cvt_i32_f32_e32 v3, v2
	global_store_short v[0:1], v3, off
.LBB15_805:
	s_mov_b64 s[8:9], 0
.LBB15_806:
	s_andn2_b64 vcc, exec, s[8:9]
	s_cbranch_vccnz .LBB15_811
; %bb.807:
	s_cmp_gt_i32 s10, 0
	s_mov_b64 s[8:9], -1
	s_cbranch_scc0 .LBB15_809
; %bb.808:
	v_cvt_i32_f32_e32 v3, v2
	s_mov_b64 s[8:9], 0
	global_store_byte v[0:1], v3, off
.LBB15_809:
	s_andn2_b64 vcc, exec, s[8:9]
	s_cbranch_vccnz .LBB15_811
; %bb.810:
	v_trunc_f32_e32 v2, v2
	s_mov_b32 s8, 0x2f800000
	v_mul_f32_e64 v3, |v2|, s8
	v_floor_f32_e32 v3, v3
	s_mov_b32 s8, 0xcf800000
	v_fma_f32 v3, v3, s8, |v2|
	v_cvt_u32_f32_e32 v3, v3
	v_ashrrev_i32_e32 v2, 31, v2
	v_xor_b32_e32 v3, v3, v2
	v_sub_u32_e32 v2, v3, v2
	global_store_byte v[0:1], v2, off
.LBB15_811:
	s_mov_b64 s[8:9], -1
.LBB15_812:
	s_andn2_b64 vcc, exec, s[8:9]
	s_cbranch_vccnz .LBB15_814
; %bb.813:
	v_add_u32_e32 v8, 0x80, v8
	s_mov_b64 s[8:9], -1
	s_branch .LBB15_816
.LBB15_814:
	s_mov_b64 s[8:9], 0
.LBB15_815:
                                        ; implicit-def: $vgpr8
.LBB15_816:
	s_andn2_b64 s[10:11], s[62:63], exec
	s_and_b64 s[0:1], s[0:1], exec
	s_or_b64 s[70:71], s[10:11], s[0:1]
	s_andn2_b64 s[0:1], s[60:61], exec
	s_and_b64 s[2:3], s[2:3], exec
	s_or_b64 s[68:69], s[0:1], s[2:3]
	s_orn2_b64 s[2:3], s[8:9], exec
.LBB15_817:
	s_or_b64 exec, exec, s[66:67]
	s_mov_b64 s[0:1], 0
	s_mov_b64 s[8:9], 0
	;; [unrolled: 1-line block ×3, first 2 shown]
                                        ; implicit-def: $vgpr1_vgpr2
                                        ; implicit-def: $vgpr0
                                        ; implicit-def: $vgpr4
	s_and_saveexec_b64 s[66:67], s[2:3]
	s_cbranch_execz .LBB15_916
; %bb.818:
	v_cmp_gt_i32_e32 vcc, s72, v8
	s_mov_b64 s[2:3], 0
	s_mov_b64 s[12:13], s[68:69]
                                        ; implicit-def: $vgpr1_vgpr2
                                        ; implicit-def: $vgpr0
                                        ; implicit-def: $vgpr4
	s_and_saveexec_b64 s[72:73], vcc
	s_cbranch_execz .LBB15_915
; %bb.819:
	s_andn2_b64 vcc, exec, s[40:41]
	s_cbranch_vccnz .LBB15_824
; %bb.820:
	s_andn2_b64 vcc, exec, s[52:53]
	s_cbranch_vccnz .LBB15_825
; %bb.821:
	s_add_i32 s77, s76, 1
	s_cmp_eq_u32 s74, 2
	s_cbranch_scc1 .LBB15_826
; %bb.822:
	s_and_b32 s76, s77, 28
	v_mov_b32_e32 v2, 0
	s_mov_b32 s78, 0
	s_mov_b64 s[52:53], s[34:35]
	v_mov_b32_e32 v0, 0
	v_mov_b32_e32 v1, v8
.LBB15_823:                             ; =>This Inner Loop Header: Depth=1
	s_load_dwordx8 s[16:23], s[52:53], 0x4
	s_load_dwordx4 s[0:3], s[52:53], 0x24
	s_load_dwordx8 s[8:15], s[50:51], 0x0
	s_add_u32 s52, s52, 48
	s_addc_u32 s53, s53, 0
	s_waitcnt vmcnt(0) lgkmcnt(0)
	v_mul_hi_u32 v3, s17, v1
	s_add_i32 s78, s78, 4
	s_add_u32 s50, s50, 32
	s_addc_u32 s51, s51, 0
	v_add_u32_e32 v3, v1, v3
	v_lshrrev_b32_e32 v3, s18, v3
	v_mul_lo_u32 v4, v3, s16
	v_mul_hi_u32 v5, s20, v3
	s_cmp_eq_u32 s76, s78
	v_sub_u32_e32 v1, v1, v4
	v_add_u32_e32 v4, v3, v5
	v_mul_lo_u32 v5, v1, s8
	v_mul_lo_u32 v6, v1, s9
	v_lshrrev_b32_e32 v1, s21, v4
	v_mul_lo_u32 v4, v1, s19
	v_mul_hi_u32 v7, s23, v1
	v_sub_u32_e32 v3, v3, v4
	v_add_u32_e32 v4, v1, v7
	v_lshrrev_b32_e32 v4, s0, v4
	v_mul_hi_u32 v9, s2, v4
	v_mul_lo_u32 v10, v4, s22
	v_mul_lo_u32 v7, v3, s10
	;; [unrolled: 1-line block ×3, first 2 shown]
	v_sub_u32_e32 v10, v1, v10
	v_add_u32_e32 v1, v4, v9
	v_lshrrev_b32_e32 v1, s3, v1
	v_mul_lo_u32 v9, v1, s1
	v_mul_lo_u32 v11, v10, s12
	;; [unrolled: 1-line block ×3, first 2 shown]
	v_add3_u32 v0, v5, v0, v7
	v_sub_u32_e32 v4, v4, v9
	v_mul_lo_u32 v9, v4, s14
	v_mul_lo_u32 v4, v4, s15
	v_add3_u32 v2, v6, v2, v3
	v_add3_u32 v0, v11, v0, v9
	;; [unrolled: 1-line block ×3, first 2 shown]
	s_cbranch_scc0 .LBB15_823
	s_branch .LBB15_827
.LBB15_824:
	s_mov_b64 s[0:1], -1
                                        ; implicit-def: $vgpr0
                                        ; implicit-def: $vgpr2
	s_branch .LBB15_831
.LBB15_825:
	v_mov_b32_e32 v0, 0
	v_mov_b32_e32 v2, 0
	s_branch .LBB15_830
.LBB15_826:
	s_mov_b32 s76, 0
	v_mov_b32_e32 v0, 0
	v_mov_b32_e32 v2, 0
	v_mov_b32_e32 v1, v8
.LBB15_827:
	s_and_b32 s8, s77, 3
	s_cmp_eq_u32 s8, 0
	s_cbranch_scc1 .LBB15_830
; %bb.828:
	s_lshl_b32 s0, s76, 3
	s_add_u32 s0, s34, s0
	s_addc_u32 s1, s35, 0
	s_add_u32 s0, s0, 0xc4
	s_addc_u32 s1, s1, 0
	s_mul_i32 s2, s76, 12
	s_add_u32 s2, s34, s2
	s_addc_u32 s3, s35, 0
.LBB15_829:                             ; =>This Inner Loop Header: Depth=1
	s_load_dwordx2 s[10:11], s[2:3], 0x4
	s_load_dword s9, s[2:3], 0xc
	s_load_dwordx2 s[12:13], s[0:1], 0x0
	s_add_u32 s2, s2, 12
	s_addc_u32 s3, s3, 0
	s_waitcnt vmcnt(0) lgkmcnt(0)
	v_mul_hi_u32 v3, s11, v1
	s_add_u32 s0, s0, 8
	s_addc_u32 s1, s1, 0
	s_add_i32 s8, s8, -1
	v_add_u32_e32 v3, v1, v3
	v_lshrrev_b32_e32 v4, s9, v3
	v_mul_lo_u32 v3, v4, s10
	s_cmp_lg_u32 s8, 0
	v_sub_u32_e32 v3, v1, v3
	v_mad_u64_u32 v[0:1], s[10:11], v3, s12, v[0:1]
	v_mad_u64_u32 v[2:3], s[10:11], v3, s13, v[2:3]
	v_mov_b32_e32 v1, v4
	s_cbranch_scc1 .LBB15_829
.LBB15_830:
	s_mov_b64 s[0:1], 0
.LBB15_831:
	s_andn2_b64 vcc, exec, s[0:1]
	s_cbranch_vccnz .LBB15_834
; %bb.832:
	v_mul_hi_u32 v0, s29, v8
	s_andn2_b64 vcc, exec, s[48:49]
	v_add_u32_e32 v0, v8, v0
	v_lshrrev_b32_e32 v1, s30, v0
	v_mul_lo_u32 v0, v1, s28
	v_sub_u32_e32 v2, v8, v0
	v_mul_lo_u32 v0, v2, s36
	v_mul_lo_u32 v2, v2, s37
	s_cbranch_vccnz .LBB15_834
; %bb.833:
	s_waitcnt vmcnt(0)
	v_mul_hi_u32 v3, s46, v1
	v_add_u32_e32 v3, v1, v3
	v_lshrrev_b32_e32 v3, s47, v3
	v_mul_lo_u32 v3, v3, s31
	v_sub_u32_e32 v3, v1, v3
	v_mad_u64_u32 v[0:1], s[0:1], v3, s38, v[0:1]
	v_mad_u64_u32 v[2:3], s[0:1], v3, s39, v[2:3]
.LBB15_834:
	s_waitcnt vmcnt(0)
	v_mov_b32_e32 v3, s27
	s_and_b32 s14, 0xffff, s75
	v_add_co_u32_e32 v1, vcc, s26, v2
	s_cmp_lt_i32 s14, 11
	v_addc_co_u32_e32 v2, vcc, 0, v3, vcc
	s_cbranch_scc1 .LBB15_841
; %bb.835:
	s_cmp_gt_i32 s14, 25
	s_mov_b64 s[2:3], 0
	s_cbranch_scc0 .LBB15_842
; %bb.836:
	s_cmp_gt_i32 s14, 28
	s_cbranch_scc0 .LBB15_843
; %bb.837:
	s_cmp_gt_i32 s14, 43
	;; [unrolled: 3-line block ×3, first 2 shown]
	s_cbranch_scc0 .LBB15_847
; %bb.839:
	s_cmp_eq_u32 s14, 46
	s_mov_b64 s[10:11], 0
	s_cbranch_scc0 .LBB15_850
; %bb.840:
	global_load_dword v3, v[1:2], off
	s_mov_b64 s[0:1], 0
	s_mov_b64 s[8:9], -1
	s_waitcnt vmcnt(0)
	v_lshlrev_b32_e32 v4, 16, v3
	s_branch .LBB15_851
.LBB15_841:
	s_mov_b64 s[12:13], -1
	s_mov_b64 s[8:9], 0
	s_mov_b64 s[2:3], 0
	;; [unrolled: 1-line block ×3, first 2 shown]
                                        ; implicit-def: $vgpr4
	s_branch .LBB15_914
.LBB15_842:
	s_mov_b64 s[10:11], -1
	s_mov_b64 s[8:9], 0
	s_mov_b64 s[0:1], s[68:69]
                                        ; implicit-def: $vgpr4
	s_branch .LBB15_880
.LBB15_843:
	s_mov_b64 s[10:11], -1
	s_mov_b64 s[8:9], 0
	s_mov_b64 s[0:1], s[68:69]
                                        ; implicit-def: $vgpr4
	s_branch .LBB15_861
.LBB15_844:
	s_mov_b64 s[10:11], -1
	s_mov_b64 s[8:9], 0
	s_mov_b64 s[0:1], s[68:69]
                                        ; implicit-def: $vgpr4
	s_branch .LBB15_856
.LBB15_845:
	s_andn2_saveexec_b64 s[12:13], s[12:13]
	s_cbranch_execz .LBB15_725
.LBB15_846:
	s_mov_b32 s16, 0x46000000
	v_add_f32_e64 v3, |v2|, s16
	v_and_b32_e32 v3, 0xff, v3
	v_cmp_ne_u32_e32 vcc, 0, v3
	s_andn2_b64 s[10:11], s[10:11], exec
	s_and_b64 s[16:17], vcc, exec
	s_or_b64 s[10:11], s[10:11], s[16:17]
	s_or_b64 exec, exec, s[12:13]
	v_mov_b32_e32 v4, 0
	s_and_saveexec_b64 s[12:13], s[10:11]
	s_cbranch_execnz .LBB15_726
	s_branch .LBB15_727
.LBB15_847:
	s_mov_b64 s[10:11], -1
	s_mov_b64 s[8:9], 0
	s_mov_b64 s[0:1], s[68:69]
                                        ; implicit-def: $vgpr4
	s_branch .LBB15_851
.LBB15_848:
	s_andn2_saveexec_b64 s[12:13], s[12:13]
	s_cbranch_execz .LBB15_738
.LBB15_849:
	s_mov_b32 s16, 0x42800000
	v_add_f32_e64 v3, |v2|, s16
	v_and_b32_e32 v3, 0xff, v3
	v_cmp_ne_u32_e32 vcc, 0, v3
	s_andn2_b64 s[10:11], s[10:11], exec
	s_and_b64 s[16:17], vcc, exec
	s_or_b64 s[10:11], s[10:11], s[16:17]
	s_or_b64 exec, exec, s[12:13]
	v_mov_b32_e32 v4, 0
	s_and_saveexec_b64 s[12:13], s[10:11]
	s_cbranch_execnz .LBB15_739
	s_branch .LBB15_740
.LBB15_850:
	s_mov_b64 s[0:1], -1
                                        ; implicit-def: $vgpr4
	s_mov_b64 s[8:9], 0
.LBB15_851:
	s_and_b64 vcc, exec, s[10:11]
	s_cbranch_vccz .LBB15_855
; %bb.852:
	s_cmp_eq_u32 s14, 44
	s_cbranch_scc0 .LBB15_854
; %bb.853:
	global_load_ubyte v3, v[1:2], off
	s_movk_i32 s8, 0xff
	v_mov_b32_e32 v4, 0x7f800001
	v_mov_b32_e32 v5, 0x400000
	s_mov_b64 s[0:1], 0
	s_waitcnt vmcnt(0)
	v_lshlrev_b32_e32 v6, 23, v3
	v_cmp_ne_u32_e32 vcc, s8, v3
	v_cndmask_b32_e32 v4, v4, v6, vcc
	v_cmp_ne_u32_e32 vcc, 0, v3
	v_cndmask_b32_e32 v4, v5, v4, vcc
	s_mov_b64 s[8:9], -1
	s_branch .LBB15_855
.LBB15_854:
	s_mov_b64 s[0:1], -1
                                        ; implicit-def: $vgpr4
.LBB15_855:
	s_mov_b64 s[10:11], 0
.LBB15_856:
	s_and_b64 vcc, exec, s[10:11]
	s_cbranch_vccz .LBB15_860
; %bb.857:
	s_cmp_eq_u32 s14, 29
	s_cbranch_scc0 .LBB15_859
; %bb.858:
	global_load_dwordx2 v[3:4], v[1:2], off
	s_mov_b64 s[0:1], 0
	s_mov_b64 s[8:9], -1
	s_mov_b64 s[10:11], 0
	s_waitcnt vmcnt(0)
	v_ffbh_u32_e32 v5, v4
	v_min_u32_e32 v5, 32, v5
	v_lshlrev_b64 v[3:4], v5, v[3:4]
	v_min_u32_e32 v3, 1, v3
	v_or_b32_e32 v3, v4, v3
	v_cvt_f32_u32_e32 v3, v3
	v_sub_u32_e32 v4, 32, v5
	v_ldexp_f32 v4, v3, v4
	s_branch .LBB15_861
.LBB15_859:
	s_mov_b64 s[0:1], -1
                                        ; implicit-def: $vgpr4
.LBB15_860:
	s_mov_b64 s[10:11], 0
.LBB15_861:
	s_and_b64 vcc, exec, s[10:11]
	s_cbranch_vccz .LBB15_879
; %bb.862:
	s_cmp_lt_i32 s14, 27
	s_cbranch_scc1 .LBB15_865
; %bb.863:
	s_cmp_gt_i32 s14, 27
	s_cbranch_scc0 .LBB15_866
; %bb.864:
	global_load_dword v3, v[1:2], off
	s_mov_b64 s[8:9], 0
	s_waitcnt vmcnt(0)
	v_cvt_f32_u32_e32 v4, v3
	s_branch .LBB15_867
.LBB15_865:
	s_mov_b64 s[8:9], -1
                                        ; implicit-def: $vgpr4
	s_branch .LBB15_870
.LBB15_866:
	s_mov_b64 s[8:9], -1
                                        ; implicit-def: $vgpr4
.LBB15_867:
	s_andn2_b64 vcc, exec, s[8:9]
	s_cbranch_vccnz .LBB15_869
; %bb.868:
	global_load_ushort v3, v[1:2], off
	s_waitcnt vmcnt(0)
	v_cvt_f32_u32_e32 v4, v3
.LBB15_869:
	s_mov_b64 s[8:9], 0
.LBB15_870:
	s_andn2_b64 vcc, exec, s[8:9]
	s_cbranch_vccnz .LBB15_878
; %bb.871:
	global_load_ubyte v3, v[1:2], off
	s_movk_i32 s8, 0x7f
	s_waitcnt vmcnt(0)
	v_cmp_lt_i16_e32 vcc, s8, v3
	s_mov_b64 s[8:9], 0
	s_and_saveexec_b64 s[10:11], vcc
	s_xor_b64 s[10:11], exec, s[10:11]
	s_cbranch_execz .LBB15_892
; %bb.872:
	s_movk_i32 s8, 0x80
	v_cmp_eq_u16_e32 vcc, s8, v3
	s_mov_b64 s[8:9], -1
	s_and_saveexec_b64 s[12:13], vcc
; %bb.873:
	s_xor_b64 s[8:9], exec, -1
; %bb.874:
	s_or_b64 exec, exec, s[12:13]
	s_and_b64 s[8:9], s[8:9], exec
	s_or_saveexec_b64 s[10:11], s[10:11]
	v_mov_b32_e32 v4, 0x7f800001
	s_xor_b64 exec, exec, s[10:11]
	s_cbranch_execnz .LBB15_893
.LBB15_875:
	s_or_b64 exec, exec, s[10:11]
	s_and_saveexec_b64 s[10:11], s[8:9]
	s_cbranch_execz .LBB15_877
.LBB15_876:
	v_lshlrev_b32_e32 v4, 24, v3
	v_and_b32_e32 v3, 0xffff, v3
	v_and_b32_e32 v5, 7, v3
	v_ffbh_u32_e32 v7, v5
	v_min_u32_e32 v7, 32, v7
	v_subrev_u32_e32 v8, 28, v7
	v_bfe_u32 v6, v3, 3, 4
	v_lshlrev_b32_e32 v3, v8, v3
	v_sub_u32_e32 v7, 29, v7
	v_and_b32_e32 v3, 7, v3
	v_cmp_eq_u32_e32 vcc, 0, v6
	v_cndmask_b32_e32 v6, v6, v7, vcc
	v_cndmask_b32_e32 v3, v5, v3, vcc
	v_mov_b32_e32 v5, 0x3b800000
	v_lshlrev_b32_e32 v3, 20, v3
	v_and_b32_e32 v4, 0x80000000, v4
	v_lshl_add_u32 v5, v6, 23, v5
	v_or3_b32 v4, v4, v5, v3
.LBB15_877:
	s_or_b64 exec, exec, s[10:11]
.LBB15_878:
	s_mov_b64 s[8:9], -1
.LBB15_879:
	s_mov_b64 s[10:11], 0
.LBB15_880:
	s_and_b64 vcc, exec, s[10:11]
	s_cbranch_vccz .LBB15_913
; %bb.881:
	s_cmp_gt_i32 s14, 22
	s_cbranch_scc0 .LBB15_891
; %bb.882:
	s_cmp_lt_i32 s14, 24
	s_cbranch_scc1 .LBB15_894
; %bb.883:
	s_cmp_gt_i32 s14, 24
	s_cbranch_scc0 .LBB15_895
; %bb.884:
	global_load_ubyte v3, v[1:2], off
	s_movk_i32 s2, 0x7f
	s_waitcnt vmcnt(0)
	v_cmp_lt_i16_e32 vcc, s2, v3
	s_mov_b64 s[2:3], 0
	s_and_saveexec_b64 s[8:9], vcc
	s_xor_b64 s[8:9], exec, s[8:9]
	s_cbranch_execz .LBB15_907
; %bb.885:
	s_movk_i32 s2, 0x80
	v_cmp_eq_u16_e32 vcc, s2, v3
	s_mov_b64 s[2:3], -1
	s_and_saveexec_b64 s[10:11], vcc
; %bb.886:
	s_xor_b64 s[2:3], exec, -1
; %bb.887:
	s_or_b64 exec, exec, s[10:11]
	s_and_b64 s[2:3], s[2:3], exec
	s_or_saveexec_b64 s[8:9], s[8:9]
	v_mov_b32_e32 v4, 0x7f800001
	s_xor_b64 exec, exec, s[8:9]
	s_cbranch_execnz .LBB15_908
.LBB15_888:
	s_or_b64 exec, exec, s[8:9]
	s_and_saveexec_b64 s[8:9], s[2:3]
	s_cbranch_execz .LBB15_890
.LBB15_889:
	v_lshlrev_b32_e32 v4, 24, v3
	v_and_b32_e32 v3, 0xffff, v3
	v_and_b32_e32 v5, 3, v3
	v_ffbh_u32_e32 v7, v5
	v_min_u32_e32 v7, 32, v7
	v_subrev_u32_e32 v8, 29, v7
	v_bfe_u32 v6, v3, 2, 5
	v_lshlrev_b32_e32 v3, v8, v3
	v_sub_u32_e32 v7, 30, v7
	v_and_b32_e32 v3, 3, v3
	v_cmp_eq_u32_e32 vcc, 0, v6
	v_cndmask_b32_e32 v6, v6, v7, vcc
	v_cndmask_b32_e32 v3, v5, v3, vcc
	v_mov_b32_e32 v5, 0x37800000
	v_lshlrev_b32_e32 v3, 21, v3
	v_and_b32_e32 v4, 0x80000000, v4
	v_lshl_add_u32 v5, v6, 23, v5
	v_or3_b32 v4, v4, v5, v3
.LBB15_890:
	s_or_b64 exec, exec, s[8:9]
	s_mov_b64 s[2:3], 0
	s_branch .LBB15_896
.LBB15_891:
	s_mov_b64 s[2:3], -1
                                        ; implicit-def: $vgpr4
	s_branch .LBB15_902
.LBB15_892:
	s_or_saveexec_b64 s[10:11], s[10:11]
	v_mov_b32_e32 v4, 0x7f800001
	s_xor_b64 exec, exec, s[10:11]
	s_cbranch_execz .LBB15_875
.LBB15_893:
	v_cmp_ne_u16_e32 vcc, 0, v3
	s_andn2_b64 s[8:9], s[8:9], exec
	s_and_b64 s[12:13], vcc, exec
	v_mov_b32_e32 v4, 0
	s_or_b64 s[8:9], s[8:9], s[12:13]
	s_or_b64 exec, exec, s[10:11]
	s_and_saveexec_b64 s[10:11], s[8:9]
	s_cbranch_execnz .LBB15_876
	s_branch .LBB15_877
.LBB15_894:
	s_mov_b64 s[2:3], -1
                                        ; implicit-def: $vgpr4
	s_branch .LBB15_899
.LBB15_895:
	s_mov_b64 s[2:3], -1
                                        ; implicit-def: $vgpr4
.LBB15_896:
	s_and_b64 vcc, exec, s[2:3]
	s_cbranch_vccz .LBB15_898
; %bb.897:
	global_load_ubyte v3, v[1:2], off
	s_mov_b32 s2, 0x7f800000
	s_waitcnt vmcnt(0)
	v_lshlrev_b32_e32 v3, 24, v3
	v_and_b32_e32 v4, 0x7f000000, v3
	v_ffbh_u32_e32 v5, v4
	v_min_u32_e32 v5, 32, v5
	v_sub_u32_e64 v5, v5, 4 clamp
	v_lshlrev_b32_e32 v7, v5, v4
	v_lshlrev_b32_e32 v5, 23, v5
	v_lshrrev_b32_e32 v7, 4, v7
	v_add_u32_e32 v6, 0x1000000, v4
	v_sub_u32_e32 v5, v7, v5
	v_ashrrev_i32_e32 v6, 8, v6
	v_add_u32_e32 v5, 0x3c000000, v5
	v_and_or_b32 v5, v6, s2, v5
	v_cmp_ne_u32_e32 vcc, 0, v4
	v_cndmask_b32_e32 v4, 0, v5, vcc
	s_brev_b32 s2, 1
	v_and_or_b32 v4, v3, s2, v4
.LBB15_898:
	s_mov_b64 s[2:3], 0
.LBB15_899:
	s_andn2_b64 vcc, exec, s[2:3]
	s_cbranch_vccnz .LBB15_901
; %bb.900:
	global_load_ubyte v3, v[1:2], off
	s_movk_i32 s2, 0x7f00
	s_brev_b32 s3, 16
	s_waitcnt vmcnt(0)
	v_lshlrev_b16_e32 v4, 8, v3
	v_lshlrev_b32_e32 v3, 25, v3
	v_lshrrev_b32_e32 v5, 4, v3
	v_and_or_b32 v6, v4, s2, 0.5
	v_or_b32_e32 v5, 0x70000000, v5
	v_add_f32_e32 v6, -0.5, v6
	v_mul_f32_e32 v5, 0x7800000, v5
	v_cmp_gt_u32_e32 vcc, s3, v3
	v_bfe_i32 v4, v4, 0, 16
	v_cndmask_b32_e32 v3, v5, v6, vcc
	s_brev_b32 s2, 1
	v_and_or_b32 v4, v4, s2, v3
.LBB15_901:
	s_mov_b64 s[2:3], 0
	s_mov_b64 s[8:9], -1
.LBB15_902:
	s_andn2_b64 vcc, exec, s[2:3]
	s_mov_b64 s[2:3], 0
	s_cbranch_vccnz .LBB15_913
; %bb.903:
	s_cmp_gt_i32 s14, 14
	s_cbranch_scc0 .LBB15_906
; %bb.904:
	s_cmp_eq_u32 s14, 15
	s_cbranch_scc0 .LBB15_909
; %bb.905:
	global_load_ushort v3, v[1:2], off
	s_mov_b64 s[0:1], 0
	s_mov_b64 s[8:9], -1
	s_waitcnt vmcnt(0)
	v_lshlrev_b32_e32 v4, 16, v3
	s_branch .LBB15_910
.LBB15_906:
	s_mov_b64 s[10:11], -1
                                        ; implicit-def: $vgpr4
	s_branch .LBB15_911
.LBB15_907:
	s_or_saveexec_b64 s[8:9], s[8:9]
	v_mov_b32_e32 v4, 0x7f800001
	s_xor_b64 exec, exec, s[8:9]
	s_cbranch_execz .LBB15_888
.LBB15_908:
	v_cmp_ne_u16_e32 vcc, 0, v3
	s_andn2_b64 s[2:3], s[2:3], exec
	s_and_b64 s[10:11], vcc, exec
	v_mov_b32_e32 v4, 0
	s_or_b64 s[2:3], s[2:3], s[10:11]
	s_or_b64 exec, exec, s[8:9]
	s_and_saveexec_b64 s[8:9], s[2:3]
	s_cbranch_execnz .LBB15_889
	s_branch .LBB15_890
.LBB15_909:
	s_mov_b64 s[0:1], -1
                                        ; implicit-def: $vgpr4
.LBB15_910:
	s_mov_b64 s[10:11], 0
.LBB15_911:
	s_and_b64 vcc, exec, s[10:11]
	s_cbranch_vccz .LBB15_913
; %bb.912:
	s_cmp_lg_u32 s14, 11
	s_cselect_b64 s[10:11], -1, 0
	s_andn2_b64 s[0:1], s[0:1], exec
	s_and_b64 s[10:11], s[10:11], exec
	s_mov_b64 s[2:3], -1
	s_or_b64 s[0:1], s[0:1], s[10:11]
.LBB15_913:
	s_mov_b64 s[12:13], 0
.LBB15_914:
	s_and_b64 s[10:11], s[8:9], exec
	s_and_b64 s[8:9], s[12:13], exec
	s_andn2_b64 s[12:13], s[68:69], exec
	s_and_b64 s[0:1], s[0:1], exec
	s_and_b64 s[2:3], s[2:3], exec
	s_or_b64 s[12:13], s[12:13], s[0:1]
.LBB15_915:
	s_or_b64 exec, exec, s[72:73]
	s_and_b64 s[0:1], s[2:3], exec
	s_andn2_b64 s[2:3], s[68:69], exec
	s_and_b64 s[12:13], s[12:13], exec
	s_and_b64 s[10:11], s[10:11], exec
	;; [unrolled: 1-line block ×3, first 2 shown]
	s_or_b64 s[68:69], s[2:3], s[12:13]
.LBB15_916:
	s_or_b64 exec, exec, s[66:67]
	s_andn2_b64 s[2:3], s[62:63], exec
	s_and_b64 s[12:13], s[70:71], exec
	s_or_b64 s[62:63], s[2:3], s[12:13]
	s_and_b64 s[2:3], s[0:1], exec
	s_andn2_b64 s[0:1], s[60:61], exec
	s_and_b64 s[12:13], s[68:69], exec
	s_and_b64 s[10:11], s[10:11], exec
	s_and_b64 s[8:9], s[8:9], exec
	s_or_b64 s[60:61], s[0:1], s[12:13]
.LBB15_917:
	s_or_b64 exec, exec, s[64:65]
	s_andn2_b64 s[0:1], s[54:55], exec
	s_and_b64 s[12:13], s[62:63], exec
	s_or_b64 s[54:55], s[0:1], s[12:13]
	s_and_b64 s[0:1], s[10:11], exec
	s_and_b64 s[10:11], s[8:9], exec
	s_and_b64 s[62:63], s[2:3], exec
	s_andn2_b64 s[2:3], s[56:57], exec
	s_and_b64 s[8:9], s[60:61], exec
	s_or_b64 s[56:57], s[2:3], s[8:9]
	s_or_b64 exec, exec, s[58:59]
	s_mov_b64 s[2:3], 0
	s_and_saveexec_b64 s[8:9], s[56:57]
	s_cbranch_execz .LBB15_274
.LBB15_918:
	s_mov_b64 s[2:3], exec
	s_andn2_b64 s[62:63], s[62:63], exec
	s_trap 2
	s_or_b64 exec, exec, s[8:9]
	s_and_saveexec_b64 s[8:9], s[62:63]
	s_xor_b64 s[8:9], exec, s[8:9]
	s_cbranch_execnz .LBB15_275
.LBB15_919:
	s_or_b64 exec, exec, s[8:9]
	s_and_saveexec_b64 s[8:9], s[10:11]
	s_cbranch_execz .LBB15_965
.LBB15_920:
	s_sext_i32_i16 s10, s75
	s_cmp_lt_i32 s10, 5
	s_cbranch_scc1 .LBB15_925
; %bb.921:
	s_cmp_lt_i32 s10, 8
	s_cbranch_scc1 .LBB15_926
; %bb.922:
	;; [unrolled: 3-line block ×3, first 2 shown]
	s_cmp_gt_i32 s10, 9
	s_cbranch_scc0 .LBB15_928
; %bb.924:
	global_load_dwordx2 v[3:4], v[1:2], off
	s_mov_b64 s[10:11], 0
	s_waitcnt vmcnt(0)
	v_cvt_f32_f64_e32 v4, v[3:4]
	s_branch .LBB15_929
.LBB15_925:
                                        ; implicit-def: $vgpr4
	s_branch .LBB15_946
.LBB15_926:
                                        ; implicit-def: $vgpr4
	s_branch .LBB15_935
.LBB15_927:
	s_mov_b64 s[10:11], -1
                                        ; implicit-def: $vgpr4
	s_branch .LBB15_932
.LBB15_928:
	s_mov_b64 s[10:11], -1
                                        ; implicit-def: $vgpr4
.LBB15_929:
	s_andn2_b64 vcc, exec, s[10:11]
	s_cbranch_vccnz .LBB15_931
; %bb.930:
	global_load_dword v4, v[1:2], off
.LBB15_931:
	s_mov_b64 s[10:11], 0
.LBB15_932:
	s_andn2_b64 vcc, exec, s[10:11]
	s_cbranch_vccnz .LBB15_934
; %bb.933:
	global_load_dword v3, v[1:2], off
	s_waitcnt vmcnt(0)
	v_cvt_f32_f16_e32 v4, v3
.LBB15_934:
	s_cbranch_execnz .LBB15_945
.LBB15_935:
	s_sext_i32_i16 s10, s75
	s_cmp_lt_i32 s10, 6
	s_cbranch_scc1 .LBB15_938
; %bb.936:
	s_cmp_gt_i32 s10, 6
	s_cbranch_scc0 .LBB15_939
; %bb.937:
	global_load_dwordx2 v[3:4], v[1:2], off
	s_mov_b64 s[10:11], 0
	s_waitcnt vmcnt(0)
	v_cvt_f32_f64_e32 v4, v[3:4]
	s_branch .LBB15_940
.LBB15_938:
	s_mov_b64 s[10:11], -1
                                        ; implicit-def: $vgpr4
	s_branch .LBB15_943
.LBB15_939:
	s_mov_b64 s[10:11], -1
                                        ; implicit-def: $vgpr4
.LBB15_940:
	s_andn2_b64 vcc, exec, s[10:11]
	s_cbranch_vccnz .LBB15_942
; %bb.941:
	global_load_dword v4, v[1:2], off
.LBB15_942:
	s_mov_b64 s[10:11], 0
.LBB15_943:
	s_andn2_b64 vcc, exec, s[10:11]
	s_cbranch_vccnz .LBB15_945
; %bb.944:
	global_load_ushort v3, v[1:2], off
	s_waitcnt vmcnt(0)
	v_cvt_f32_f16_e32 v4, v3
.LBB15_945:
	s_cbranch_execnz .LBB15_964
.LBB15_946:
	s_sext_i32_i16 s10, s75
	s_cmp_lt_i32 s10, 2
	s_cbranch_scc1 .LBB15_950
; %bb.947:
	s_cmp_lt_i32 s10, 3
	s_cbranch_scc1 .LBB15_951
; %bb.948:
	s_cmp_gt_i32 s10, 3
	s_cbranch_scc0 .LBB15_952
; %bb.949:
	global_load_dwordx2 v[3:4], v[1:2], off
	s_mov_b64 s[10:11], 0
	s_waitcnt vmcnt(0)
	v_xor_b32_e32 v6, v3, v4
	v_ffbh_i32_e32 v5, v4
	v_ashrrev_i32_e32 v6, 31, v6
	v_add_u32_e32 v5, -1, v5
	v_add_u32_e32 v6, 32, v6
	v_min_u32_e32 v5, v5, v6
	v_lshlrev_b64 v[3:4], v5, v[3:4]
	v_min_u32_e32 v3, 1, v3
	v_or_b32_e32 v3, v4, v3
	v_cvt_f32_i32_e32 v3, v3
	v_sub_u32_e32 v4, 32, v5
	v_ldexp_f32 v4, v3, v4
	s_branch .LBB15_953
.LBB15_950:
                                        ; implicit-def: $vgpr4
	s_branch .LBB15_959
.LBB15_951:
	s_mov_b64 s[10:11], -1
                                        ; implicit-def: $vgpr4
	s_branch .LBB15_956
.LBB15_952:
	s_mov_b64 s[10:11], -1
                                        ; implicit-def: $vgpr4
.LBB15_953:
	s_andn2_b64 vcc, exec, s[10:11]
	s_cbranch_vccnz .LBB15_955
; %bb.954:
	global_load_dword v3, v[1:2], off
	s_waitcnt vmcnt(0)
	v_cvt_f32_i32_e32 v4, v3
.LBB15_955:
	s_mov_b64 s[10:11], 0
.LBB15_956:
	s_andn2_b64 vcc, exec, s[10:11]
	s_cbranch_vccnz .LBB15_958
; %bb.957:
	global_load_sshort v3, v[1:2], off
	s_waitcnt vmcnt(0)
	v_cvt_f32_i32_e32 v4, v3
.LBB15_958:
	s_cbranch_execnz .LBB15_964
.LBB15_959:
	s_sext_i32_i16 s10, s75
	s_cmp_gt_i32 s10, 0
	s_cbranch_scc0 .LBB15_961
; %bb.960:
	global_load_sbyte v3, v[1:2], off
	s_mov_b64 s[10:11], 0
	s_waitcnt vmcnt(0)
	v_cvt_f32_i32_e32 v4, v3
	s_branch .LBB15_962
.LBB15_961:
	s_mov_b64 s[10:11], -1
                                        ; implicit-def: $vgpr4
.LBB15_962:
	s_andn2_b64 vcc, exec, s[10:11]
	s_cbranch_vccnz .LBB15_964
; %bb.963:
	global_load_ubyte v1, v[1:2], off
	s_waitcnt vmcnt(0)
	v_cvt_f32_ubyte0_e32 v4, v1
.LBB15_964:
	s_or_b64 s[0:1], s[0:1], exec
.LBB15_965:
	s_or_b64 exec, exec, s[8:9]
	s_mov_b64 s[12:13], 0
	s_mov_b64 s[10:11], 0
                                        ; implicit-def: $sgpr18
                                        ; implicit-def: $vgpr1_vgpr2
                                        ; implicit-def: $vgpr3
	s_and_saveexec_b64 s[8:9], s[0:1]
	s_cbranch_execz .LBB15_983
; %bb.966:
	s_waitcnt vmcnt(0)
	v_cmp_nge_f32_e64 s[0:1], v4, -s44
	v_cmp_nge_f32_e32 vcc, s44, v4
	s_or_b64 vcc, s[0:1], vcc
	v_cndmask_b32_e32 v3, 0, v4, vcc
	v_mov_b32_e32 v2, s25
	s_and_b32 s18, s45, 0xff
	v_add_co_u32_e32 v1, vcc, s24, v0
	s_cmp_lt_i32 s18, 11
	v_addc_co_u32_e32 v2, vcc, 0, v2, vcc
	s_cbranch_scc1 .LBB15_986
; %bb.967:
	s_and_b32 s19, 0xffff, s18
	s_mov_b64 s[12:13], -1
	s_cmp_gt_i32 s19, 25
	s_mov_b64 s[0:1], s[54:55]
	s_cbranch_scc0 .LBB15_1004
; %bb.968:
	s_mov_b64 s[10:11], -1
	s_cmp_gt_i32 s19, 28
	s_mov_b64 s[0:1], s[54:55]
	s_cbranch_scc0 .LBB15_988
; %bb.969:
	s_cmp_gt_i32 s19, 43
	s_mov_b64 s[0:1], s[54:55]
	s_cbranch_scc0 .LBB15_980
; %bb.970:
	;; [unrolled: 4-line block ×3, first 2 shown]
	s_cmp_eq_u32 s19, 46
	s_mov_b64 s[0:1], -1
	s_cbranch_scc0 .LBB15_973
; %bb.972:
	v_bfe_u32 v0, v3, 16, 1
	s_movk_i32 s0, 0x7fff
	v_add3_u32 v0, v3, v0, s0
	v_cmp_o_f32_e32 vcc, v3, v3
	v_mov_b32_e32 v4, 0x7fc0
	v_cndmask_b32_sdwa v0, v4, v0, vcc dst_sel:DWORD dst_unused:UNUSED_PAD src0_sel:DWORD src1_sel:WORD_1
	global_store_dword v[1:2], v0, off
	s_mov_b64 s[0:1], 0
.LBB15_973:
	s_mov_b64 s[10:11], 0
.LBB15_974:
	s_and_b64 vcc, exec, s[10:11]
	s_cbranch_vccz .LBB15_979
; %bb.975:
	s_cmp_eq_u32 s19, 44
	s_mov_b64 s[0:1], -1
	s_cbranch_scc0 .LBB15_979
; %bb.976:
	v_bfe_u32 v0, v3, 23, 8
	s_movk_i32 s0, 0xff
	v_cmp_ne_u32_e32 vcc, s0, v0
	v_mov_b32_e32 v4, 0xff
	s_and_saveexec_b64 s[10:11], vcc
; %bb.977:
	s_mov_b32 s0, 0x3fffff
	v_and_b32_e32 v5, 0x400000, v3
	v_and_or_b32 v0, v3, s0, v0
	v_cmp_ne_u32_e32 vcc, 0, v5
	v_cmp_ne_u32_e64 s[0:1], 0, v0
	s_and_b64 s[0:1], vcc, s[0:1]
	v_lshrrev_b32_e32 v4, 23, v3
	v_cndmask_b32_e64 v0, 0, 1, s[0:1]
	v_add_u32_e32 v4, v4, v0
; %bb.978:
	s_or_b64 exec, exec, s[10:11]
	s_mov_b64 s[0:1], 0
	global_store_byte v[1:2], v4, off
.LBB15_979:
	s_mov_b64 s[10:11], 0
.LBB15_980:
	s_and_b64 vcc, exec, s[10:11]
	s_cbranch_vccz .LBB15_987
; %bb.981:
	s_cmp_eq_u32 s19, 29
	s_mov_b64 s[0:1], -1
	s_cbranch_scc0 .LBB15_987
; %bb.982:
	v_trunc_f32_e32 v0, v3
	v_mul_f32_e32 v4, 0x2f800000, v0
	v_floor_f32_e32 v4, v4
	v_fmac_f32_e32 v0, 0xcf800000, v4
	v_cvt_u32_f32_e32 v5, v4
	v_cvt_u32_f32_e32 v4, v0
	s_mov_b64 s[0:1], 0
	s_mov_b64 s[10:11], 0
	global_store_dwordx2 v[1:2], v[4:5], off
	s_branch .LBB15_988
.LBB15_983:
	s_or_b64 exec, exec, s[8:9]
	s_and_saveexec_b64 s[0:1], s[54:55]
	s_cbranch_execnz .LBB15_1046
.LBB15_984:
	s_or_b64 exec, exec, s[0:1]
	s_and_saveexec_b64 s[0:1], s[12:13]
	s_xor_b64 s[0:1], exec, s[0:1]
	s_cbranch_execz .LBB15_1047
.LBB15_985:
	s_waitcnt vmcnt(0)
	v_cmp_neq_f32_e32 vcc, 0, v3
	v_cndmask_b32_e64 v0, 0, 1, vcc
	global_store_byte v[1:2], v0, off
	s_or_b64 exec, exec, s[0:1]
	s_and_saveexec_b64 s[0:1], s[10:11]
	s_xor_b64 s[0:1], exec, s[0:1]
	s_cbranch_execz .LBB15_1085
	s_branch .LBB15_1048
.LBB15_986:
	s_mov_b64 s[10:11], -1
	s_mov_b64 s[0:1], s[54:55]
	s_branch .LBB15_1045
.LBB15_987:
	s_mov_b64 s[10:11], 0
.LBB15_988:
	s_and_b64 vcc, exec, s[10:11]
	s_cbranch_vccz .LBB15_1003
; %bb.989:
	s_cmp_lt_i32 s19, 27
	s_mov_b64 s[10:11], -1
	s_cbranch_scc1 .LBB15_995
; %bb.990:
	s_cmp_gt_i32 s19, 27
	s_cbranch_scc0 .LBB15_992
; %bb.991:
	v_cvt_u32_f32_e32 v0, v3
	s_mov_b64 s[10:11], 0
	global_store_dword v[1:2], v0, off
.LBB15_992:
	s_andn2_b64 vcc, exec, s[10:11]
	s_cbranch_vccnz .LBB15_994
; %bb.993:
	v_cvt_u32_f32_e32 v0, v3
	global_store_short v[1:2], v0, off
.LBB15_994:
	s_mov_b64 s[10:11], 0
.LBB15_995:
	s_andn2_b64 vcc, exec, s[10:11]
	s_cbranch_vccnz .LBB15_1003
; %bb.996:
	v_and_b32_e32 v0, 0x7fffffff, v3
	s_mov_b32 s10, 0x43800000
	v_cmp_gt_u32_e32 vcc, s10, v0
	v_mov_b32_e32 v4, 0x80
	s_and_saveexec_b64 s[10:11], vcc
	s_cbranch_execz .LBB15_1002
; %bb.997:
	s_mov_b32 s12, 0x3bffffff
	v_cmp_lt_u32_e32 vcc, s12, v0
	s_mov_b64 s[12:13], 0
                                        ; implicit-def: $vgpr0
	s_and_saveexec_b64 s[14:15], vcc
	s_xor_b64 s[14:15], exec, s[14:15]
	s_cbranch_execz .LBB15_1156
; %bb.998:
	v_bfe_u32 v0, v3, 20, 1
	s_mov_b32 s16, 0x487ffff
	v_add3_u32 v0, v3, v0, s16
	s_mov_b64 s[12:13], exec
	v_lshrrev_b32_e32 v0, 20, v0
	s_andn2_saveexec_b64 s[14:15], s[14:15]
	s_cbranch_execnz .LBB15_1157
.LBB15_999:
	s_or_b64 exec, exec, s[14:15]
	v_mov_b32_e32 v4, 0
	s_and_saveexec_b64 s[14:15], s[12:13]
.LBB15_1000:
	v_lshrrev_b32_e32 v4, 24, v3
	s_movk_i32 s12, 0x80
	v_and_or_b32 v4, v4, s12, v0
.LBB15_1001:
	s_or_b64 exec, exec, s[14:15]
.LBB15_1002:
	s_or_b64 exec, exec, s[10:11]
	global_store_byte v[1:2], v4, off
.LBB15_1003:
	s_mov_b64 s[12:13], 0
.LBB15_1004:
	s_mov_b64 s[10:11], 0
	s_and_b64 vcc, exec, s[12:13]
	s_cbranch_vccz .LBB15_1044
; %bb.1005:
	s_cmp_gt_i32 s19, 22
	s_mov_b64 s[12:13], -1
	s_cbranch_scc0 .LBB15_1037
; %bb.1006:
	s_cmp_lt_i32 s19, 24
	s_cbranch_scc1 .LBB15_1026
; %bb.1007:
	s_cmp_gt_i32 s19, 24
	s_cbranch_scc0 .LBB15_1015
; %bb.1008:
	v_and_b32_e32 v0, 0x7fffffff, v3
	s_mov_b32 s12, 0x47800000
	v_cmp_gt_u32_e32 vcc, s12, v0
	v_mov_b32_e32 v4, 0x80
	s_and_saveexec_b64 s[12:13], vcc
	s_cbranch_execz .LBB15_1014
; %bb.1009:
	s_mov_b32 s14, 0x37ffffff
	v_cmp_lt_u32_e32 vcc, s14, v0
	s_mov_b64 s[14:15], 0
                                        ; implicit-def: $vgpr0
	s_and_saveexec_b64 s[16:17], vcc
	s_xor_b64 s[16:17], exec, s[16:17]
	s_cbranch_execz .LBB15_1281
; %bb.1010:
	v_bfe_u32 v0, v3, 21, 1
	s_mov_b32 s20, 0x88fffff
	v_add3_u32 v0, v3, v0, s20
	s_mov_b64 s[14:15], exec
	v_lshrrev_b32_e32 v0, 21, v0
	s_andn2_saveexec_b64 s[16:17], s[16:17]
	s_cbranch_execnz .LBB15_1282
.LBB15_1011:
	s_or_b64 exec, exec, s[16:17]
	v_mov_b32_e32 v4, 0
	s_and_saveexec_b64 s[16:17], s[14:15]
.LBB15_1012:
	v_lshrrev_b32_e32 v4, 24, v3
	s_movk_i32 s14, 0x80
	v_and_or_b32 v4, v4, s14, v0
.LBB15_1013:
	s_or_b64 exec, exec, s[16:17]
.LBB15_1014:
	s_or_b64 exec, exec, s[12:13]
	s_mov_b64 s[12:13], 0
	global_store_byte v[1:2], v4, off
.LBB15_1015:
	s_and_b64 vcc, exec, s[12:13]
	s_cbranch_vccz .LBB15_1025
; %bb.1016:
	v_and_b32_e32 v4, 0x7fffffff, v3
	s_mov_b32 s12, 0x43f00000
	v_cmp_gt_u32_e32 vcc, s12, v4
                                        ; implicit-def: $vgpr0
	s_and_saveexec_b64 s[12:13], vcc
	s_xor_b64 s[12:13], exec, s[12:13]
	s_cbranch_execz .LBB15_1022
; %bb.1017:
	s_mov_b32 s14, 0x3c7fffff
	v_cmp_lt_u32_e32 vcc, s14, v4
                                        ; implicit-def: $vgpr0
	s_and_saveexec_b64 s[14:15], vcc
	s_xor_b64 s[14:15], exec, s[14:15]
; %bb.1018:
	v_bfe_u32 v0, v3, 20, 1
	s_mov_b32 s16, 0x407ffff
	v_add3_u32 v0, v3, v0, s16
	v_lshrrev_b32_e32 v4, 20, v0
	v_and_b32_e32 v0, 0xff00000, v0
	s_mov_b32 s16, 0x7f00000
	v_mov_b32_e32 v5, 0x7e
	v_cmp_ne_u32_e32 vcc, s16, v0
	v_cndmask_b32_e32 v0, v5, v4, vcc
; %bb.1019:
	s_andn2_saveexec_b64 s[14:15], s[14:15]
; %bb.1020:
	s_mov_b32 s16, 0x46800000
	v_add_f32_e64 v0, |v3|, s16
; %bb.1021:
	s_or_b64 exec, exec, s[14:15]
                                        ; implicit-def: $vgpr4
.LBB15_1022:
	s_andn2_saveexec_b64 s[12:13], s[12:13]
; %bb.1023:
	s_mov_b32 s14, 0x7f800000
	v_mov_b32_e32 v0, 0x7e
	v_mov_b32_e32 v5, 0x7f
	v_cmp_lt_u32_e32 vcc, s14, v4
	v_cndmask_b32_e32 v0, v0, v5, vcc
; %bb.1024:
	s_or_b64 exec, exec, s[12:13]
	v_lshrrev_b32_e32 v4, 24, v3
	s_movk_i32 s12, 0x80
	v_and_or_b32 v0, v4, s12, v0
	global_store_byte v[1:2], v0, off
.LBB15_1025:
	s_mov_b64 s[12:13], 0
.LBB15_1026:
	s_andn2_b64 vcc, exec, s[12:13]
	s_cbranch_vccnz .LBB15_1036
; %bb.1027:
	v_and_b32_e32 v4, 0x7fffffff, v3
	s_mov_b32 s12, 0x47800000
	v_cmp_gt_u32_e32 vcc, s12, v4
                                        ; implicit-def: $vgpr0
	s_and_saveexec_b64 s[12:13], vcc
	s_xor_b64 s[12:13], exec, s[12:13]
	s_cbranch_execz .LBB15_1033
; %bb.1028:
	s_mov_b32 s14, 0x387fffff
	v_cmp_lt_u32_e32 vcc, s14, v4
                                        ; implicit-def: $vgpr0
	s_and_saveexec_b64 s[14:15], vcc
	s_xor_b64 s[14:15], exec, s[14:15]
; %bb.1029:
	v_bfe_u32 v0, v3, 21, 1
	s_mov_b32 s16, 0x80fffff
	v_add3_u32 v0, v3, v0, s16
	v_lshrrev_b32_e32 v0, 21, v0
; %bb.1030:
	s_andn2_saveexec_b64 s[14:15], s[14:15]
; %bb.1031:
	s_mov_b32 s16, 0x43000000
	v_add_f32_e64 v0, |v3|, s16
; %bb.1032:
	s_or_b64 exec, exec, s[14:15]
                                        ; implicit-def: $vgpr4
.LBB15_1033:
	s_andn2_saveexec_b64 s[12:13], s[12:13]
; %bb.1034:
	s_mov_b32 s14, 0x7f800000
	v_mov_b32_e32 v0, 0x7c
	v_mov_b32_e32 v5, 0x7f
	v_cmp_lt_u32_e32 vcc, s14, v4
	v_cndmask_b32_e32 v0, v0, v5, vcc
; %bb.1035:
	s_or_b64 exec, exec, s[12:13]
	v_lshrrev_b32_e32 v4, 24, v3
	s_movk_i32 s12, 0x80
	v_and_or_b32 v0, v4, s12, v0
	global_store_byte v[1:2], v0, off
.LBB15_1036:
	s_mov_b64 s[12:13], 0
.LBB15_1037:
	s_andn2_b64 vcc, exec, s[12:13]
	s_mov_b64 s[12:13], 0
	s_cbranch_vccnz .LBB15_1045
; %bb.1038:
	s_cmp_gt_i32 s19, 14
	s_mov_b64 s[14:15], -1
	s_cbranch_scc0 .LBB15_1042
; %bb.1039:
	s_cmp_eq_u32 s19, 15
	s_mov_b64 s[0:1], -1
	s_cbranch_scc0 .LBB15_1041
; %bb.1040:
	v_bfe_u32 v0, v3, 16, 1
	s_movk_i32 s0, 0x7fff
	v_add3_u32 v0, v3, v0, s0
	v_cmp_o_f32_e32 vcc, v3, v3
	v_mov_b32_e32 v4, 0x7fc0
	v_cndmask_b32_sdwa v0, v4, v0, vcc dst_sel:DWORD dst_unused:UNUSED_PAD src0_sel:DWORD src1_sel:WORD_1
	global_store_short v[1:2], v0, off
	s_mov_b64 s[0:1], 0
.LBB15_1041:
	s_mov_b64 s[14:15], 0
.LBB15_1042:
	s_and_b64 vcc, exec, s[14:15]
	s_cbranch_vccz .LBB15_1045
; %bb.1043:
	s_cmp_lg_u32 s19, 11
	s_cselect_b64 s[14:15], -1, 0
	s_andn2_b64 s[0:1], s[0:1], exec
	s_and_b64 s[14:15], s[14:15], exec
	s_mov_b64 s[12:13], -1
	s_or_b64 s[0:1], s[0:1], s[14:15]
	s_branch .LBB15_1045
.LBB15_1044:
	s_mov_b64 s[12:13], 0
.LBB15_1045:
	s_andn2_b64 s[14:15], s[54:55], exec
	s_and_b64 s[0:1], s[0:1], exec
	s_and_b64 s[10:11], s[10:11], exec
	;; [unrolled: 1-line block ×3, first 2 shown]
	s_or_b64 s[54:55], s[14:15], s[0:1]
	s_or_b64 exec, exec, s[8:9]
	s_and_saveexec_b64 s[0:1], s[54:55]
	s_cbranch_execz .LBB15_984
.LBB15_1046:
	s_or_b64 s[2:3], s[2:3], exec
	s_andn2_b64 s[12:13], s[12:13], exec
	s_trap 2
	s_or_b64 exec, exec, s[0:1]
	s_and_saveexec_b64 s[0:1], s[12:13]
	s_xor_b64 s[0:1], exec, s[0:1]
	s_cbranch_execnz .LBB15_985
.LBB15_1047:
	s_or_b64 exec, exec, s[0:1]
	s_and_saveexec_b64 s[0:1], s[10:11]
	s_xor_b64 s[0:1], exec, s[0:1]
	s_cbranch_execz .LBB15_1085
.LBB15_1048:
	s_sext_i32_i16 s10, s18
	s_cmp_lt_i32 s10, 5
	s_mov_b64 s[8:9], -1
	s_cbranch_scc1 .LBB15_1069
; %bb.1049:
	s_cmp_lt_i32 s10, 8
	s_cbranch_scc1 .LBB15_1059
; %bb.1050:
	s_cmp_lt_i32 s10, 9
	s_cbranch_scc1 .LBB15_1056
; %bb.1051:
	s_cmp_gt_i32 s10, 9
	s_cbranch_scc0 .LBB15_1053
; %bb.1052:
	s_waitcnt vmcnt(0)
	v_cvt_f64_f32_e32 v[4:5], v3
	v_mov_b32_e32 v6, 0
	v_mov_b32_e32 v7, v6
	s_mov_b64 s[8:9], 0
	global_store_dwordx4 v[1:2], v[4:7], off
.LBB15_1053:
	s_andn2_b64 vcc, exec, s[8:9]
	s_cbranch_vccnz .LBB15_1055
; %bb.1054:
	s_waitcnt vmcnt(0)
	v_mov_b32_e32 v4, 0
	global_store_dwordx2 v[1:2], v[3:4], off
.LBB15_1055:
	s_mov_b64 s[8:9], 0
.LBB15_1056:
	s_andn2_b64 vcc, exec, s[8:9]
	s_cbranch_vccnz .LBB15_1058
; %bb.1057:
	s_waitcnt vmcnt(0)
	v_cvt_f16_f32_e32 v0, v3
	global_store_dword v[1:2], v0, off
.LBB15_1058:
	s_mov_b64 s[8:9], 0
.LBB15_1059:
	s_andn2_b64 vcc, exec, s[8:9]
	s_cbranch_vccnz .LBB15_1068
; %bb.1060:
	s_sext_i32_i16 s10, s18
	s_cmp_lt_i32 s10, 6
	s_mov_b64 s[8:9], -1
	s_cbranch_scc1 .LBB15_1066
; %bb.1061:
	s_cmp_gt_i32 s10, 6
	s_cbranch_scc0 .LBB15_1063
; %bb.1062:
	s_waitcnt vmcnt(0)
	v_cvt_f64_f32_e32 v[4:5], v3
	s_mov_b64 s[8:9], 0
	global_store_dwordx2 v[1:2], v[4:5], off
.LBB15_1063:
	s_andn2_b64 vcc, exec, s[8:9]
	s_cbranch_vccnz .LBB15_1065
; %bb.1064:
	s_waitcnt vmcnt(0)
	global_store_dword v[1:2], v3, off
.LBB15_1065:
	s_mov_b64 s[8:9], 0
.LBB15_1066:
	s_andn2_b64 vcc, exec, s[8:9]
	s_cbranch_vccnz .LBB15_1068
; %bb.1067:
	s_waitcnt vmcnt(0)
	v_cvt_f16_f32_e32 v0, v3
	global_store_short v[1:2], v0, off
.LBB15_1068:
	s_mov_b64 s[8:9], 0
.LBB15_1069:
	s_andn2_b64 vcc, exec, s[8:9]
	s_cbranch_vccnz .LBB15_1085
; %bb.1070:
	s_sext_i32_i16 s10, s18
	s_cmp_lt_i32 s10, 2
	s_mov_b64 s[8:9], -1
	s_cbranch_scc1 .LBB15_1080
; %bb.1071:
	s_cmp_lt_i32 s10, 3
	s_cbranch_scc1 .LBB15_1077
; %bb.1072:
	s_cmp_gt_i32 s10, 3
	s_cbranch_scc0 .LBB15_1074
; %bb.1073:
	s_waitcnt vmcnt(0)
	v_trunc_f32_e32 v0, v3
	s_mov_b32 s8, 0x2f800000
	v_mul_f32_e64 v4, |v0|, s8
	v_floor_f32_e32 v4, v4
	s_mov_b32 s8, 0xcf800000
	v_cvt_u32_f32_e32 v5, v4
	v_fma_f32 v4, v4, s8, |v0|
	v_cvt_u32_f32_e32 v4, v4
	v_ashrrev_i32_e32 v0, 31, v0
	v_xor_b32_e32 v5, v5, v0
	s_mov_b64 s[8:9], 0
	v_xor_b32_e32 v4, v4, v0
	v_sub_co_u32_e32 v4, vcc, v4, v0
	v_subb_co_u32_e32 v5, vcc, v5, v0, vcc
	global_store_dwordx2 v[1:2], v[4:5], off
.LBB15_1074:
	s_andn2_b64 vcc, exec, s[8:9]
	s_cbranch_vccnz .LBB15_1076
; %bb.1075:
	s_waitcnt vmcnt(0)
	v_cvt_i32_f32_e32 v0, v3
	global_store_dword v[1:2], v0, off
.LBB15_1076:
	s_mov_b64 s[8:9], 0
.LBB15_1077:
	s_andn2_b64 vcc, exec, s[8:9]
	s_cbranch_vccnz .LBB15_1079
; %bb.1078:
	s_waitcnt vmcnt(0)
	v_cvt_i32_f32_e32 v0, v3
	global_store_short v[1:2], v0, off
.LBB15_1079:
	s_mov_b64 s[8:9], 0
.LBB15_1080:
	s_andn2_b64 vcc, exec, s[8:9]
	s_cbranch_vccnz .LBB15_1085
; %bb.1081:
	s_sext_i32_i16 s8, s18
	s_cmp_gt_i32 s8, 0
	s_mov_b64 s[8:9], -1
	s_cbranch_scc0 .LBB15_1083
; %bb.1082:
	s_waitcnt vmcnt(0)
	v_cvt_i32_f32_e32 v0, v3
	s_mov_b64 s[8:9], 0
	global_store_byte v[1:2], v0, off
.LBB15_1083:
	s_andn2_b64 vcc, exec, s[8:9]
	s_cbranch_vccnz .LBB15_1085
; %bb.1084:
	s_waitcnt vmcnt(0)
	v_trunc_f32_e32 v0, v3
	s_mov_b32 s8, 0x2f800000
	v_mul_f32_e64 v3, |v0|, s8
	v_floor_f32_e32 v3, v3
	s_mov_b32 s8, 0xcf800000
	v_fma_f32 v3, v3, s8, |v0|
	v_cvt_u32_f32_e32 v3, v3
	v_ashrrev_i32_e32 v0, 31, v0
	v_xor_b32_e32 v3, v3, v0
	v_sub_u32_e32 v0, v3, v0
	global_store_byte v[1:2], v0, off
.LBB15_1085:
	s_or_b64 exec, exec, s[0:1]
	s_and_b64 s[28:29], s[2:3], exec
                                        ; implicit-def: $vgpr15
                                        ; implicit-def: $vgpr8
.LBB15_1086:
	s_or_saveexec_b64 s[30:31], s[42:43]
	s_mov_b64 s[0:1], 0
                                        ; implicit-def: $vgpr0_vgpr1
                                        ; implicit-def: $sgpr16
                                        ; implicit-def: $vgpr2
	s_xor_b64 exec, exec, s[30:31]
	s_cbranch_execz .LBB15_2090
; %bb.1087:
	v_cndmask_b32_e64 v0, 0, 1, s[40:41]
	v_cmp_ne_u32_e64 s[0:1], 1, v0
	s_andn2_b64 vcc, exec, s[40:41]
	s_cbranch_vccnz .LBB15_1093
; %bb.1088:
	s_cmp_lg_u32 s33, 0
	s_mov_b32 s36, 0
	s_cbranch_scc0 .LBB15_1094
; %bb.1089:
	s_min_u32 s37, s74, 15
	s_add_i32 s37, s37, 1
	s_cmp_eq_u32 s74, 2
	s_cbranch_scc1 .LBB15_1095
; %bb.1090:
	s_and_b32 s36, s37, 28
	s_add_u32 s2, s34, 0xc4
	s_addc_u32 s3, s35, 0
	v_mov_b32_e32 v13, 0
	s_mov_b32 s38, 0
	s_mov_b64 s[6:7], s[34:35]
	v_mov_b32_e32 v6, 0
	v_mov_b32_e32 v0, v8
.LBB15_1091:                            ; =>This Inner Loop Header: Depth=1
	s_load_dwordx8 s[16:23], s[6:7], 0x4
	s_load_dwordx4 s[24:27], s[6:7], 0x24
	s_load_dwordx8 s[8:15], s[2:3], 0x0
	s_add_u32 s6, s6, 48
	s_addc_u32 s7, s7, 0
	s_waitcnt lgkmcnt(0)
	v_mul_hi_u32 v1, s17, v0
	s_add_i32 s38, s38, 4
	s_add_u32 s2, s2, 32
	s_addc_u32 s3, s3, 0
	v_add_u32_e32 v1, v0, v1
	v_lshrrev_b32_e32 v1, s18, v1
	v_mul_lo_u32 v2, v1, s16
	s_waitcnt vmcnt(0)
	v_mul_hi_u32 v3, s20, v1
	s_cmp_lg_u32 s36, s38
	v_sub_u32_e32 v0, v0, v2
	v_add_u32_e32 v2, v1, v3
	v_mul_lo_u32 v3, v0, s8
	v_mul_lo_u32 v4, v0, s9
	v_lshrrev_b32_e32 v0, s21, v2
	v_mul_lo_u32 v2, v0, s19
	v_mul_hi_u32 v5, s23, v0
	v_sub_u32_e32 v1, v1, v2
	v_add_u32_e32 v2, v0, v5
	v_lshrrev_b32_e32 v2, s24, v2
	v_mul_hi_u32 v7, s26, v2
	v_mul_lo_u32 v9, v2, s22
	v_mul_lo_u32 v5, v1, s10
	;; [unrolled: 1-line block ×3, first 2 shown]
	v_sub_u32_e32 v9, v0, v9
	v_add_u32_e32 v0, v2, v7
	v_lshrrev_b32_e32 v0, s27, v0
	v_mul_lo_u32 v7, v0, s25
	v_mul_lo_u32 v10, v9, s12
	;; [unrolled: 1-line block ×3, first 2 shown]
	v_add3_u32 v3, v3, v6, v5
	v_sub_u32_e32 v2, v2, v7
	v_mul_lo_u32 v7, v2, s14
	v_mul_lo_u32 v2, v2, s15
	v_add3_u32 v1, v4, v13, v1
	v_add3_u32 v6, v10, v3, v7
	;; [unrolled: 1-line block ×3, first 2 shown]
	s_cbranch_scc1 .LBB15_1091
; %bb.1092:
	s_and_b32 s8, s37, 3
	s_cmp_eq_u32 s8, 0
	s_cbranch_scc0 .LBB15_1096
	s_branch .LBB15_1098
.LBB15_1093:
                                        ; implicit-def: $vgpr6
                                        ; implicit-def: $vgpr13
	s_branch .LBB15_1099
.LBB15_1094:
	v_mov_b32_e32 v6, 0
	v_mov_b32_e32 v13, 0
	s_branch .LBB15_1098
.LBB15_1095:
	v_mov_b32_e32 v6, 0
	v_mov_b32_e32 v13, 0
	;; [unrolled: 1-line block ×3, first 2 shown]
	s_and_b32 s8, s37, 3
	s_cmp_eq_u32 s8, 0
	s_cbranch_scc1 .LBB15_1098
.LBB15_1096:
	s_lshl_b32 s2, s36, 3
	s_add_u32 s2, s34, s2
	s_addc_u32 s3, s35, 0
	s_add_u32 s2, s2, 0xc4
	s_addc_u32 s3, s3, 0
	s_mul_i32 s6, s36, 12
	s_add_u32 s6, s34, s6
	s_addc_u32 s7, s35, 0
.LBB15_1097:                            ; =>This Inner Loop Header: Depth=1
	s_load_dwordx2 s[10:11], s[6:7], 0x4
	s_load_dword s9, s[6:7], 0xc
	s_load_dwordx2 s[12:13], s[2:3], 0x0
	s_add_u32 s6, s6, 12
	s_addc_u32 s7, s7, 0
	s_waitcnt lgkmcnt(0)
	v_mul_hi_u32 v1, s11, v0
	s_add_u32 s2, s2, 8
	s_addc_u32 s3, s3, 0
	s_add_i32 s8, s8, -1
	v_add_u32_e32 v1, v0, v1
	v_lshrrev_b32_e32 v1, s9, v1
	v_mul_lo_u32 v2, v1, s10
	s_cmp_lg_u32 s8, 0
	v_sub_u32_e32 v0, v0, v2
	v_mad_u64_u32 v[6:7], s[10:11], v0, s12, v[6:7]
	v_mad_u64_u32 v[13:14], s[10:11], v0, s13, v[13:14]
	v_mov_b32_e32 v0, v1
	s_cbranch_scc1 .LBB15_1097
.LBB15_1098:
	s_cbranch_execnz .LBB15_1101
.LBB15_1099:
	s_load_dwordx4 s[8:11], s[34:35], 0x4
	s_load_dwordx2 s[2:3], s[34:35], 0xc4
	s_cmp_lt_u32 s33, 2
	s_waitcnt lgkmcnt(0)
	v_mul_hi_u32 v0, s9, v8
	v_add_u32_e32 v0, v8, v0
	v_lshrrev_b32_e32 v0, s10, v0
	v_mul_lo_u32 v1, v0, s8
	v_sub_u32_e32 v1, v8, v1
	v_mul_lo_u32 v6, v1, s2
	v_mul_lo_u32 v13, v1, s3
	s_cbranch_scc1 .LBB15_1101
; %bb.1100:
	s_load_dwordx4 s[8:11], s[34:35], 0x10
	s_load_dwordx2 s[2:3], s[34:35], 0xcc
	s_waitcnt lgkmcnt(0)
	v_mul_hi_u32 v1, s9, v0
	v_add_u32_e32 v1, v0, v1
	v_lshrrev_b32_e32 v1, s10, v1
	v_mul_lo_u32 v1, v1, s8
	v_sub_u32_e32 v0, v0, v1
	v_mad_u64_u32 v[6:7], s[6:7], v0, s2, v[6:7]
	v_mad_u64_u32 v[13:14], s[2:3], v0, s3, v[13:14]
.LBB15_1101:
	s_and_b64 vcc, exec, s[0:1]
	v_add_u32_e32 v0, 0x80, v8
	s_cbranch_vccnz .LBB15_1107
; %bb.1102:
	s_cmp_lg_u32 s33, 0
	s_mov_b32 s36, 0
	s_cbranch_scc0 .LBB15_1108
; %bb.1103:
	s_min_u32 s37, s74, 15
	s_add_i32 s37, s37, 1
	s_cmp_eq_u32 s74, 2
	s_cbranch_scc1 .LBB15_1109
; %bb.1104:
	s_and_b32 s36, s37, 28
	s_add_u32 s2, s34, 0xc4
	s_addc_u32 s3, s35, 0
	v_mov_b32_e32 v11, 0
	s_mov_b32 s38, 0
	s_mov_b64 s[6:7], s[34:35]
	s_waitcnt vmcnt(0)
	v_mov_b32_e32 v4, 0
	v_mov_b32_e32 v1, v0
.LBB15_1105:                            ; =>This Inner Loop Header: Depth=1
	s_load_dwordx8 s[16:23], s[6:7], 0x4
	s_load_dwordx4 s[24:27], s[6:7], 0x24
	s_load_dwordx8 s[8:15], s[2:3], 0x0
	s_add_u32 s6, s6, 48
	s_addc_u32 s7, s7, 0
	s_waitcnt lgkmcnt(0)
	v_mul_hi_u32 v2, s17, v1
	s_add_i32 s38, s38, 4
	s_add_u32 s2, s2, 32
	s_addc_u32 s3, s3, 0
	v_add_u32_e32 v2, v1, v2
	v_lshrrev_b32_e32 v2, s18, v2
	v_mul_lo_u32 v3, v2, s16
	v_mul_hi_u32 v5, s20, v2
	s_cmp_lg_u32 s36, s38
	v_sub_u32_e32 v1, v1, v3
	v_add_u32_e32 v3, v2, v5
	v_mul_lo_u32 v5, v1, s8
	v_mul_lo_u32 v7, v1, s9
	v_lshrrev_b32_e32 v1, s21, v3
	v_mul_lo_u32 v3, v1, s19
	v_mul_hi_u32 v9, s23, v1
	v_sub_u32_e32 v2, v2, v3
	v_add_u32_e32 v3, v1, v9
	v_lshrrev_b32_e32 v3, s24, v3
	v_mul_hi_u32 v10, s26, v3
	v_mul_lo_u32 v12, v3, s22
	v_mul_lo_u32 v9, v2, s10
	;; [unrolled: 1-line block ×3, first 2 shown]
	v_sub_u32_e32 v12, v1, v12
	v_add_u32_e32 v1, v3, v10
	v_lshrrev_b32_e32 v1, s27, v1
	v_mul_lo_u32 v10, v1, s25
	v_mul_lo_u32 v14, v12, s12
	;; [unrolled: 1-line block ×3, first 2 shown]
	v_add3_u32 v4, v5, v4, v9
	v_sub_u32_e32 v3, v3, v10
	v_mul_lo_u32 v10, v3, s14
	v_mul_lo_u32 v3, v3, s15
	v_add3_u32 v2, v7, v11, v2
	v_add3_u32 v4, v14, v4, v10
	v_add3_u32 v11, v12, v2, v3
	s_cbranch_scc1 .LBB15_1105
; %bb.1106:
	s_and_b32 s8, s37, 3
	s_cmp_eq_u32 s8, 0
	s_cbranch_scc0 .LBB15_1110
	s_branch .LBB15_1112
.LBB15_1107:
                                        ; implicit-def: $vgpr4
                                        ; implicit-def: $vgpr11
	s_branch .LBB15_1113
.LBB15_1108:
	s_waitcnt vmcnt(0)
	v_mov_b32_e32 v4, 0
	v_mov_b32_e32 v11, 0
	s_branch .LBB15_1112
.LBB15_1109:
	s_waitcnt vmcnt(0)
	v_mov_b32_e32 v4, 0
	v_mov_b32_e32 v11, 0
	;; [unrolled: 1-line block ×3, first 2 shown]
	s_and_b32 s8, s37, 3
	s_cmp_eq_u32 s8, 0
	s_cbranch_scc1 .LBB15_1112
.LBB15_1110:
	s_lshl_b32 s2, s36, 3
	s_add_u32 s2, s34, s2
	s_addc_u32 s3, s35, 0
	s_add_u32 s2, s2, 0xc4
	s_addc_u32 s3, s3, 0
	s_mul_i32 s6, s36, 12
	s_add_u32 s6, s34, s6
	s_addc_u32 s7, s35, 0
.LBB15_1111:                            ; =>This Inner Loop Header: Depth=1
	s_load_dwordx2 s[10:11], s[6:7], 0x4
	s_load_dword s9, s[6:7], 0xc
	s_load_dwordx2 s[12:13], s[2:3], 0x0
	s_add_u32 s6, s6, 12
	s_addc_u32 s7, s7, 0
	s_waitcnt lgkmcnt(0)
	v_mul_hi_u32 v2, s11, v1
	s_add_u32 s2, s2, 8
	s_addc_u32 s3, s3, 0
	s_add_i32 s8, s8, -1
	v_add_u32_e32 v2, v1, v2
	v_lshrrev_b32_e32 v2, s9, v2
	v_mul_lo_u32 v3, v2, s10
	s_cmp_lg_u32 s8, 0
	v_sub_u32_e32 v1, v1, v3
	v_mad_u64_u32 v[4:5], s[10:11], v1, s12, v[4:5]
	v_mad_u64_u32 v[11:12], s[10:11], v1, s13, v[11:12]
	v_mov_b32_e32 v1, v2
	s_cbranch_scc1 .LBB15_1111
.LBB15_1112:
	s_cbranch_execnz .LBB15_1115
.LBB15_1113:
	s_load_dwordx4 s[8:11], s[34:35], 0x4
	s_load_dwordx2 s[2:3], s[34:35], 0xc4
	s_cmp_lt_u32 s33, 2
	s_waitcnt lgkmcnt(0)
	v_mul_hi_u32 v1, s9, v0
	v_add_u32_e32 v1, v0, v1
	v_lshrrev_b32_e32 v1, s10, v1
	v_mul_lo_u32 v2, v1, s8
	v_sub_u32_e32 v0, v0, v2
	s_waitcnt vmcnt(0)
	v_mul_lo_u32 v4, v0, s2
	v_mul_lo_u32 v11, v0, s3
	s_cbranch_scc1 .LBB15_1115
; %bb.1114:
	s_load_dwordx4 s[8:11], s[34:35], 0x10
	s_load_dwordx2 s[2:3], s[34:35], 0xcc
	s_waitcnt lgkmcnt(0)
	v_mul_hi_u32 v0, s9, v1
	v_add_u32_e32 v0, v1, v0
	v_lshrrev_b32_e32 v0, s10, v0
	v_mul_lo_u32 v0, v0, s8
	v_sub_u32_e32 v0, v1, v0
	v_mad_u64_u32 v[4:5], s[6:7], v0, s2, v[4:5]
	v_mad_u64_u32 v[11:12], s[2:3], v0, s3, v[11:12]
.LBB15_1115:
	s_and_b64 vcc, exec, s[0:1]
	v_add_u32_e32 v0, 0x100, v8
	s_cbranch_vccnz .LBB15_1121
; %bb.1116:
	s_cmp_lg_u32 s33, 0
	s_mov_b32 s36, 0
	s_cbranch_scc0 .LBB15_1122
; %bb.1117:
	s_min_u32 s37, s74, 15
	s_add_i32 s37, s37, 1
	s_cmp_eq_u32 s74, 2
	s_cbranch_scc1 .LBB15_1123
; %bb.1118:
	s_and_b32 s36, s37, 28
	s_add_u32 s2, s34, 0xc4
	s_addc_u32 s3, s35, 0
	v_mov_b32_e32 v9, 0
	s_mov_b32 s38, 0
	s_mov_b64 s[6:7], s[34:35]
	v_mov_b32_e32 v2, 0
	v_mov_b32_e32 v1, v0
.LBB15_1119:                            ; =>This Inner Loop Header: Depth=1
	s_load_dwordx8 s[16:23], s[6:7], 0x4
	s_load_dwordx4 s[24:27], s[6:7], 0x24
	s_load_dwordx8 s[8:15], s[2:3], 0x0
	s_add_u32 s6, s6, 48
	s_addc_u32 s7, s7, 0
	s_waitcnt vmcnt(0) lgkmcnt(0)
	v_mul_hi_u32 v3, s17, v1
	s_add_i32 s38, s38, 4
	s_add_u32 s2, s2, 32
	s_addc_u32 s3, s3, 0
	v_add_u32_e32 v3, v1, v3
	v_lshrrev_b32_e32 v3, s18, v3
	v_mul_lo_u32 v5, v3, s16
	v_mul_hi_u32 v7, s20, v3
	s_cmp_lg_u32 s36, s38
	v_sub_u32_e32 v1, v1, v5
	v_add_u32_e32 v5, v3, v7
	v_mul_lo_u32 v7, v1, s8
	v_mul_lo_u32 v8, v1, s9
	v_lshrrev_b32_e32 v1, s21, v5
	v_mul_lo_u32 v5, v1, s19
	v_mul_hi_u32 v10, s23, v1
	v_sub_u32_e32 v3, v3, v5
	v_add_u32_e32 v5, v1, v10
	v_lshrrev_b32_e32 v5, s24, v5
	v_mul_hi_u32 v12, s26, v5
	v_mul_lo_u32 v14, v5, s22
	v_mul_lo_u32 v10, v3, s10
	;; [unrolled: 1-line block ×3, first 2 shown]
	v_sub_u32_e32 v14, v1, v14
	v_add_u32_e32 v1, v5, v12
	v_lshrrev_b32_e32 v1, s27, v1
	v_mul_lo_u32 v12, v1, s25
	v_mul_lo_u32 v16, v14, s12
	;; [unrolled: 1-line block ×3, first 2 shown]
	v_add3_u32 v2, v7, v2, v10
	v_sub_u32_e32 v5, v5, v12
	v_mul_lo_u32 v12, v5, s14
	v_mul_lo_u32 v5, v5, s15
	v_add3_u32 v3, v8, v9, v3
	v_add3_u32 v2, v16, v2, v12
	;; [unrolled: 1-line block ×3, first 2 shown]
	s_cbranch_scc1 .LBB15_1119
; %bb.1120:
	s_and_b32 s8, s37, 3
	s_cmp_eq_u32 s8, 0
	s_cbranch_scc0 .LBB15_1124
	s_branch .LBB15_1126
.LBB15_1121:
                                        ; implicit-def: $vgpr2
                                        ; implicit-def: $vgpr9
	s_branch .LBB15_1127
.LBB15_1122:
	v_mov_b32_e32 v2, 0
	v_mov_b32_e32 v9, 0
	s_branch .LBB15_1126
.LBB15_1123:
	v_mov_b32_e32 v2, 0
	v_mov_b32_e32 v9, 0
	;; [unrolled: 1-line block ×3, first 2 shown]
	s_and_b32 s8, s37, 3
	s_cmp_eq_u32 s8, 0
	s_cbranch_scc1 .LBB15_1126
.LBB15_1124:
	s_lshl_b32 s2, s36, 3
	s_add_u32 s2, s34, s2
	s_addc_u32 s3, s35, 0
	s_add_u32 s2, s2, 0xc4
	s_addc_u32 s3, s3, 0
	s_mul_i32 s6, s36, 12
	s_add_u32 s6, s34, s6
	s_addc_u32 s7, s35, 0
.LBB15_1125:                            ; =>This Inner Loop Header: Depth=1
	s_load_dwordx2 s[10:11], s[6:7], 0x4
	s_load_dword s9, s[6:7], 0xc
	s_load_dwordx2 s[12:13], s[2:3], 0x0
	s_add_u32 s6, s6, 12
	s_addc_u32 s7, s7, 0
	s_waitcnt vmcnt(0) lgkmcnt(0)
	v_mul_hi_u32 v3, s11, v1
	s_add_u32 s2, s2, 8
	s_addc_u32 s3, s3, 0
	s_add_i32 s8, s8, -1
	v_add_u32_e32 v3, v1, v3
	v_lshrrev_b32_e32 v5, s9, v3
	v_mul_lo_u32 v3, v5, s10
	s_cmp_lg_u32 s8, 0
	v_sub_u32_e32 v1, v1, v3
	v_mad_u64_u32 v[2:3], s[10:11], v1, s12, v[2:3]
	v_mad_u64_u32 v[9:10], s[10:11], v1, s13, v[9:10]
	v_mov_b32_e32 v1, v5
	s_cbranch_scc1 .LBB15_1125
.LBB15_1126:
	s_cbranch_execnz .LBB15_1129
.LBB15_1127:
	s_load_dwordx4 s[8:11], s[34:35], 0x4
	s_load_dwordx2 s[2:3], s[34:35], 0xc4
	s_cmp_lt_u32 s33, 2
	s_waitcnt lgkmcnt(0)
	v_mul_hi_u32 v1, s9, v0
	v_add_u32_e32 v1, v0, v1
	v_lshrrev_b32_e32 v1, s10, v1
	v_mul_lo_u32 v2, v1, s8
	v_sub_u32_e32 v0, v0, v2
	v_mul_lo_u32 v2, v0, s2
	v_mul_lo_u32 v9, v0, s3
	s_cbranch_scc1 .LBB15_1129
; %bb.1128:
	s_load_dwordx4 s[8:11], s[34:35], 0x10
	s_load_dwordx2 s[2:3], s[34:35], 0xcc
	s_waitcnt lgkmcnt(0)
	v_mul_hi_u32 v0, s9, v1
	v_add_u32_e32 v0, v1, v0
	v_lshrrev_b32_e32 v0, s10, v0
	v_mul_lo_u32 v0, v0, s8
	v_sub_u32_e32 v0, v1, v0
	s_waitcnt vmcnt(0)
	v_mad_u64_u32 v[2:3], s[6:7], v0, s2, v[2:3]
	v_mad_u64_u32 v[9:10], s[2:3], v0, s3, v[9:10]
.LBB15_1129:
	s_and_b64 vcc, exec, s[0:1]
	s_cbranch_vccnz .LBB15_1135
; %bb.1130:
	s_cmp_lg_u32 s33, 0
	s_mov_b32 s26, 0
	s_cbranch_scc0 .LBB15_1136
; %bb.1131:
	s_min_u32 s27, s74, 15
	s_add_i32 s27, s27, 1
	s_cmp_eq_u32 s74, 2
	s_cbranch_scc1 .LBB15_1137
; %bb.1132:
	s_and_b32 s26, s27, 28
	s_add_u32 s6, s34, 0xc4
	s_addc_u32 s7, s35, 0
	v_mov_b32_e32 v7, 0
	s_mov_b32 s36, 0
	s_mov_b64 s[24:25], s[34:35]
	v_mov_b32_e32 v0, 0
	v_mov_b32_e32 v1, v15
.LBB15_1133:                            ; =>This Inner Loop Header: Depth=1
	s_load_dwordx8 s[16:23], s[24:25], 0x4
	s_load_dwordx4 s[0:3], s[24:25], 0x24
	s_load_dwordx8 s[8:15], s[6:7], 0x0
	s_add_u32 s24, s24, 48
	s_addc_u32 s25, s25, 0
	s_waitcnt vmcnt(0) lgkmcnt(0)
	v_mul_hi_u32 v3, s17, v1
	s_add_i32 s36, s36, 4
	s_add_u32 s6, s6, 32
	s_addc_u32 s7, s7, 0
	v_add_u32_e32 v3, v1, v3
	v_lshrrev_b32_e32 v3, s18, v3
	v_mul_lo_u32 v5, v3, s16
	v_mul_hi_u32 v8, s20, v3
	s_cmp_lg_u32 s26, s36
	v_sub_u32_e32 v1, v1, v5
	v_add_u32_e32 v5, v3, v8
	v_mul_lo_u32 v8, v1, s8
	v_mul_lo_u32 v10, v1, s9
	v_lshrrev_b32_e32 v1, s21, v5
	v_mul_lo_u32 v5, v1, s19
	v_mul_hi_u32 v12, s23, v1
	v_sub_u32_e32 v3, v3, v5
	v_add_u32_e32 v5, v1, v12
	v_lshrrev_b32_e32 v5, s0, v5
	v_mul_hi_u32 v14, s2, v5
	v_mul_lo_u32 v16, v5, s22
	v_mul_lo_u32 v12, v3, s10
	;; [unrolled: 1-line block ×3, first 2 shown]
	v_sub_u32_e32 v16, v1, v16
	v_add_u32_e32 v1, v5, v14
	v_lshrrev_b32_e32 v1, s3, v1
	v_mul_lo_u32 v14, v1, s1
	v_mul_lo_u32 v17, v16, s12
	;; [unrolled: 1-line block ×3, first 2 shown]
	v_add3_u32 v0, v8, v0, v12
	v_sub_u32_e32 v5, v5, v14
	v_mul_lo_u32 v14, v5, s14
	v_mul_lo_u32 v5, v5, s15
	v_add3_u32 v3, v10, v7, v3
	v_add3_u32 v0, v17, v0, v14
	;; [unrolled: 1-line block ×3, first 2 shown]
	s_cbranch_scc1 .LBB15_1133
; %bb.1134:
	s_and_b32 s6, s27, 3
	s_cmp_eq_u32 s6, 0
	s_cbranch_scc0 .LBB15_1138
	s_branch .LBB15_1140
.LBB15_1135:
                                        ; implicit-def: $vgpr0
                                        ; implicit-def: $vgpr7
	s_branch .LBB15_1141
.LBB15_1136:
	v_mov_b32_e32 v0, 0
	v_mov_b32_e32 v7, 0
	s_branch .LBB15_1140
.LBB15_1137:
	v_mov_b32_e32 v0, 0
	v_mov_b32_e32 v7, 0
	;; [unrolled: 1-line block ×3, first 2 shown]
	s_and_b32 s6, s27, 3
	s_cmp_eq_u32 s6, 0
	s_cbranch_scc1 .LBB15_1140
.LBB15_1138:
	s_lshl_b32 s0, s26, 3
	s_add_u32 s0, s34, s0
	s_addc_u32 s1, s35, 0
	s_add_u32 s0, s0, 0xc4
	s_addc_u32 s1, s1, 0
	s_mul_i32 s2, s26, 12
	s_add_u32 s2, s34, s2
	s_addc_u32 s3, s35, 0
.LBB15_1139:                            ; =>This Inner Loop Header: Depth=1
	s_load_dwordx2 s[8:9], s[2:3], 0x4
	s_load_dword s7, s[2:3], 0xc
	s_load_dwordx2 s[10:11], s[0:1], 0x0
	s_add_u32 s2, s2, 12
	s_addc_u32 s3, s3, 0
	s_waitcnt vmcnt(0) lgkmcnt(0)
	v_mul_hi_u32 v3, s9, v1
	s_add_u32 s0, s0, 8
	s_addc_u32 s1, s1, 0
	s_add_i32 s6, s6, -1
	v_add_u32_e32 v3, v1, v3
	v_lshrrev_b32_e32 v3, s7, v3
	v_mul_lo_u32 v5, v3, s8
	s_cmp_lg_u32 s6, 0
	v_sub_u32_e32 v5, v1, v5
	v_mad_u64_u32 v[0:1], s[8:9], v5, s10, v[0:1]
	v_mad_u64_u32 v[7:8], s[8:9], v5, s11, v[7:8]
	v_mov_b32_e32 v1, v3
	s_cbranch_scc1 .LBB15_1139
.LBB15_1140:
	s_cbranch_execnz .LBB15_1143
.LBB15_1141:
	s_load_dwordx4 s[0:3], s[34:35], 0x4
	s_load_dwordx2 s[6:7], s[34:35], 0xc4
	s_cmp_lt_u32 s33, 2
	s_waitcnt lgkmcnt(0)
	v_mul_hi_u32 v0, s1, v15
	v_add_u32_e32 v0, v15, v0
	v_lshrrev_b32_e32 v1, s2, v0
	v_mul_lo_u32 v0, v1, s0
	s_waitcnt vmcnt(0)
	v_sub_u32_e32 v3, v15, v0
	v_mul_lo_u32 v0, v3, s6
	v_mul_lo_u32 v7, v3, s7
	s_cbranch_scc1 .LBB15_1143
; %bb.1142:
	s_load_dwordx4 s[0:3], s[34:35], 0x10
	s_load_dwordx2 s[6:7], s[34:35], 0xcc
	s_waitcnt lgkmcnt(0)
	v_mul_hi_u32 v3, s1, v1
	v_add_u32_e32 v3, v1, v3
	v_lshrrev_b32_e32 v3, s2, v3
	v_mul_lo_u32 v3, v3, s0
	v_sub_u32_e32 v3, v1, v3
	v_mad_u64_u32 v[0:1], s[0:1], v3, s6, v[0:1]
	v_mad_u64_u32 v[7:8], s[0:1], v3, s7, v[7:8]
.LBB15_1143:
	s_load_dwordx4 s[8:11], s[34:35], 0x148
	s_load_dword s14, s[4:5], 0x164
	s_waitcnt lgkmcnt(0)
	v_mov_b32_e32 v1, s11
	s_bfe_u32 s15, s14, 0x80008
	v_add_co_u32_e32 v12, vcc, s10, v13
	s_cmp_lt_i32 s15, 11
	v_addc_co_u32_e32 v13, vcc, 0, v1, vcc
	s_cbranch_scc1 .LBB15_1150
; %bb.1144:
	s_and_b32 s16, 0xffff, s15
	s_cmp_gt_i32 s16, 25
	s_mov_b64 s[4:5], 0
	s_cbranch_scc0 .LBB15_1152
; %bb.1145:
	s_cmp_gt_i32 s16, 28
	s_cbranch_scc0 .LBB15_1153
; %bb.1146:
	s_cmp_gt_i32 s16, 43
	s_cbranch_scc0 .LBB15_1154
; %bb.1147:
	s_cmp_gt_i32 s16, 45
	s_cbranch_scc0 .LBB15_1155
; %bb.1148:
	s_cmp_eq_u32 s16, 46
	s_mov_b64 s[2:3], 0
	s_cbranch_scc0 .LBB15_1158
; %bb.1149:
	global_load_dword v1, v[12:13], off
	s_mov_b64 s[0:1], 0
	s_mov_b64 s[6:7], -1
	s_waitcnt vmcnt(0)
	v_lshlrev_b32_e32 v1, 16, v1
	s_branch .LBB15_1159
.LBB15_1150:
	s_mov_b64 s[6:7], 0
                                        ; implicit-def: $vgpr1
	s_mov_b64 s[2:3], s[28:29]
	s_cbranch_execnz .LBB15_1222
.LBB15_1151:
	s_andn2_b64 vcc, exec, s[6:7]
	s_cbranch_vccz .LBB15_1267
	s_branch .LBB15_2088
.LBB15_1152:
	s_mov_b64 s[6:7], 0
	s_mov_b64 s[0:1], 0
                                        ; implicit-def: $vgpr1
	s_cbranch_execnz .LBB15_1187
	s_branch .LBB15_1218
.LBB15_1153:
	s_mov_b64 s[2:3], -1
	s_mov_b64 s[6:7], 0
	s_mov_b64 s[0:1], 0
                                        ; implicit-def: $vgpr1
	s_branch .LBB15_1168
.LBB15_1154:
	s_mov_b64 s[6:7], 0
	s_mov_b64 s[0:1], 0
                                        ; implicit-def: $vgpr1
	s_cbranch_execnz .LBB15_1164
	s_branch .LBB15_1167
.LBB15_1155:
	s_mov_b64 s[2:3], -1
	s_mov_b64 s[6:7], 0
	s_mov_b64 s[0:1], 0
                                        ; implicit-def: $vgpr1
	s_branch .LBB15_1159
.LBB15_1156:
	s_andn2_saveexec_b64 s[14:15], s[14:15]
	s_cbranch_execz .LBB15_999
.LBB15_1157:
	s_mov_b32 s16, 0x46000000
	v_add_f32_e64 v0, |v3|, s16
	v_and_b32_e32 v0, 0xff, v0
	v_cmp_ne_u32_e32 vcc, 0, v0
	s_andn2_b64 s[12:13], s[12:13], exec
	s_and_b64 s[16:17], vcc, exec
	s_or_b64 s[12:13], s[12:13], s[16:17]
	s_or_b64 exec, exec, s[14:15]
	v_mov_b32_e32 v4, 0
	s_and_saveexec_b64 s[14:15], s[12:13]
	s_cbranch_execnz .LBB15_1000
	s_branch .LBB15_1001
.LBB15_1158:
	s_mov_b64 s[0:1], -1
                                        ; implicit-def: $vgpr1
	s_mov_b64 s[6:7], 0
.LBB15_1159:
	s_and_b64 vcc, exec, s[2:3]
	s_cbranch_vccz .LBB15_1162
; %bb.1160:
	s_cmp_eq_u32 s16, 44
	s_cbranch_scc0 .LBB15_1163
; %bb.1161:
	global_load_ubyte v1, v[12:13], off
	s_movk_i32 s2, 0xff
	s_waitcnt vmcnt(1)
	v_mov_b32_e32 v3, 0x7f800001
	v_mov_b32_e32 v5, 0x400000
	s_mov_b64 s[0:1], 0
	s_mov_b64 s[6:7], -1
	s_waitcnt vmcnt(0)
	v_lshlrev_b32_e32 v8, 23, v1
	v_cmp_ne_u32_e32 vcc, s2, v1
	v_cndmask_b32_e32 v3, v3, v8, vcc
	v_cmp_ne_u32_e32 vcc, 0, v1
	v_cndmask_b32_e32 v1, v5, v3, vcc
.LBB15_1162:
	s_branch .LBB15_1167
.LBB15_1163:
	s_mov_b64 s[0:1], -1
                                        ; implicit-def: $vgpr1
	s_branch .LBB15_1167
.LBB15_1164:
	s_cmp_eq_u32 s16, 29
	s_cbranch_scc0 .LBB15_1166
; %bb.1165:
	global_load_dwordx2 v[14:15], v[12:13], off
	s_mov_b64 s[0:1], 0
	s_mov_b64 s[6:7], -1
	s_mov_b64 s[2:3], 0
	s_waitcnt vmcnt(0)
	v_ffbh_u32_e32 v1, v15
	v_min_u32_e32 v1, 32, v1
	v_lshlrev_b64 v[14:15], v1, v[14:15]
	v_sub_u32_e32 v1, 32, v1
	v_min_u32_e32 v3, 1, v14
	v_or_b32_e32 v3, v15, v3
	v_cvt_f32_u32_e32 v3, v3
	v_ldexp_f32 v1, v3, v1
	s_branch .LBB15_1168
.LBB15_1166:
	s_mov_b64 s[0:1], -1
                                        ; implicit-def: $vgpr1
.LBB15_1167:
	s_mov_b64 s[2:3], 0
.LBB15_1168:
	s_and_b64 vcc, exec, s[2:3]
	s_cbranch_vccz .LBB15_1186
; %bb.1169:
	s_cmp_lt_i32 s16, 27
	s_cbranch_scc1 .LBB15_1172
; %bb.1170:
	s_cmp_gt_i32 s16, 27
	s_cbranch_scc0 .LBB15_1173
; %bb.1171:
	global_load_dword v1, v[12:13], off
	s_mov_b64 s[2:3], 0
	s_waitcnt vmcnt(0)
	v_cvt_f32_u32_e32 v1, v1
	s_branch .LBB15_1174
.LBB15_1172:
	s_mov_b64 s[2:3], -1
                                        ; implicit-def: $vgpr1
	s_branch .LBB15_1177
.LBB15_1173:
	s_mov_b64 s[2:3], -1
                                        ; implicit-def: $vgpr1
.LBB15_1174:
	s_andn2_b64 vcc, exec, s[2:3]
	s_cbranch_vccnz .LBB15_1176
; %bb.1175:
	global_load_ushort v1, v[12:13], off
	s_waitcnt vmcnt(0)
	v_cvt_f32_u32_e32 v1, v1
.LBB15_1176:
	s_mov_b64 s[2:3], 0
.LBB15_1177:
	s_andn2_b64 vcc, exec, s[2:3]
	s_cbranch_vccnz .LBB15_1185
; %bb.1178:
	global_load_ubyte v3, v[12:13], off
	s_movk_i32 s2, 0x7f
	s_waitcnt vmcnt(0)
	v_cmp_lt_i16_e32 vcc, s2, v3
	s_mov_b64 s[2:3], 0
	s_and_saveexec_b64 s[6:7], vcc
	s_xor_b64 s[6:7], exec, s[6:7]
	s_cbranch_execz .LBB15_1198
; %bb.1179:
	s_movk_i32 s2, 0x80
	v_cmp_eq_u16_e32 vcc, s2, v3
	s_mov_b64 s[2:3], -1
	s_and_saveexec_b64 s[12:13], vcc
; %bb.1180:
	s_xor_b64 s[2:3], exec, -1
; %bb.1181:
	s_or_b64 exec, exec, s[12:13]
	s_and_b64 s[2:3], s[2:3], exec
	s_or_saveexec_b64 s[6:7], s[6:7]
	v_mov_b32_e32 v1, 0x7f800001
	s_xor_b64 exec, exec, s[6:7]
	s_cbranch_execnz .LBB15_1199
.LBB15_1182:
	s_or_b64 exec, exec, s[6:7]
	s_and_saveexec_b64 s[6:7], s[2:3]
	s_cbranch_execz .LBB15_1184
.LBB15_1183:
	v_lshlrev_b32_e32 v1, 24, v3
	v_and_b32_e32 v3, 0xffff, v3
	v_and_b32_e32 v5, 7, v3
	v_ffbh_u32_e32 v10, v5
	v_min_u32_e32 v10, 32, v10
	v_subrev_u32_e32 v14, 28, v10
	v_bfe_u32 v8, v3, 3, 4
	v_lshlrev_b32_e32 v3, v14, v3
	v_sub_u32_e32 v10, 29, v10
	v_and_b32_e32 v3, 7, v3
	v_cmp_eq_u32_e32 vcc, 0, v8
	v_cndmask_b32_e32 v8, v8, v10, vcc
	v_cndmask_b32_e32 v3, v5, v3, vcc
	v_mov_b32_e32 v5, 0x3b800000
	v_lshlrev_b32_e32 v3, 20, v3
	v_and_b32_e32 v1, 0x80000000, v1
	v_lshl_add_u32 v5, v8, 23, v5
	v_or3_b32 v1, v1, v5, v3
.LBB15_1184:
	s_or_b64 exec, exec, s[6:7]
.LBB15_1185:
	s_mov_b64 s[6:7], -1
.LBB15_1186:
	s_branch .LBB15_1218
.LBB15_1187:
	s_cmp_gt_i32 s16, 22
	s_cbranch_scc0 .LBB15_1197
; %bb.1188:
	s_cmp_lt_i32 s16, 24
	s_cbranch_scc1 .LBB15_1200
; %bb.1189:
	s_cmp_gt_i32 s16, 24
	s_cbranch_scc0 .LBB15_1201
; %bb.1190:
	global_load_ubyte v3, v[12:13], off
	s_movk_i32 s2, 0x7f
	s_waitcnt vmcnt(0)
	v_cmp_lt_i16_e32 vcc, s2, v3
	s_mov_b64 s[2:3], 0
	s_and_saveexec_b64 s[4:5], vcc
	s_xor_b64 s[4:5], exec, s[4:5]
	s_cbranch_execz .LBB15_1212
; %bb.1191:
	s_movk_i32 s2, 0x80
	v_cmp_eq_u16_e32 vcc, s2, v3
	s_mov_b64 s[2:3], -1
	s_and_saveexec_b64 s[6:7], vcc
; %bb.1192:
	s_xor_b64 s[2:3], exec, -1
; %bb.1193:
	s_or_b64 exec, exec, s[6:7]
	s_and_b64 s[2:3], s[2:3], exec
	s_or_saveexec_b64 s[4:5], s[4:5]
	v_mov_b32_e32 v1, 0x7f800001
	s_xor_b64 exec, exec, s[4:5]
	s_cbranch_execnz .LBB15_1213
.LBB15_1194:
	s_or_b64 exec, exec, s[4:5]
	s_and_saveexec_b64 s[4:5], s[2:3]
	s_cbranch_execz .LBB15_1196
.LBB15_1195:
	v_lshlrev_b32_e32 v1, 24, v3
	v_and_b32_e32 v3, 0xffff, v3
	v_and_b32_e32 v5, 3, v3
	v_ffbh_u32_e32 v10, v5
	v_min_u32_e32 v10, 32, v10
	v_subrev_u32_e32 v14, 29, v10
	v_bfe_u32 v8, v3, 2, 5
	v_lshlrev_b32_e32 v3, v14, v3
	v_sub_u32_e32 v10, 30, v10
	v_and_b32_e32 v3, 3, v3
	v_cmp_eq_u32_e32 vcc, 0, v8
	v_cndmask_b32_e32 v8, v8, v10, vcc
	v_cndmask_b32_e32 v3, v5, v3, vcc
	v_mov_b32_e32 v5, 0x37800000
	v_lshlrev_b32_e32 v3, 21, v3
	v_and_b32_e32 v1, 0x80000000, v1
	v_lshl_add_u32 v5, v8, 23, v5
	v_or3_b32 v1, v1, v5, v3
.LBB15_1196:
	s_or_b64 exec, exec, s[4:5]
	s_mov_b64 s[2:3], 0
	s_branch .LBB15_1202
.LBB15_1197:
                                        ; implicit-def: $vgpr1
	s_mov_b64 s[4:5], 0
	s_branch .LBB15_1208
.LBB15_1198:
	s_or_saveexec_b64 s[6:7], s[6:7]
	v_mov_b32_e32 v1, 0x7f800001
	s_xor_b64 exec, exec, s[6:7]
	s_cbranch_execz .LBB15_1182
.LBB15_1199:
	v_cmp_ne_u16_e32 vcc, 0, v3
	s_andn2_b64 s[2:3], s[2:3], exec
	s_and_b64 s[12:13], vcc, exec
	v_mov_b32_e32 v1, 0
	s_or_b64 s[2:3], s[2:3], s[12:13]
	s_or_b64 exec, exec, s[6:7]
	s_and_saveexec_b64 s[6:7], s[2:3]
	s_cbranch_execnz .LBB15_1183
	s_branch .LBB15_1184
.LBB15_1200:
	s_mov_b64 s[2:3], -1
                                        ; implicit-def: $vgpr1
	s_branch .LBB15_1205
.LBB15_1201:
	s_mov_b64 s[2:3], -1
                                        ; implicit-def: $vgpr1
.LBB15_1202:
	s_and_b64 vcc, exec, s[2:3]
	s_cbranch_vccz .LBB15_1204
; %bb.1203:
	global_load_ubyte v1, v[12:13], off
	s_mov_b32 s2, 0x7f800000
	s_waitcnt vmcnt(0)
	v_lshlrev_b32_e32 v1, 24, v1
	v_and_b32_e32 v3, 0x7f000000, v1
	v_ffbh_u32_e32 v5, v3
	v_min_u32_e32 v5, 32, v5
	v_sub_u32_e64 v5, v5, 4 clamp
	v_lshlrev_b32_e32 v10, v5, v3
	v_lshlrev_b32_e32 v5, 23, v5
	v_lshrrev_b32_e32 v10, 4, v10
	v_add_u32_e32 v8, 0x1000000, v3
	v_sub_u32_e32 v5, v10, v5
	v_ashrrev_i32_e32 v8, 8, v8
	v_add_u32_e32 v5, 0x3c000000, v5
	v_and_or_b32 v5, v8, s2, v5
	v_cmp_ne_u32_e32 vcc, 0, v3
	v_cndmask_b32_e32 v3, 0, v5, vcc
	s_brev_b32 s2, 1
	v_and_or_b32 v1, v1, s2, v3
.LBB15_1204:
	s_mov_b64 s[2:3], 0
.LBB15_1205:
	s_andn2_b64 vcc, exec, s[2:3]
	s_cbranch_vccnz .LBB15_1207
; %bb.1206:
	global_load_ubyte v1, v[12:13], off
	s_movk_i32 s2, 0x7f00
	s_brev_b32 s3, 16
	s_waitcnt vmcnt(0)
	v_lshlrev_b16_e32 v3, 8, v1
	v_lshlrev_b32_e32 v1, 25, v1
	v_lshrrev_b32_e32 v5, 4, v1
	v_and_or_b32 v8, v3, s2, 0.5
	v_or_b32_e32 v5, 0x70000000, v5
	v_add_f32_e32 v8, -0.5, v8
	v_mul_f32_e32 v5, 0x7800000, v5
	v_cmp_gt_u32_e32 vcc, s3, v1
	v_bfe_i32 v3, v3, 0, 16
	v_cndmask_b32_e32 v1, v5, v8, vcc
	s_brev_b32 s2, 1
	v_and_or_b32 v1, v3, s2, v1
.LBB15_1207:
	s_mov_b64 s[6:7], -1
	s_mov_b64 s[4:5], 0
	s_cbranch_execnz .LBB15_1218
.LBB15_1208:
	s_cmp_gt_i32 s16, 14
	s_cbranch_scc0 .LBB15_1211
; %bb.1209:
	s_cmp_eq_u32 s16, 15
	s_cbranch_scc0 .LBB15_1214
; %bb.1210:
	global_load_ushort v1, v[12:13], off
	s_mov_b64 s[0:1], 0
	s_mov_b64 s[6:7], -1
	s_waitcnt vmcnt(0)
	v_lshlrev_b32_e32 v1, 16, v1
	s_branch .LBB15_1215
.LBB15_1211:
	s_mov_b64 s[2:3], -1
                                        ; implicit-def: $vgpr1
	s_branch .LBB15_1216
.LBB15_1212:
	s_or_saveexec_b64 s[4:5], s[4:5]
	v_mov_b32_e32 v1, 0x7f800001
	s_xor_b64 exec, exec, s[4:5]
	s_cbranch_execz .LBB15_1194
.LBB15_1213:
	v_cmp_ne_u16_e32 vcc, 0, v3
	s_andn2_b64 s[2:3], s[2:3], exec
	s_and_b64 s[6:7], vcc, exec
	v_mov_b32_e32 v1, 0
	s_or_b64 s[2:3], s[2:3], s[6:7]
	s_or_b64 exec, exec, s[4:5]
	s_and_saveexec_b64 s[4:5], s[2:3]
	s_cbranch_execnz .LBB15_1195
	s_branch .LBB15_1196
.LBB15_1214:
	s_mov_b64 s[0:1], -1
                                        ; implicit-def: $vgpr1
.LBB15_1215:
	s_mov_b64 s[2:3], 0
.LBB15_1216:
	s_and_b64 vcc, exec, s[2:3]
	s_cbranch_vccz .LBB15_1218
; %bb.1217:
	s_cmp_lg_u32 s16, 11
	s_mov_b64 s[4:5], -1
	s_cselect_b64 s[0:1], -1, 0
.LBB15_1218:
	s_and_b64 vcc, exec, s[0:1]
	s_mov_b64 s[2:3], s[28:29]
	s_cbranch_vccnz .LBB15_1279
; %bb.1219:
	s_andn2_b64 vcc, exec, s[4:5]
	s_cbranch_vccnz .LBB15_1221
.LBB15_1220:
	global_load_ubyte v1, v[12:13], off
	s_mov_b64 s[6:7], -1
	s_waitcnt vmcnt(0)
	v_cmp_ne_u16_e32 vcc, 0, v1
	v_cndmask_b32_e64 v1, 0, 1.0, vcc
.LBB15_1221:
	s_branch .LBB15_1151
.LBB15_1222:
	s_and_b32 s4, 0xffff, s15
	s_cmp_lt_i32 s4, 5
	s_cbranch_scc1 .LBB15_1227
; %bb.1223:
	s_cmp_lt_i32 s4, 8
	s_cbranch_scc1 .LBB15_1228
; %bb.1224:
	;; [unrolled: 3-line block ×3, first 2 shown]
	s_cmp_gt_i32 s4, 9
	s_cbranch_scc0 .LBB15_1230
; %bb.1226:
	global_load_dwordx2 v[14:15], v[12:13], off
	s_mov_b64 s[0:1], 0
	s_waitcnt vmcnt(0)
	v_cvt_f32_f64_e32 v1, v[14:15]
	s_branch .LBB15_1231
.LBB15_1227:
                                        ; implicit-def: $vgpr1
	s_branch .LBB15_1248
.LBB15_1228:
                                        ; implicit-def: $vgpr1
	s_branch .LBB15_1237
.LBB15_1229:
	s_mov_b64 s[0:1], -1
                                        ; implicit-def: $vgpr1
	s_branch .LBB15_1234
.LBB15_1230:
	s_mov_b64 s[0:1], -1
                                        ; implicit-def: $vgpr1
.LBB15_1231:
	s_andn2_b64 vcc, exec, s[0:1]
	s_cbranch_vccnz .LBB15_1233
; %bb.1232:
	global_load_dword v1, v[12:13], off
.LBB15_1233:
	s_mov_b64 s[0:1], 0
.LBB15_1234:
	s_andn2_b64 vcc, exec, s[0:1]
	s_cbranch_vccnz .LBB15_1236
; %bb.1235:
	global_load_dword v1, v[12:13], off
	s_waitcnt vmcnt(0)
	v_cvt_f32_f16_e32 v1, v1
.LBB15_1236:
	s_cbranch_execnz .LBB15_1247
.LBB15_1237:
	s_cmp_lt_i32 s4, 6
	s_cbranch_scc1 .LBB15_1240
; %bb.1238:
	s_cmp_gt_i32 s4, 6
	s_cbranch_scc0 .LBB15_1241
; %bb.1239:
	global_load_dwordx2 v[14:15], v[12:13], off
	s_mov_b64 s[0:1], 0
	s_waitcnt vmcnt(0)
	v_cvt_f32_f64_e32 v1, v[14:15]
	s_branch .LBB15_1242
.LBB15_1240:
	s_mov_b64 s[0:1], -1
                                        ; implicit-def: $vgpr1
	s_branch .LBB15_1245
.LBB15_1241:
	s_mov_b64 s[0:1], -1
                                        ; implicit-def: $vgpr1
.LBB15_1242:
	s_andn2_b64 vcc, exec, s[0:1]
	s_cbranch_vccnz .LBB15_1244
; %bb.1243:
	global_load_dword v1, v[12:13], off
.LBB15_1244:
	s_mov_b64 s[0:1], 0
.LBB15_1245:
	s_andn2_b64 vcc, exec, s[0:1]
	s_cbranch_vccnz .LBB15_1247
; %bb.1246:
	global_load_ushort v1, v[12:13], off
	s_waitcnt vmcnt(0)
	v_cvt_f32_f16_e32 v1, v1
.LBB15_1247:
	s_cbranch_execnz .LBB15_1266
.LBB15_1248:
	s_cmp_lt_i32 s4, 2
	s_cbranch_scc1 .LBB15_1252
; %bb.1249:
	s_cmp_lt_i32 s4, 3
	s_cbranch_scc1 .LBB15_1253
; %bb.1250:
	s_cmp_gt_i32 s4, 3
	s_cbranch_scc0 .LBB15_1254
; %bb.1251:
	global_load_dwordx2 v[14:15], v[12:13], off
	s_mov_b64 s[0:1], 0
	s_waitcnt vmcnt(0)
	v_xor_b32_e32 v3, v14, v15
	v_ffbh_i32_e32 v1, v15
	v_ashrrev_i32_e32 v3, 31, v3
	v_add_u32_e32 v1, -1, v1
	v_add_u32_e32 v3, 32, v3
	v_min_u32_e32 v1, v1, v3
	v_lshlrev_b64 v[14:15], v1, v[14:15]
	v_sub_u32_e32 v1, 32, v1
	v_min_u32_e32 v3, 1, v14
	v_or_b32_e32 v3, v15, v3
	v_cvt_f32_i32_e32 v3, v3
	v_ldexp_f32 v1, v3, v1
	s_branch .LBB15_1255
.LBB15_1252:
                                        ; implicit-def: $vgpr1
	s_branch .LBB15_1261
.LBB15_1253:
	s_mov_b64 s[0:1], -1
                                        ; implicit-def: $vgpr1
	s_branch .LBB15_1258
.LBB15_1254:
	s_mov_b64 s[0:1], -1
                                        ; implicit-def: $vgpr1
.LBB15_1255:
	s_andn2_b64 vcc, exec, s[0:1]
	s_cbranch_vccnz .LBB15_1257
; %bb.1256:
	global_load_dword v1, v[12:13], off
	s_waitcnt vmcnt(0)
	v_cvt_f32_i32_e32 v1, v1
.LBB15_1257:
	s_mov_b64 s[0:1], 0
.LBB15_1258:
	s_andn2_b64 vcc, exec, s[0:1]
	s_cbranch_vccnz .LBB15_1260
; %bb.1259:
	global_load_sshort v1, v[12:13], off
	s_waitcnt vmcnt(0)
	v_cvt_f32_i32_e32 v1, v1
.LBB15_1260:
	s_cbranch_execnz .LBB15_1266
.LBB15_1261:
	s_cmp_gt_i32 s4, 0
	s_cbranch_scc0 .LBB15_1263
; %bb.1262:
	global_load_sbyte v1, v[12:13], off
	s_mov_b64 s[0:1], 0
	s_waitcnt vmcnt(0)
	v_cvt_f32_i32_e32 v1, v1
	s_branch .LBB15_1264
.LBB15_1263:
	s_mov_b64 s[0:1], -1
                                        ; implicit-def: $vgpr1
.LBB15_1264:
	s_andn2_b64 vcc, exec, s[0:1]
	s_cbranch_vccnz .LBB15_1266
; %bb.1265:
	global_load_ubyte v1, v[12:13], off
	s_waitcnt vmcnt(0)
	v_cvt_f32_ubyte0_e32 v1, v1
.LBB15_1266:
.LBB15_1267:
	s_lshr_b32 s0, s14, 8
	s_waitcnt vmcnt(0)
	v_mov_b32_e32 v3, s11
	s_and_b32 s16, s0, 0xff
	v_add_co_u32_e32 v10, vcc, s10, v11
	s_cmp_lt_i32 s16, 11
	v_addc_co_u32_e32 v11, vcc, 0, v3, vcc
	s_cbranch_scc1 .LBB15_1274
; %bb.1268:
	s_and_b32 s17, 0xffff, s16
	s_cmp_gt_i32 s17, 25
	s_mov_b64 s[4:5], 0
	s_cbranch_scc0 .LBB15_1276
; %bb.1269:
	s_cmp_gt_i32 s17, 28
	s_cbranch_scc0 .LBB15_1277
; %bb.1270:
	s_cmp_gt_i32 s17, 43
	;; [unrolled: 3-line block ×3, first 2 shown]
	s_cbranch_scc0 .LBB15_1280
; %bb.1272:
	s_cmp_eq_u32 s17, 46
	s_mov_b64 s[12:13], 0
	s_cbranch_scc0 .LBB15_1283
; %bb.1273:
	global_load_dword v3, v[10:11], off
	s_mov_b64 s[0:1], 0
	s_mov_b64 s[6:7], -1
	s_waitcnt vmcnt(0)
	v_lshlrev_b32_e32 v3, 16, v3
	s_branch .LBB15_1284
.LBB15_1274:
	s_mov_b64 s[6:7], 0
                                        ; implicit-def: $vgpr3
	s_cbranch_execnz .LBB15_1349
.LBB15_1275:
	s_andn2_b64 vcc, exec, s[6:7]
	s_cbranch_vccnz .LBB15_2088
	s_branch .LBB15_1396
.LBB15_1276:
	s_mov_b64 s[6:7], 0
	s_mov_b64 s[0:1], 0
                                        ; implicit-def: $vgpr3
	s_cbranch_execnz .LBB15_1313
	s_branch .LBB15_1345
.LBB15_1277:
	s_mov_b64 s[12:13], -1
	s_mov_b64 s[6:7], 0
	s_mov_b64 s[0:1], 0
                                        ; implicit-def: $vgpr3
	s_branch .LBB15_1294
.LBB15_1278:
	s_mov_b64 s[12:13], -1
	s_mov_b64 s[6:7], 0
	s_mov_b64 s[0:1], 0
                                        ; implicit-def: $vgpr3
	s_branch .LBB15_1289
.LBB15_1279:
	s_or_b64 s[2:3], s[28:29], exec
	s_trap 2
	s_cbranch_execz .LBB15_1220
	s_branch .LBB15_1221
.LBB15_1280:
	s_mov_b64 s[12:13], -1
	s_mov_b64 s[6:7], 0
	s_mov_b64 s[0:1], 0
                                        ; implicit-def: $vgpr3
	s_branch .LBB15_1284
.LBB15_1281:
	s_andn2_saveexec_b64 s[16:17], s[16:17]
	s_cbranch_execz .LBB15_1011
.LBB15_1282:
	s_mov_b32 s20, 0x42800000
	v_add_f32_e64 v0, |v3|, s20
	v_and_b32_e32 v0, 0xff, v0
	v_cmp_ne_u32_e32 vcc, 0, v0
	s_andn2_b64 s[14:15], s[14:15], exec
	s_and_b64 s[20:21], vcc, exec
	s_or_b64 s[14:15], s[14:15], s[20:21]
	s_or_b64 exec, exec, s[16:17]
	v_mov_b32_e32 v4, 0
	s_and_saveexec_b64 s[16:17], s[14:15]
	s_cbranch_execnz .LBB15_1012
	s_branch .LBB15_1013
.LBB15_1283:
	s_mov_b64 s[0:1], -1
                                        ; implicit-def: $vgpr3
	s_mov_b64 s[6:7], 0
.LBB15_1284:
	s_and_b64 vcc, exec, s[12:13]
	s_cbranch_vccz .LBB15_1288
; %bb.1285:
	s_cmp_eq_u32 s17, 44
	s_cbranch_scc0 .LBB15_1287
; %bb.1286:
	global_load_ubyte v3, v[10:11], off
	s_movk_i32 s6, 0xff
	v_mov_b32_e32 v5, 0x7f800001
	v_mov_b32_e32 v8, 0x400000
	s_mov_b64 s[0:1], 0
	s_waitcnt vmcnt(0)
	v_lshlrev_b32_e32 v12, 23, v3
	v_cmp_ne_u32_e32 vcc, s6, v3
	v_cndmask_b32_e32 v5, v5, v12, vcc
	v_cmp_ne_u32_e32 vcc, 0, v3
	v_cndmask_b32_e32 v3, v8, v5, vcc
	s_mov_b64 s[6:7], -1
	s_branch .LBB15_1288
.LBB15_1287:
	s_mov_b64 s[0:1], -1
                                        ; implicit-def: $vgpr3
.LBB15_1288:
	s_mov_b64 s[12:13], 0
.LBB15_1289:
	s_and_b64 vcc, exec, s[12:13]
	s_cbranch_vccz .LBB15_1293
; %bb.1290:
	s_cmp_eq_u32 s17, 29
	s_cbranch_scc0 .LBB15_1292
; %bb.1291:
	global_load_dwordx2 v[12:13], v[10:11], off
	s_mov_b64 s[0:1], 0
	s_mov_b64 s[6:7], -1
	s_mov_b64 s[12:13], 0
	s_waitcnt vmcnt(0)
	v_ffbh_u32_e32 v3, v13
	v_min_u32_e32 v3, 32, v3
	v_lshlrev_b64 v[12:13], v3, v[12:13]
	v_sub_u32_e32 v3, 32, v3
	v_min_u32_e32 v5, 1, v12
	v_or_b32_e32 v5, v13, v5
	v_cvt_f32_u32_e32 v5, v5
	v_ldexp_f32 v3, v5, v3
	s_branch .LBB15_1294
.LBB15_1292:
	s_mov_b64 s[0:1], -1
                                        ; implicit-def: $vgpr3
.LBB15_1293:
	s_mov_b64 s[12:13], 0
.LBB15_1294:
	s_and_b64 vcc, exec, s[12:13]
	s_cbranch_vccz .LBB15_1312
; %bb.1295:
	s_cmp_lt_i32 s17, 27
	s_cbranch_scc1 .LBB15_1298
; %bb.1296:
	s_cmp_gt_i32 s17, 27
	s_cbranch_scc0 .LBB15_1299
; %bb.1297:
	global_load_dword v3, v[10:11], off
	s_mov_b64 s[6:7], 0
	s_waitcnt vmcnt(0)
	v_cvt_f32_u32_e32 v3, v3
	s_branch .LBB15_1300
.LBB15_1298:
	s_mov_b64 s[6:7], -1
                                        ; implicit-def: $vgpr3
	s_branch .LBB15_1303
.LBB15_1299:
	s_mov_b64 s[6:7], -1
                                        ; implicit-def: $vgpr3
.LBB15_1300:
	s_andn2_b64 vcc, exec, s[6:7]
	s_cbranch_vccnz .LBB15_1302
; %bb.1301:
	global_load_ushort v3, v[10:11], off
	s_waitcnt vmcnt(0)
	v_cvt_f32_u32_e32 v3, v3
.LBB15_1302:
	s_mov_b64 s[6:7], 0
.LBB15_1303:
	s_andn2_b64 vcc, exec, s[6:7]
	s_cbranch_vccnz .LBB15_1311
; %bb.1304:
	global_load_ubyte v5, v[10:11], off
	s_movk_i32 s6, 0x7f
	s_waitcnt vmcnt(0)
	v_cmp_lt_i16_e32 vcc, s6, v5
	s_mov_b64 s[6:7], 0
	s_and_saveexec_b64 s[12:13], vcc
	s_xor_b64 s[12:13], exec, s[12:13]
	s_cbranch_execz .LBB15_1324
; %bb.1305:
	s_movk_i32 s6, 0x80
	v_cmp_eq_u16_e32 vcc, s6, v5
	s_mov_b64 s[6:7], -1
	s_and_saveexec_b64 s[14:15], vcc
; %bb.1306:
	s_xor_b64 s[6:7], exec, -1
; %bb.1307:
	s_or_b64 exec, exec, s[14:15]
	s_and_b64 s[6:7], s[6:7], exec
	s_or_saveexec_b64 s[12:13], s[12:13]
	v_mov_b32_e32 v3, 0x7f800001
	s_xor_b64 exec, exec, s[12:13]
	s_cbranch_execnz .LBB15_1325
.LBB15_1308:
	s_or_b64 exec, exec, s[12:13]
	s_and_saveexec_b64 s[12:13], s[6:7]
	s_cbranch_execz .LBB15_1310
.LBB15_1309:
	v_lshlrev_b32_e32 v3, 24, v5
	v_and_b32_e32 v5, 0xffff, v5
	v_and_b32_e32 v8, 7, v5
	v_ffbh_u32_e32 v13, v8
	v_min_u32_e32 v13, 32, v13
	v_subrev_u32_e32 v14, 28, v13
	v_bfe_u32 v12, v5, 3, 4
	v_lshlrev_b32_e32 v5, v14, v5
	v_sub_u32_e32 v13, 29, v13
	v_and_b32_e32 v5, 7, v5
	v_cmp_eq_u32_e32 vcc, 0, v12
	v_cndmask_b32_e32 v12, v12, v13, vcc
	v_cndmask_b32_e32 v5, v8, v5, vcc
	v_mov_b32_e32 v8, 0x3b800000
	v_lshlrev_b32_e32 v5, 20, v5
	v_and_b32_e32 v3, 0x80000000, v3
	v_lshl_add_u32 v8, v12, 23, v8
	v_or3_b32 v3, v3, v8, v5
.LBB15_1310:
	s_or_b64 exec, exec, s[12:13]
.LBB15_1311:
	s_mov_b64 s[6:7], -1
.LBB15_1312:
	s_branch .LBB15_1345
.LBB15_1313:
	s_cmp_gt_i32 s17, 22
	s_cbranch_scc0 .LBB15_1323
; %bb.1314:
	s_cmp_lt_i32 s17, 24
	s_cbranch_scc1 .LBB15_1326
; %bb.1315:
	s_cmp_gt_i32 s17, 24
	s_cbranch_scc0 .LBB15_1327
; %bb.1316:
	global_load_ubyte v5, v[10:11], off
	s_movk_i32 s4, 0x7f
	s_waitcnt vmcnt(0)
	v_cmp_lt_i16_e32 vcc, s4, v5
	s_mov_b64 s[4:5], 0
	s_and_saveexec_b64 s[6:7], vcc
	s_xor_b64 s[6:7], exec, s[6:7]
	s_cbranch_execz .LBB15_1339
; %bb.1317:
	s_movk_i32 s4, 0x80
	v_cmp_eq_u16_e32 vcc, s4, v5
	s_mov_b64 s[4:5], -1
	s_and_saveexec_b64 s[12:13], vcc
; %bb.1318:
	s_xor_b64 s[4:5], exec, -1
; %bb.1319:
	s_or_b64 exec, exec, s[12:13]
	s_and_b64 s[4:5], s[4:5], exec
	s_or_saveexec_b64 s[6:7], s[6:7]
	v_mov_b32_e32 v3, 0x7f800001
	s_xor_b64 exec, exec, s[6:7]
	s_cbranch_execnz .LBB15_1340
.LBB15_1320:
	s_or_b64 exec, exec, s[6:7]
	s_and_saveexec_b64 s[6:7], s[4:5]
	s_cbranch_execz .LBB15_1322
.LBB15_1321:
	v_lshlrev_b32_e32 v3, 24, v5
	v_and_b32_e32 v5, 0xffff, v5
	v_and_b32_e32 v8, 3, v5
	v_ffbh_u32_e32 v13, v8
	v_min_u32_e32 v13, 32, v13
	v_subrev_u32_e32 v14, 29, v13
	v_bfe_u32 v12, v5, 2, 5
	v_lshlrev_b32_e32 v5, v14, v5
	v_sub_u32_e32 v13, 30, v13
	v_and_b32_e32 v5, 3, v5
	v_cmp_eq_u32_e32 vcc, 0, v12
	v_cndmask_b32_e32 v12, v12, v13, vcc
	v_cndmask_b32_e32 v5, v8, v5, vcc
	v_mov_b32_e32 v8, 0x37800000
	v_lshlrev_b32_e32 v5, 21, v5
	v_and_b32_e32 v3, 0x80000000, v3
	v_lshl_add_u32 v8, v12, 23, v8
	v_or3_b32 v3, v3, v8, v5
.LBB15_1322:
	s_or_b64 exec, exec, s[6:7]
	s_mov_b64 s[4:5], 0
	s_branch .LBB15_1328
.LBB15_1323:
	s_mov_b64 s[4:5], -1
                                        ; implicit-def: $vgpr3
	s_branch .LBB15_1334
.LBB15_1324:
	s_or_saveexec_b64 s[12:13], s[12:13]
	v_mov_b32_e32 v3, 0x7f800001
	s_xor_b64 exec, exec, s[12:13]
	s_cbranch_execz .LBB15_1308
.LBB15_1325:
	v_cmp_ne_u16_e32 vcc, 0, v5
	s_andn2_b64 s[6:7], s[6:7], exec
	s_and_b64 s[14:15], vcc, exec
	v_mov_b32_e32 v3, 0
	s_or_b64 s[6:7], s[6:7], s[14:15]
	s_or_b64 exec, exec, s[12:13]
	s_and_saveexec_b64 s[12:13], s[6:7]
	s_cbranch_execnz .LBB15_1309
	s_branch .LBB15_1310
.LBB15_1326:
	s_mov_b64 s[4:5], -1
                                        ; implicit-def: $vgpr3
	s_branch .LBB15_1331
.LBB15_1327:
	s_mov_b64 s[4:5], -1
                                        ; implicit-def: $vgpr3
.LBB15_1328:
	s_and_b64 vcc, exec, s[4:5]
	s_cbranch_vccz .LBB15_1330
; %bb.1329:
	global_load_ubyte v3, v[10:11], off
	s_mov_b32 s4, 0x7f800000
	s_waitcnt vmcnt(0)
	v_lshlrev_b32_e32 v3, 24, v3
	v_and_b32_e32 v5, 0x7f000000, v3
	v_ffbh_u32_e32 v8, v5
	v_min_u32_e32 v8, 32, v8
	v_sub_u32_e64 v8, v8, 4 clamp
	v_lshlrev_b32_e32 v13, v8, v5
	v_lshlrev_b32_e32 v8, 23, v8
	v_lshrrev_b32_e32 v13, 4, v13
	v_add_u32_e32 v12, 0x1000000, v5
	v_sub_u32_e32 v8, v13, v8
	v_ashrrev_i32_e32 v12, 8, v12
	v_add_u32_e32 v8, 0x3c000000, v8
	v_and_or_b32 v8, v12, s4, v8
	v_cmp_ne_u32_e32 vcc, 0, v5
	v_cndmask_b32_e32 v5, 0, v8, vcc
	s_brev_b32 s4, 1
	v_and_or_b32 v3, v3, s4, v5
.LBB15_1330:
	s_mov_b64 s[4:5], 0
.LBB15_1331:
	s_andn2_b64 vcc, exec, s[4:5]
	s_cbranch_vccnz .LBB15_1333
; %bb.1332:
	global_load_ubyte v3, v[10:11], off
	s_movk_i32 s4, 0x7f00
	s_brev_b32 s5, 16
	s_waitcnt vmcnt(0)
	v_lshlrev_b16_e32 v5, 8, v3
	v_lshlrev_b32_e32 v3, 25, v3
	v_lshrrev_b32_e32 v8, 4, v3
	v_and_or_b32 v12, v5, s4, 0.5
	v_or_b32_e32 v8, 0x70000000, v8
	v_add_f32_e32 v12, -0.5, v12
	v_mul_f32_e32 v8, 0x7800000, v8
	v_cmp_gt_u32_e32 vcc, s5, v3
	v_bfe_i32 v5, v5, 0, 16
	v_cndmask_b32_e32 v3, v8, v12, vcc
	s_brev_b32 s4, 1
	v_and_or_b32 v3, v5, s4, v3
.LBB15_1333:
	s_mov_b64 s[4:5], 0
	s_mov_b64 s[6:7], -1
.LBB15_1334:
	s_andn2_b64 vcc, exec, s[4:5]
	s_mov_b64 s[4:5], 0
	s_cbranch_vccnz .LBB15_1345
; %bb.1335:
	s_cmp_gt_i32 s17, 14
	s_cbranch_scc0 .LBB15_1338
; %bb.1336:
	s_cmp_eq_u32 s17, 15
	s_cbranch_scc0 .LBB15_1341
; %bb.1337:
	global_load_ushort v3, v[10:11], off
	s_mov_b64 s[0:1], 0
	s_mov_b64 s[6:7], -1
	s_waitcnt vmcnt(0)
	v_lshlrev_b32_e32 v3, 16, v3
	s_branch .LBB15_1342
.LBB15_1338:
	s_mov_b64 s[12:13], -1
                                        ; implicit-def: $vgpr3
	s_branch .LBB15_1343
.LBB15_1339:
	s_or_saveexec_b64 s[6:7], s[6:7]
	v_mov_b32_e32 v3, 0x7f800001
	s_xor_b64 exec, exec, s[6:7]
	s_cbranch_execz .LBB15_1320
.LBB15_1340:
	v_cmp_ne_u16_e32 vcc, 0, v5
	s_andn2_b64 s[4:5], s[4:5], exec
	s_and_b64 s[12:13], vcc, exec
	v_mov_b32_e32 v3, 0
	s_or_b64 s[4:5], s[4:5], s[12:13]
	s_or_b64 exec, exec, s[6:7]
	s_and_saveexec_b64 s[6:7], s[4:5]
	s_cbranch_execnz .LBB15_1321
	s_branch .LBB15_1322
.LBB15_1341:
	s_mov_b64 s[0:1], -1
                                        ; implicit-def: $vgpr3
.LBB15_1342:
	s_mov_b64 s[12:13], 0
.LBB15_1343:
	s_and_b64 vcc, exec, s[12:13]
	s_cbranch_vccz .LBB15_1345
; %bb.1344:
	s_cmp_lg_u32 s17, 11
	s_mov_b64 s[4:5], -1
	s_cselect_b64 s[0:1], -1, 0
.LBB15_1345:
	s_and_b64 vcc, exec, s[0:1]
	s_cbranch_vccnz .LBB15_1408
; %bb.1346:
	s_andn2_b64 vcc, exec, s[4:5]
	s_cbranch_vccnz .LBB15_1348
.LBB15_1347:
	global_load_ubyte v3, v[10:11], off
	s_mov_b64 s[6:7], -1
	s_waitcnt vmcnt(0)
	v_cmp_ne_u16_e32 vcc, 0, v3
	v_cndmask_b32_e64 v3, 0, 1.0, vcc
.LBB15_1348:
	s_branch .LBB15_1275
.LBB15_1349:
	s_and_b32 s4, 0xffff, s16
	s_cmp_lt_i32 s4, 5
	s_cbranch_scc1 .LBB15_1354
; %bb.1350:
	s_cmp_lt_i32 s4, 8
	s_cbranch_scc1 .LBB15_1355
; %bb.1351:
	;; [unrolled: 3-line block ×3, first 2 shown]
	s_cmp_gt_i32 s4, 9
	s_cbranch_scc0 .LBB15_1357
; %bb.1353:
	global_load_dwordx2 v[12:13], v[10:11], off
	s_mov_b64 s[0:1], 0
	s_waitcnt vmcnt(0)
	v_cvt_f32_f64_e32 v3, v[12:13]
	s_branch .LBB15_1358
.LBB15_1354:
                                        ; implicit-def: $vgpr3
	s_branch .LBB15_1376
.LBB15_1355:
	s_mov_b64 s[0:1], -1
                                        ; implicit-def: $vgpr3
	s_branch .LBB15_1364
.LBB15_1356:
	s_mov_b64 s[0:1], -1
                                        ; implicit-def: $vgpr3
	s_branch .LBB15_1361
.LBB15_1357:
	s_mov_b64 s[0:1], -1
                                        ; implicit-def: $vgpr3
.LBB15_1358:
	s_andn2_b64 vcc, exec, s[0:1]
	s_cbranch_vccnz .LBB15_1360
; %bb.1359:
	global_load_dword v3, v[10:11], off
.LBB15_1360:
	s_mov_b64 s[0:1], 0
.LBB15_1361:
	s_andn2_b64 vcc, exec, s[0:1]
	s_cbranch_vccnz .LBB15_1363
; %bb.1362:
	global_load_dword v3, v[10:11], off
	s_waitcnt vmcnt(0)
	v_cvt_f32_f16_e32 v3, v3
.LBB15_1363:
	s_mov_b64 s[0:1], 0
.LBB15_1364:
	s_andn2_b64 vcc, exec, s[0:1]
	s_cbranch_vccnz .LBB15_1375
; %bb.1365:
	s_cmp_lt_i32 s4, 6
	s_cbranch_scc1 .LBB15_1368
; %bb.1366:
	s_cmp_gt_i32 s4, 6
	s_cbranch_scc0 .LBB15_1369
; %bb.1367:
	global_load_dwordx2 v[12:13], v[10:11], off
	s_mov_b64 s[0:1], 0
	s_waitcnt vmcnt(0)
	v_cvt_f32_f64_e32 v3, v[12:13]
	s_branch .LBB15_1370
.LBB15_1368:
	s_mov_b64 s[0:1], -1
                                        ; implicit-def: $vgpr3
	s_branch .LBB15_1373
.LBB15_1369:
	s_mov_b64 s[0:1], -1
                                        ; implicit-def: $vgpr3
.LBB15_1370:
	s_andn2_b64 vcc, exec, s[0:1]
	s_cbranch_vccnz .LBB15_1372
; %bb.1371:
	global_load_dword v3, v[10:11], off
.LBB15_1372:
	s_mov_b64 s[0:1], 0
.LBB15_1373:
	s_andn2_b64 vcc, exec, s[0:1]
	s_cbranch_vccnz .LBB15_1375
; %bb.1374:
	global_load_ushort v3, v[10:11], off
	s_waitcnt vmcnt(0)
	v_cvt_f32_f16_e32 v3, v3
.LBB15_1375:
	s_cbranch_execnz .LBB15_1395
.LBB15_1376:
	s_cmp_lt_i32 s4, 2
	s_cbranch_scc1 .LBB15_1380
; %bb.1377:
	s_cmp_lt_i32 s4, 3
	s_cbranch_scc1 .LBB15_1381
; %bb.1378:
	s_cmp_gt_i32 s4, 3
	s_cbranch_scc0 .LBB15_1382
; %bb.1379:
	global_load_dwordx2 v[12:13], v[10:11], off
	s_mov_b64 s[0:1], 0
	s_waitcnt vmcnt(0)
	v_xor_b32_e32 v5, v12, v13
	v_ffbh_i32_e32 v3, v13
	v_ashrrev_i32_e32 v5, 31, v5
	v_add_u32_e32 v3, -1, v3
	v_add_u32_e32 v5, 32, v5
	v_min_u32_e32 v3, v3, v5
	v_lshlrev_b64 v[12:13], v3, v[12:13]
	v_sub_u32_e32 v3, 32, v3
	v_min_u32_e32 v5, 1, v12
	v_or_b32_e32 v5, v13, v5
	v_cvt_f32_i32_e32 v5, v5
	v_ldexp_f32 v3, v5, v3
	s_branch .LBB15_1383
.LBB15_1380:
	s_mov_b64 s[0:1], -1
                                        ; implicit-def: $vgpr3
	s_branch .LBB15_1389
.LBB15_1381:
	s_mov_b64 s[0:1], -1
                                        ; implicit-def: $vgpr3
	s_branch .LBB15_1386
.LBB15_1382:
	s_mov_b64 s[0:1], -1
                                        ; implicit-def: $vgpr3
.LBB15_1383:
	s_andn2_b64 vcc, exec, s[0:1]
	s_cbranch_vccnz .LBB15_1385
; %bb.1384:
	global_load_dword v3, v[10:11], off
	s_waitcnt vmcnt(0)
	v_cvt_f32_i32_e32 v3, v3
.LBB15_1385:
	s_mov_b64 s[0:1], 0
.LBB15_1386:
	s_andn2_b64 vcc, exec, s[0:1]
	s_cbranch_vccnz .LBB15_1388
; %bb.1387:
	global_load_sshort v3, v[10:11], off
	s_waitcnt vmcnt(0)
	v_cvt_f32_i32_e32 v3, v3
.LBB15_1388:
	s_mov_b64 s[0:1], 0
.LBB15_1389:
	s_andn2_b64 vcc, exec, s[0:1]
	s_cbranch_vccnz .LBB15_1395
; %bb.1390:
	s_cmp_gt_i32 s4, 0
	s_cbranch_scc0 .LBB15_1392
; %bb.1391:
	global_load_sbyte v3, v[10:11], off
	s_mov_b64 s[0:1], 0
	s_waitcnt vmcnt(0)
	v_cvt_f32_i32_e32 v3, v3
	s_branch .LBB15_1393
.LBB15_1392:
	s_mov_b64 s[0:1], -1
                                        ; implicit-def: $vgpr3
.LBB15_1393:
	s_andn2_b64 vcc, exec, s[0:1]
	s_cbranch_vccnz .LBB15_1395
; %bb.1394:
	global_load_ubyte v3, v[10:11], off
	s_waitcnt vmcnt(0)
	v_cvt_f32_ubyte0_e32 v3, v3
.LBB15_1395:
.LBB15_1396:
	v_mov_b32_e32 v5, s11
	v_add_co_u32_e32 v8, vcc, s10, v9
	s_cmp_lt_i32 s16, 11
	v_addc_co_u32_e32 v9, vcc, 0, v5, vcc
	s_cbranch_scc1 .LBB15_1403
; %bb.1397:
	s_and_b32 s17, 0xffff, s16
	s_cmp_gt_i32 s17, 25
	s_mov_b64 s[4:5], 0
	s_cbranch_scc0 .LBB15_1405
; %bb.1398:
	s_cmp_gt_i32 s17, 28
	s_cbranch_scc0 .LBB15_1406
; %bb.1399:
	s_cmp_gt_i32 s17, 43
	;; [unrolled: 3-line block ×3, first 2 shown]
	s_cbranch_scc0 .LBB15_1409
; %bb.1401:
	s_cmp_eq_u32 s17, 46
	s_mov_b64 s[12:13], 0
	s_cbranch_scc0 .LBB15_1410
; %bb.1402:
	global_load_dword v5, v[8:9], off
	s_mov_b64 s[0:1], 0
	s_mov_b64 s[6:7], -1
	s_waitcnt vmcnt(0)
	v_lshlrev_b32_e32 v10, 16, v5
	s_branch .LBB15_1411
.LBB15_1403:
	s_mov_b64 s[6:7], 0
                                        ; implicit-def: $vgpr10
	s_cbranch_execnz .LBB15_1477
.LBB15_1404:
	s_andn2_b64 vcc, exec, s[6:7]
	s_cbranch_vccnz .LBB15_2088
	s_branch .LBB15_1525
.LBB15_1405:
	s_mov_b64 s[12:13], -1
	s_mov_b64 s[6:7], 0
	s_mov_b64 s[0:1], 0
                                        ; implicit-def: $vgpr10
	s_branch .LBB15_1440
.LBB15_1406:
	s_mov_b64 s[12:13], -1
	s_mov_b64 s[6:7], 0
	s_mov_b64 s[0:1], 0
                                        ; implicit-def: $vgpr10
	s_branch .LBB15_1421
.LBB15_1407:
	s_mov_b64 s[12:13], -1
	s_mov_b64 s[6:7], 0
	s_mov_b64 s[0:1], 0
                                        ; implicit-def: $vgpr10
	s_branch .LBB15_1416
.LBB15_1408:
	s_trap 2
	s_or_b64 s[2:3], s[2:3], exec
	s_cbranch_execz .LBB15_1347
	s_branch .LBB15_1348
.LBB15_1409:
	s_mov_b64 s[12:13], -1
	s_mov_b64 s[6:7], 0
	s_mov_b64 s[0:1], 0
                                        ; implicit-def: $vgpr10
	s_branch .LBB15_1411
.LBB15_1410:
	s_mov_b64 s[0:1], -1
                                        ; implicit-def: $vgpr10
	s_mov_b64 s[6:7], 0
.LBB15_1411:
	s_and_b64 vcc, exec, s[12:13]
	s_cbranch_vccz .LBB15_1415
; %bb.1412:
	s_cmp_eq_u32 s17, 44
	s_cbranch_scc0 .LBB15_1414
; %bb.1413:
	global_load_ubyte v5, v[8:9], off
	s_movk_i32 s6, 0xff
	v_mov_b32_e32 v10, 0x7f800001
	v_mov_b32_e32 v11, 0x400000
	s_mov_b64 s[0:1], 0
	s_waitcnt vmcnt(0)
	v_lshlrev_b32_e32 v12, 23, v5
	v_cmp_ne_u32_e32 vcc, s6, v5
	v_cndmask_b32_e32 v10, v10, v12, vcc
	v_cmp_ne_u32_e32 vcc, 0, v5
	v_cndmask_b32_e32 v10, v11, v10, vcc
	s_mov_b64 s[6:7], -1
	s_branch .LBB15_1415
.LBB15_1414:
	s_mov_b64 s[0:1], -1
                                        ; implicit-def: $vgpr10
.LBB15_1415:
	s_mov_b64 s[12:13], 0
.LBB15_1416:
	s_and_b64 vcc, exec, s[12:13]
	s_cbranch_vccz .LBB15_1420
; %bb.1417:
	s_cmp_eq_u32 s17, 29
	s_cbranch_scc0 .LBB15_1419
; %bb.1418:
	global_load_dwordx2 v[10:11], v[8:9], off
	s_mov_b64 s[0:1], 0
	s_mov_b64 s[6:7], -1
	s_mov_b64 s[12:13], 0
	s_waitcnt vmcnt(0)
	v_ffbh_u32_e32 v5, v11
	v_min_u32_e32 v5, 32, v5
	v_lshlrev_b64 v[10:11], v5, v[10:11]
	v_sub_u32_e32 v5, 32, v5
	v_min_u32_e32 v10, 1, v10
	v_or_b32_e32 v10, v11, v10
	v_cvt_f32_u32_e32 v10, v10
	v_ldexp_f32 v10, v10, v5
	s_branch .LBB15_1421
.LBB15_1419:
	s_mov_b64 s[0:1], -1
                                        ; implicit-def: $vgpr10
.LBB15_1420:
	s_mov_b64 s[12:13], 0
.LBB15_1421:
	s_and_b64 vcc, exec, s[12:13]
	s_cbranch_vccz .LBB15_1439
; %bb.1422:
	s_cmp_lt_i32 s17, 27
	s_cbranch_scc1 .LBB15_1425
; %bb.1423:
	s_cmp_gt_i32 s17, 27
	s_cbranch_scc0 .LBB15_1426
; %bb.1424:
	global_load_dword v5, v[8:9], off
	s_mov_b64 s[6:7], 0
	s_waitcnt vmcnt(0)
	v_cvt_f32_u32_e32 v10, v5
	s_branch .LBB15_1427
.LBB15_1425:
	s_mov_b64 s[6:7], -1
                                        ; implicit-def: $vgpr10
	s_branch .LBB15_1430
.LBB15_1426:
	s_mov_b64 s[6:7], -1
                                        ; implicit-def: $vgpr10
.LBB15_1427:
	s_andn2_b64 vcc, exec, s[6:7]
	s_cbranch_vccnz .LBB15_1429
; %bb.1428:
	global_load_ushort v5, v[8:9], off
	s_waitcnt vmcnt(0)
	v_cvt_f32_u32_e32 v10, v5
.LBB15_1429:
	s_mov_b64 s[6:7], 0
.LBB15_1430:
	s_andn2_b64 vcc, exec, s[6:7]
	s_cbranch_vccnz .LBB15_1438
; %bb.1431:
	global_load_ubyte v5, v[8:9], off
	s_movk_i32 s6, 0x7f
	s_waitcnt vmcnt(0)
	v_cmp_lt_i16_e32 vcc, s6, v5
	s_mov_b64 s[6:7], 0
	s_and_saveexec_b64 s[12:13], vcc
	s_xor_b64 s[12:13], exec, s[12:13]
	s_cbranch_execz .LBB15_1452
; %bb.1432:
	s_movk_i32 s6, 0x80
	v_cmp_eq_u16_e32 vcc, s6, v5
	s_mov_b64 s[6:7], -1
	s_and_saveexec_b64 s[14:15], vcc
; %bb.1433:
	s_xor_b64 s[6:7], exec, -1
; %bb.1434:
	s_or_b64 exec, exec, s[14:15]
	s_and_b64 s[6:7], s[6:7], exec
	s_or_saveexec_b64 s[12:13], s[12:13]
	v_mov_b32_e32 v10, 0x7f800001
	s_xor_b64 exec, exec, s[12:13]
	s_cbranch_execnz .LBB15_1453
.LBB15_1435:
	s_or_b64 exec, exec, s[12:13]
	s_and_saveexec_b64 s[12:13], s[6:7]
	s_cbranch_execz .LBB15_1437
.LBB15_1436:
	v_lshlrev_b32_e32 v10, 24, v5
	v_and_b32_e32 v5, 0xffff, v5
	v_and_b32_e32 v11, 7, v5
	v_ffbh_u32_e32 v13, v11
	v_min_u32_e32 v13, 32, v13
	v_subrev_u32_e32 v14, 28, v13
	v_bfe_u32 v12, v5, 3, 4
	v_lshlrev_b32_e32 v5, v14, v5
	v_sub_u32_e32 v13, 29, v13
	v_and_b32_e32 v5, 7, v5
	v_cmp_eq_u32_e32 vcc, 0, v12
	v_cndmask_b32_e32 v12, v12, v13, vcc
	v_cndmask_b32_e32 v5, v11, v5, vcc
	v_mov_b32_e32 v11, 0x3b800000
	v_lshlrev_b32_e32 v5, 20, v5
	v_and_b32_e32 v10, 0x80000000, v10
	v_lshl_add_u32 v11, v12, 23, v11
	v_or3_b32 v10, v10, v11, v5
.LBB15_1437:
	s_or_b64 exec, exec, s[12:13]
.LBB15_1438:
	s_mov_b64 s[6:7], -1
.LBB15_1439:
	s_mov_b64 s[12:13], 0
.LBB15_1440:
	s_and_b64 vcc, exec, s[12:13]
	s_cbranch_vccz .LBB15_1473
; %bb.1441:
	s_cmp_gt_i32 s17, 22
	s_cbranch_scc0 .LBB15_1451
; %bb.1442:
	s_cmp_lt_i32 s17, 24
	s_cbranch_scc1 .LBB15_1454
; %bb.1443:
	s_cmp_gt_i32 s17, 24
	s_cbranch_scc0 .LBB15_1455
; %bb.1444:
	global_load_ubyte v5, v[8:9], off
	s_movk_i32 s4, 0x7f
	s_waitcnt vmcnt(0)
	v_cmp_lt_i16_e32 vcc, s4, v5
	s_mov_b64 s[4:5], 0
	s_and_saveexec_b64 s[6:7], vcc
	s_xor_b64 s[6:7], exec, s[6:7]
	s_cbranch_execz .LBB15_1467
; %bb.1445:
	s_movk_i32 s4, 0x80
	v_cmp_eq_u16_e32 vcc, s4, v5
	s_mov_b64 s[4:5], -1
	s_and_saveexec_b64 s[12:13], vcc
; %bb.1446:
	s_xor_b64 s[4:5], exec, -1
; %bb.1447:
	s_or_b64 exec, exec, s[12:13]
	s_and_b64 s[4:5], s[4:5], exec
	s_or_saveexec_b64 s[6:7], s[6:7]
	v_mov_b32_e32 v10, 0x7f800001
	s_xor_b64 exec, exec, s[6:7]
	s_cbranch_execnz .LBB15_1468
.LBB15_1448:
	s_or_b64 exec, exec, s[6:7]
	s_and_saveexec_b64 s[6:7], s[4:5]
	s_cbranch_execz .LBB15_1450
.LBB15_1449:
	v_lshlrev_b32_e32 v10, 24, v5
	v_and_b32_e32 v5, 0xffff, v5
	v_and_b32_e32 v11, 3, v5
	v_ffbh_u32_e32 v13, v11
	v_min_u32_e32 v13, 32, v13
	v_subrev_u32_e32 v14, 29, v13
	v_bfe_u32 v12, v5, 2, 5
	v_lshlrev_b32_e32 v5, v14, v5
	v_sub_u32_e32 v13, 30, v13
	v_and_b32_e32 v5, 3, v5
	v_cmp_eq_u32_e32 vcc, 0, v12
	v_cndmask_b32_e32 v12, v12, v13, vcc
	v_cndmask_b32_e32 v5, v11, v5, vcc
	v_mov_b32_e32 v11, 0x37800000
	v_lshlrev_b32_e32 v5, 21, v5
	v_and_b32_e32 v10, 0x80000000, v10
	v_lshl_add_u32 v11, v12, 23, v11
	v_or3_b32 v10, v10, v11, v5
.LBB15_1450:
	s_or_b64 exec, exec, s[6:7]
	s_mov_b64 s[4:5], 0
	s_branch .LBB15_1456
.LBB15_1451:
	s_mov_b64 s[4:5], -1
                                        ; implicit-def: $vgpr10
	s_branch .LBB15_1462
.LBB15_1452:
	s_or_saveexec_b64 s[12:13], s[12:13]
	v_mov_b32_e32 v10, 0x7f800001
	s_xor_b64 exec, exec, s[12:13]
	s_cbranch_execz .LBB15_1435
.LBB15_1453:
	v_cmp_ne_u16_e32 vcc, 0, v5
	s_andn2_b64 s[6:7], s[6:7], exec
	s_and_b64 s[14:15], vcc, exec
	v_mov_b32_e32 v10, 0
	s_or_b64 s[6:7], s[6:7], s[14:15]
	s_or_b64 exec, exec, s[12:13]
	s_and_saveexec_b64 s[12:13], s[6:7]
	s_cbranch_execnz .LBB15_1436
	s_branch .LBB15_1437
.LBB15_1454:
	s_mov_b64 s[4:5], -1
                                        ; implicit-def: $vgpr10
	s_branch .LBB15_1459
.LBB15_1455:
	s_mov_b64 s[4:5], -1
                                        ; implicit-def: $vgpr10
.LBB15_1456:
	s_and_b64 vcc, exec, s[4:5]
	s_cbranch_vccz .LBB15_1458
; %bb.1457:
	global_load_ubyte v5, v[8:9], off
	s_mov_b32 s4, 0x7f800000
	s_waitcnt vmcnt(0)
	v_lshlrev_b32_e32 v5, 24, v5
	v_and_b32_e32 v10, 0x7f000000, v5
	v_ffbh_u32_e32 v11, v10
	v_min_u32_e32 v11, 32, v11
	v_sub_u32_e64 v11, v11, 4 clamp
	v_lshlrev_b32_e32 v13, v11, v10
	v_lshlrev_b32_e32 v11, 23, v11
	v_lshrrev_b32_e32 v13, 4, v13
	v_add_u32_e32 v12, 0x1000000, v10
	v_sub_u32_e32 v11, v13, v11
	v_ashrrev_i32_e32 v12, 8, v12
	v_add_u32_e32 v11, 0x3c000000, v11
	v_and_or_b32 v11, v12, s4, v11
	v_cmp_ne_u32_e32 vcc, 0, v10
	v_cndmask_b32_e32 v10, 0, v11, vcc
	s_brev_b32 s4, 1
	v_and_or_b32 v10, v5, s4, v10
.LBB15_1458:
	s_mov_b64 s[4:5], 0
.LBB15_1459:
	s_andn2_b64 vcc, exec, s[4:5]
	s_cbranch_vccnz .LBB15_1461
; %bb.1460:
	global_load_ubyte v5, v[8:9], off
	s_movk_i32 s4, 0x7f00
	s_brev_b32 s5, 16
	s_waitcnt vmcnt(0)
	v_lshlrev_b16_e32 v10, 8, v5
	v_lshlrev_b32_e32 v5, 25, v5
	v_lshrrev_b32_e32 v11, 4, v5
	v_and_or_b32 v12, v10, s4, 0.5
	v_or_b32_e32 v11, 0x70000000, v11
	v_add_f32_e32 v12, -0.5, v12
	v_mul_f32_e32 v11, 0x7800000, v11
	v_cmp_gt_u32_e32 vcc, s5, v5
	v_bfe_i32 v10, v10, 0, 16
	v_cndmask_b32_e32 v5, v11, v12, vcc
	s_brev_b32 s4, 1
	v_and_or_b32 v10, v10, s4, v5
.LBB15_1461:
	s_mov_b64 s[4:5], 0
	s_mov_b64 s[6:7], -1
.LBB15_1462:
	s_andn2_b64 vcc, exec, s[4:5]
	s_mov_b64 s[4:5], 0
	s_cbranch_vccnz .LBB15_1473
; %bb.1463:
	s_cmp_gt_i32 s17, 14
	s_cbranch_scc0 .LBB15_1466
; %bb.1464:
	s_cmp_eq_u32 s17, 15
	s_cbranch_scc0 .LBB15_1469
; %bb.1465:
	global_load_ushort v5, v[8:9], off
	s_mov_b64 s[0:1], 0
	s_mov_b64 s[6:7], -1
	s_waitcnt vmcnt(0)
	v_lshlrev_b32_e32 v10, 16, v5
	s_branch .LBB15_1470
.LBB15_1466:
	s_mov_b64 s[12:13], -1
                                        ; implicit-def: $vgpr10
	s_branch .LBB15_1471
.LBB15_1467:
	s_or_saveexec_b64 s[6:7], s[6:7]
	v_mov_b32_e32 v10, 0x7f800001
	s_xor_b64 exec, exec, s[6:7]
	s_cbranch_execz .LBB15_1448
.LBB15_1468:
	v_cmp_ne_u16_e32 vcc, 0, v5
	s_andn2_b64 s[4:5], s[4:5], exec
	s_and_b64 s[12:13], vcc, exec
	v_mov_b32_e32 v10, 0
	s_or_b64 s[4:5], s[4:5], s[12:13]
	s_or_b64 exec, exec, s[6:7]
	s_and_saveexec_b64 s[6:7], s[4:5]
	s_cbranch_execnz .LBB15_1449
	s_branch .LBB15_1450
.LBB15_1469:
	s_mov_b64 s[0:1], -1
                                        ; implicit-def: $vgpr10
.LBB15_1470:
	s_mov_b64 s[12:13], 0
.LBB15_1471:
	s_and_b64 vcc, exec, s[12:13]
	s_cbranch_vccz .LBB15_1473
; %bb.1472:
	s_cmp_lg_u32 s17, 11
	s_mov_b64 s[4:5], -1
	s_cselect_b64 s[0:1], -1, 0
.LBB15_1473:
	s_and_b64 vcc, exec, s[0:1]
	s_cbranch_vccnz .LBB15_1536
; %bb.1474:
	s_andn2_b64 vcc, exec, s[4:5]
	s_cbranch_vccnz .LBB15_1476
.LBB15_1475:
	global_load_ubyte v5, v[8:9], off
	s_mov_b64 s[6:7], -1
	s_waitcnt vmcnt(0)
	v_cmp_ne_u16_e32 vcc, 0, v5
	v_cndmask_b32_e64 v10, 0, 1.0, vcc
.LBB15_1476:
	s_branch .LBB15_1404
.LBB15_1477:
	s_and_b32 s4, 0xffff, s16
	s_cmp_lt_i32 s4, 5
	s_cbranch_scc1 .LBB15_1482
; %bb.1478:
	s_cmp_lt_i32 s4, 8
	s_cbranch_scc1 .LBB15_1483
; %bb.1479:
	;; [unrolled: 3-line block ×3, first 2 shown]
	s_cmp_gt_i32 s4, 9
	s_cbranch_scc0 .LBB15_1485
; %bb.1481:
	global_load_dwordx2 v[10:11], v[8:9], off
	s_mov_b64 s[0:1], 0
	s_waitcnt vmcnt(0)
	v_cvt_f32_f64_e32 v10, v[10:11]
	s_branch .LBB15_1486
.LBB15_1482:
	s_mov_b64 s[0:1], -1
                                        ; implicit-def: $vgpr10
	s_branch .LBB15_1504
.LBB15_1483:
	s_mov_b64 s[0:1], -1
                                        ; implicit-def: $vgpr10
	s_branch .LBB15_1492
.LBB15_1484:
	s_mov_b64 s[0:1], -1
                                        ; implicit-def: $vgpr10
	s_branch .LBB15_1489
.LBB15_1485:
	s_mov_b64 s[0:1], -1
                                        ; implicit-def: $vgpr10
.LBB15_1486:
	s_andn2_b64 vcc, exec, s[0:1]
	s_cbranch_vccnz .LBB15_1488
; %bb.1487:
	global_load_dword v10, v[8:9], off
.LBB15_1488:
	s_mov_b64 s[0:1], 0
.LBB15_1489:
	s_andn2_b64 vcc, exec, s[0:1]
	s_cbranch_vccnz .LBB15_1491
; %bb.1490:
	global_load_dword v5, v[8:9], off
	s_waitcnt vmcnt(0)
	v_cvt_f32_f16_e32 v10, v5
.LBB15_1491:
	s_mov_b64 s[0:1], 0
.LBB15_1492:
	s_andn2_b64 vcc, exec, s[0:1]
	s_cbranch_vccnz .LBB15_1503
; %bb.1493:
	s_cmp_lt_i32 s4, 6
	s_cbranch_scc1 .LBB15_1496
; %bb.1494:
	s_cmp_gt_i32 s4, 6
	s_cbranch_scc0 .LBB15_1497
; %bb.1495:
	global_load_dwordx2 v[10:11], v[8:9], off
	s_mov_b64 s[0:1], 0
	s_waitcnt vmcnt(0)
	v_cvt_f32_f64_e32 v10, v[10:11]
	s_branch .LBB15_1498
.LBB15_1496:
	s_mov_b64 s[0:1], -1
                                        ; implicit-def: $vgpr10
	s_branch .LBB15_1501
.LBB15_1497:
	s_mov_b64 s[0:1], -1
                                        ; implicit-def: $vgpr10
.LBB15_1498:
	s_andn2_b64 vcc, exec, s[0:1]
	s_cbranch_vccnz .LBB15_1500
; %bb.1499:
	global_load_dword v10, v[8:9], off
.LBB15_1500:
	s_mov_b64 s[0:1], 0
.LBB15_1501:
	s_andn2_b64 vcc, exec, s[0:1]
	s_cbranch_vccnz .LBB15_1503
; %bb.1502:
	global_load_ushort v5, v[8:9], off
	s_waitcnt vmcnt(0)
	v_cvt_f32_f16_e32 v10, v5
.LBB15_1503:
	s_mov_b64 s[0:1], 0
.LBB15_1504:
	s_andn2_b64 vcc, exec, s[0:1]
	s_cbranch_vccnz .LBB15_1524
; %bb.1505:
	s_cmp_lt_i32 s4, 2
	s_cbranch_scc1 .LBB15_1509
; %bb.1506:
	s_cmp_lt_i32 s4, 3
	s_cbranch_scc1 .LBB15_1510
; %bb.1507:
	s_cmp_gt_i32 s4, 3
	s_cbranch_scc0 .LBB15_1511
; %bb.1508:
	global_load_dwordx2 v[10:11], v[8:9], off
	s_mov_b64 s[0:1], 0
	s_waitcnt vmcnt(0)
	v_xor_b32_e32 v12, v10, v11
	v_ffbh_i32_e32 v5, v11
	v_ashrrev_i32_e32 v12, 31, v12
	v_add_u32_e32 v5, -1, v5
	v_add_u32_e32 v12, 32, v12
	v_min_u32_e32 v5, v5, v12
	v_lshlrev_b64 v[10:11], v5, v[10:11]
	v_sub_u32_e32 v5, 32, v5
	v_min_u32_e32 v10, 1, v10
	v_or_b32_e32 v10, v11, v10
	v_cvt_f32_i32_e32 v10, v10
	v_ldexp_f32 v10, v10, v5
	s_branch .LBB15_1512
.LBB15_1509:
	s_mov_b64 s[0:1], -1
                                        ; implicit-def: $vgpr10
	s_branch .LBB15_1518
.LBB15_1510:
	s_mov_b64 s[0:1], -1
                                        ; implicit-def: $vgpr10
	s_branch .LBB15_1515
.LBB15_1511:
	s_mov_b64 s[0:1], -1
                                        ; implicit-def: $vgpr10
.LBB15_1512:
	s_andn2_b64 vcc, exec, s[0:1]
	s_cbranch_vccnz .LBB15_1514
; %bb.1513:
	global_load_dword v5, v[8:9], off
	s_waitcnt vmcnt(0)
	v_cvt_f32_i32_e32 v10, v5
.LBB15_1514:
	s_mov_b64 s[0:1], 0
.LBB15_1515:
	s_andn2_b64 vcc, exec, s[0:1]
	s_cbranch_vccnz .LBB15_1517
; %bb.1516:
	global_load_sshort v5, v[8:9], off
	s_waitcnt vmcnt(0)
	v_cvt_f32_i32_e32 v10, v5
.LBB15_1517:
	s_mov_b64 s[0:1], 0
.LBB15_1518:
	s_andn2_b64 vcc, exec, s[0:1]
	s_cbranch_vccnz .LBB15_1524
; %bb.1519:
	s_cmp_gt_i32 s4, 0
	s_cbranch_scc0 .LBB15_1521
; %bb.1520:
	global_load_sbyte v5, v[8:9], off
	s_mov_b64 s[0:1], 0
	s_waitcnt vmcnt(0)
	v_cvt_f32_i32_e32 v10, v5
	s_branch .LBB15_1522
.LBB15_1521:
	s_mov_b64 s[0:1], -1
                                        ; implicit-def: $vgpr10
.LBB15_1522:
	s_andn2_b64 vcc, exec, s[0:1]
	s_cbranch_vccnz .LBB15_1524
; %bb.1523:
	global_load_ubyte v5, v[8:9], off
	s_waitcnt vmcnt(0)
	v_cvt_f32_ubyte0_e32 v10, v5
.LBB15_1524:
.LBB15_1525:
	v_mov_b32_e32 v5, s11
	v_add_co_u32_e32 v7, vcc, s10, v7
	s_cmp_lt_i32 s16, 11
	v_addc_co_u32_e32 v8, vcc, 0, v5, vcc
	s_cbranch_scc1 .LBB15_1532
; %bb.1526:
	s_and_b32 s14, 0xffff, s16
	s_cmp_gt_i32 s14, 25
	s_mov_b64 s[4:5], 0
	s_cbranch_scc0 .LBB15_1533
; %bb.1527:
	s_cmp_gt_i32 s14, 28
	s_cbranch_scc0 .LBB15_1534
; %bb.1528:
	s_cmp_gt_i32 s14, 43
	;; [unrolled: 3-line block ×3, first 2 shown]
	s_cbranch_scc0 .LBB15_1537
; %bb.1530:
	s_cmp_eq_u32 s14, 46
	s_mov_b64 s[10:11], 0
	s_cbranch_scc0 .LBB15_1538
; %bb.1531:
	global_load_dword v5, v[7:8], off
	s_mov_b64 s[0:1], 0
	s_mov_b64 s[6:7], -1
	s_waitcnt vmcnt(0)
	v_lshlrev_b32_e32 v9, 16, v5
	s_branch .LBB15_1539
.LBB15_1532:
	s_mov_b64 s[0:1], -1
	s_mov_b64 s[6:7], 0
                                        ; implicit-def: $vgpr9
	s_branch .LBB15_1605
.LBB15_1533:
	s_mov_b64 s[10:11], -1
	s_mov_b64 s[6:7], 0
	s_mov_b64 s[0:1], 0
                                        ; implicit-def: $vgpr9
	s_branch .LBB15_1568
.LBB15_1534:
	s_mov_b64 s[10:11], -1
	s_mov_b64 s[6:7], 0
	s_mov_b64 s[0:1], 0
                                        ; implicit-def: $vgpr9
	s_branch .LBB15_1549
.LBB15_1535:
	s_mov_b64 s[10:11], -1
	s_mov_b64 s[6:7], 0
	s_mov_b64 s[0:1], 0
                                        ; implicit-def: $vgpr9
	s_branch .LBB15_1544
.LBB15_1536:
	s_trap 2
	s_or_b64 s[2:3], s[2:3], exec
	s_cbranch_execz .LBB15_1475
	s_branch .LBB15_1476
.LBB15_1537:
	s_mov_b64 s[10:11], -1
	s_mov_b64 s[6:7], 0
	s_mov_b64 s[0:1], 0
                                        ; implicit-def: $vgpr9
	s_branch .LBB15_1539
.LBB15_1538:
	s_mov_b64 s[0:1], -1
                                        ; implicit-def: $vgpr9
	s_mov_b64 s[6:7], 0
.LBB15_1539:
	s_and_b64 vcc, exec, s[10:11]
	s_cbranch_vccz .LBB15_1543
; %bb.1540:
	s_cmp_eq_u32 s14, 44
	s_cbranch_scc0 .LBB15_1542
; %bb.1541:
	global_load_ubyte v5, v[7:8], off
	s_movk_i32 s6, 0xff
	v_mov_b32_e32 v9, 0x7f800001
	v_mov_b32_e32 v11, 0x400000
	s_mov_b64 s[0:1], 0
	s_waitcnt vmcnt(0)
	v_lshlrev_b32_e32 v12, 23, v5
	v_cmp_ne_u32_e32 vcc, s6, v5
	v_cndmask_b32_e32 v9, v9, v12, vcc
	v_cmp_ne_u32_e32 vcc, 0, v5
	v_cndmask_b32_e32 v9, v11, v9, vcc
	s_mov_b64 s[6:7], -1
	s_branch .LBB15_1543
.LBB15_1542:
	s_mov_b64 s[0:1], -1
                                        ; implicit-def: $vgpr9
.LBB15_1543:
	s_mov_b64 s[10:11], 0
.LBB15_1544:
	s_and_b64 vcc, exec, s[10:11]
	s_cbranch_vccz .LBB15_1548
; %bb.1545:
	s_cmp_eq_u32 s14, 29
	s_cbranch_scc0 .LBB15_1547
; %bb.1546:
	global_load_dwordx2 v[11:12], v[7:8], off
	s_mov_b64 s[0:1], 0
	s_mov_b64 s[6:7], -1
	s_mov_b64 s[10:11], 0
	s_waitcnt vmcnt(0)
	v_ffbh_u32_e32 v5, v12
	v_min_u32_e32 v5, 32, v5
	v_lshlrev_b64 v[11:12], v5, v[11:12]
	v_sub_u32_e32 v5, 32, v5
	v_min_u32_e32 v9, 1, v11
	v_or_b32_e32 v9, v12, v9
	v_cvt_f32_u32_e32 v9, v9
	v_ldexp_f32 v9, v9, v5
	s_branch .LBB15_1549
.LBB15_1547:
	s_mov_b64 s[0:1], -1
                                        ; implicit-def: $vgpr9
.LBB15_1548:
	s_mov_b64 s[10:11], 0
.LBB15_1549:
	s_and_b64 vcc, exec, s[10:11]
	s_cbranch_vccz .LBB15_1567
; %bb.1550:
	s_cmp_lt_i32 s14, 27
	s_cbranch_scc1 .LBB15_1553
; %bb.1551:
	s_cmp_gt_i32 s14, 27
	s_cbranch_scc0 .LBB15_1554
; %bb.1552:
	global_load_dword v5, v[7:8], off
	s_mov_b64 s[6:7], 0
	s_waitcnt vmcnt(0)
	v_cvt_f32_u32_e32 v9, v5
	s_branch .LBB15_1555
.LBB15_1553:
	s_mov_b64 s[6:7], -1
                                        ; implicit-def: $vgpr9
	s_branch .LBB15_1558
.LBB15_1554:
	s_mov_b64 s[6:7], -1
                                        ; implicit-def: $vgpr9
.LBB15_1555:
	s_andn2_b64 vcc, exec, s[6:7]
	s_cbranch_vccnz .LBB15_1557
; %bb.1556:
	global_load_ushort v5, v[7:8], off
	s_waitcnt vmcnt(0)
	v_cvt_f32_u32_e32 v9, v5
.LBB15_1557:
	s_mov_b64 s[6:7], 0
.LBB15_1558:
	s_andn2_b64 vcc, exec, s[6:7]
	s_cbranch_vccnz .LBB15_1566
; %bb.1559:
	global_load_ubyte v5, v[7:8], off
	s_movk_i32 s6, 0x7f
	s_waitcnt vmcnt(0)
	v_cmp_lt_i16_e32 vcc, s6, v5
	s_mov_b64 s[6:7], 0
	s_and_saveexec_b64 s[10:11], vcc
	s_xor_b64 s[10:11], exec, s[10:11]
	s_cbranch_execz .LBB15_1580
; %bb.1560:
	s_movk_i32 s6, 0x80
	v_cmp_eq_u16_e32 vcc, s6, v5
	s_mov_b64 s[6:7], -1
	s_and_saveexec_b64 s[12:13], vcc
; %bb.1561:
	s_xor_b64 s[6:7], exec, -1
; %bb.1562:
	s_or_b64 exec, exec, s[12:13]
	s_and_b64 s[6:7], s[6:7], exec
	s_or_saveexec_b64 s[10:11], s[10:11]
	v_mov_b32_e32 v9, 0x7f800001
	s_xor_b64 exec, exec, s[10:11]
	s_cbranch_execnz .LBB15_1581
.LBB15_1563:
	s_or_b64 exec, exec, s[10:11]
	s_and_saveexec_b64 s[10:11], s[6:7]
	s_cbranch_execz .LBB15_1565
.LBB15_1564:
	v_lshlrev_b32_e32 v9, 24, v5
	v_and_b32_e32 v5, 0xffff, v5
	v_and_b32_e32 v11, 7, v5
	v_ffbh_u32_e32 v13, v11
	v_min_u32_e32 v13, 32, v13
	v_subrev_u32_e32 v14, 28, v13
	v_bfe_u32 v12, v5, 3, 4
	v_lshlrev_b32_e32 v5, v14, v5
	v_sub_u32_e32 v13, 29, v13
	v_and_b32_e32 v5, 7, v5
	v_cmp_eq_u32_e32 vcc, 0, v12
	v_cndmask_b32_e32 v12, v12, v13, vcc
	v_cndmask_b32_e32 v5, v11, v5, vcc
	v_mov_b32_e32 v11, 0x3b800000
	v_lshlrev_b32_e32 v5, 20, v5
	v_and_b32_e32 v9, 0x80000000, v9
	v_lshl_add_u32 v11, v12, 23, v11
	v_or3_b32 v9, v9, v11, v5
.LBB15_1565:
	s_or_b64 exec, exec, s[10:11]
.LBB15_1566:
	s_mov_b64 s[6:7], -1
.LBB15_1567:
	s_mov_b64 s[10:11], 0
.LBB15_1568:
	s_and_b64 vcc, exec, s[10:11]
	s_cbranch_vccz .LBB15_1601
; %bb.1569:
	s_cmp_gt_i32 s14, 22
	s_cbranch_scc0 .LBB15_1579
; %bb.1570:
	s_cmp_lt_i32 s14, 24
	s_cbranch_scc1 .LBB15_1582
; %bb.1571:
	s_cmp_gt_i32 s14, 24
	s_cbranch_scc0 .LBB15_1583
; %bb.1572:
	global_load_ubyte v5, v[7:8], off
	s_movk_i32 s4, 0x7f
	s_waitcnt vmcnt(0)
	v_cmp_lt_i16_e32 vcc, s4, v5
	s_mov_b64 s[4:5], 0
	s_and_saveexec_b64 s[6:7], vcc
	s_xor_b64 s[6:7], exec, s[6:7]
	s_cbranch_execz .LBB15_1595
; %bb.1573:
	s_movk_i32 s4, 0x80
	v_cmp_eq_u16_e32 vcc, s4, v5
	s_mov_b64 s[4:5], -1
	s_and_saveexec_b64 s[10:11], vcc
; %bb.1574:
	s_xor_b64 s[4:5], exec, -1
; %bb.1575:
	s_or_b64 exec, exec, s[10:11]
	s_and_b64 s[4:5], s[4:5], exec
	s_or_saveexec_b64 s[6:7], s[6:7]
	v_mov_b32_e32 v9, 0x7f800001
	s_xor_b64 exec, exec, s[6:7]
	s_cbranch_execnz .LBB15_1596
.LBB15_1576:
	s_or_b64 exec, exec, s[6:7]
	s_and_saveexec_b64 s[6:7], s[4:5]
	s_cbranch_execz .LBB15_1578
.LBB15_1577:
	v_lshlrev_b32_e32 v9, 24, v5
	v_and_b32_e32 v5, 0xffff, v5
	v_and_b32_e32 v11, 3, v5
	v_ffbh_u32_e32 v13, v11
	v_min_u32_e32 v13, 32, v13
	v_subrev_u32_e32 v14, 29, v13
	v_bfe_u32 v12, v5, 2, 5
	v_lshlrev_b32_e32 v5, v14, v5
	v_sub_u32_e32 v13, 30, v13
	v_and_b32_e32 v5, 3, v5
	v_cmp_eq_u32_e32 vcc, 0, v12
	v_cndmask_b32_e32 v12, v12, v13, vcc
	v_cndmask_b32_e32 v5, v11, v5, vcc
	v_mov_b32_e32 v11, 0x37800000
	v_lshlrev_b32_e32 v5, 21, v5
	v_and_b32_e32 v9, 0x80000000, v9
	v_lshl_add_u32 v11, v12, 23, v11
	v_or3_b32 v9, v9, v11, v5
.LBB15_1578:
	s_or_b64 exec, exec, s[6:7]
	s_mov_b64 s[4:5], 0
	s_branch .LBB15_1584
.LBB15_1579:
	s_mov_b64 s[4:5], -1
                                        ; implicit-def: $vgpr9
	s_branch .LBB15_1590
.LBB15_1580:
	s_or_saveexec_b64 s[10:11], s[10:11]
	v_mov_b32_e32 v9, 0x7f800001
	s_xor_b64 exec, exec, s[10:11]
	s_cbranch_execz .LBB15_1563
.LBB15_1581:
	v_cmp_ne_u16_e32 vcc, 0, v5
	s_andn2_b64 s[6:7], s[6:7], exec
	s_and_b64 s[12:13], vcc, exec
	v_mov_b32_e32 v9, 0
	s_or_b64 s[6:7], s[6:7], s[12:13]
	s_or_b64 exec, exec, s[10:11]
	s_and_saveexec_b64 s[10:11], s[6:7]
	s_cbranch_execnz .LBB15_1564
	s_branch .LBB15_1565
.LBB15_1582:
	s_mov_b64 s[4:5], -1
                                        ; implicit-def: $vgpr9
	s_branch .LBB15_1587
.LBB15_1583:
	s_mov_b64 s[4:5], -1
                                        ; implicit-def: $vgpr9
.LBB15_1584:
	s_and_b64 vcc, exec, s[4:5]
	s_cbranch_vccz .LBB15_1586
; %bb.1585:
	global_load_ubyte v5, v[7:8], off
	s_mov_b32 s4, 0x7f800000
	s_waitcnt vmcnt(0)
	v_lshlrev_b32_e32 v5, 24, v5
	v_and_b32_e32 v9, 0x7f000000, v5
	v_ffbh_u32_e32 v11, v9
	v_min_u32_e32 v11, 32, v11
	v_sub_u32_e64 v11, v11, 4 clamp
	v_lshlrev_b32_e32 v13, v11, v9
	v_lshlrev_b32_e32 v11, 23, v11
	v_lshrrev_b32_e32 v13, 4, v13
	v_add_u32_e32 v12, 0x1000000, v9
	v_sub_u32_e32 v11, v13, v11
	v_ashrrev_i32_e32 v12, 8, v12
	v_add_u32_e32 v11, 0x3c000000, v11
	v_and_or_b32 v11, v12, s4, v11
	v_cmp_ne_u32_e32 vcc, 0, v9
	v_cndmask_b32_e32 v9, 0, v11, vcc
	s_brev_b32 s4, 1
	v_and_or_b32 v9, v5, s4, v9
.LBB15_1586:
	s_mov_b64 s[4:5], 0
.LBB15_1587:
	s_andn2_b64 vcc, exec, s[4:5]
	s_cbranch_vccnz .LBB15_1589
; %bb.1588:
	global_load_ubyte v5, v[7:8], off
	s_movk_i32 s4, 0x7f00
	s_brev_b32 s5, 16
	s_waitcnt vmcnt(0)
	v_lshlrev_b16_e32 v9, 8, v5
	v_lshlrev_b32_e32 v5, 25, v5
	v_lshrrev_b32_e32 v11, 4, v5
	v_and_or_b32 v12, v9, s4, 0.5
	v_or_b32_e32 v11, 0x70000000, v11
	v_add_f32_e32 v12, -0.5, v12
	v_mul_f32_e32 v11, 0x7800000, v11
	v_cmp_gt_u32_e32 vcc, s5, v5
	v_bfe_i32 v9, v9, 0, 16
	v_cndmask_b32_e32 v5, v11, v12, vcc
	s_brev_b32 s4, 1
	v_and_or_b32 v9, v9, s4, v5
.LBB15_1589:
	s_mov_b64 s[4:5], 0
	s_mov_b64 s[6:7], -1
.LBB15_1590:
	s_andn2_b64 vcc, exec, s[4:5]
	s_mov_b64 s[4:5], 0
	s_cbranch_vccnz .LBB15_1601
; %bb.1591:
	s_cmp_gt_i32 s14, 14
	s_cbranch_scc0 .LBB15_1594
; %bb.1592:
	s_cmp_eq_u32 s14, 15
	s_cbranch_scc0 .LBB15_1597
; %bb.1593:
	global_load_ushort v5, v[7:8], off
	s_mov_b64 s[0:1], 0
	s_mov_b64 s[6:7], -1
	s_waitcnt vmcnt(0)
	v_lshlrev_b32_e32 v9, 16, v5
	s_branch .LBB15_1598
.LBB15_1594:
	s_mov_b64 s[10:11], -1
                                        ; implicit-def: $vgpr9
	s_branch .LBB15_1599
.LBB15_1595:
	s_or_saveexec_b64 s[6:7], s[6:7]
	v_mov_b32_e32 v9, 0x7f800001
	s_xor_b64 exec, exec, s[6:7]
	s_cbranch_execz .LBB15_1576
.LBB15_1596:
	v_cmp_ne_u16_e32 vcc, 0, v5
	s_andn2_b64 s[4:5], s[4:5], exec
	s_and_b64 s[10:11], vcc, exec
	v_mov_b32_e32 v9, 0
	s_or_b64 s[4:5], s[4:5], s[10:11]
	s_or_b64 exec, exec, s[6:7]
	s_and_saveexec_b64 s[6:7], s[4:5]
	s_cbranch_execnz .LBB15_1577
	s_branch .LBB15_1578
.LBB15_1597:
	s_mov_b64 s[0:1], -1
                                        ; implicit-def: $vgpr9
.LBB15_1598:
	s_mov_b64 s[10:11], 0
.LBB15_1599:
	s_and_b64 vcc, exec, s[10:11]
	s_cbranch_vccz .LBB15_1601
; %bb.1600:
	s_cmp_lg_u32 s14, 11
	s_mov_b64 s[4:5], -1
	s_cselect_b64 s[0:1], -1, 0
.LBB15_1601:
	s_and_b64 vcc, exec, s[0:1]
	s_cbranch_vccnz .LBB15_2134
; %bb.1602:
	s_andn2_b64 vcc, exec, s[4:5]
	s_cbranch_vccnz .LBB15_1604
.LBB15_1603:
	global_load_ubyte v5, v[7:8], off
	s_mov_b64 s[6:7], -1
	s_waitcnt vmcnt(0)
	v_cmp_ne_u16_e32 vcc, 0, v5
	v_cndmask_b32_e64 v9, 0, 1.0, vcc
.LBB15_1604:
	s_mov_b64 s[0:1], 0
.LBB15_1605:
	s_and_b64 vcc, exec, s[0:1]
	s_cbranch_vccz .LBB15_1654
; %bb.1606:
	s_and_b32 s4, 0xffff, s16
	s_cmp_lt_i32 s4, 5
	s_cbranch_scc1 .LBB15_1611
; %bb.1607:
	s_cmp_lt_i32 s4, 8
	s_cbranch_scc1 .LBB15_1612
; %bb.1608:
	;; [unrolled: 3-line block ×3, first 2 shown]
	s_cmp_gt_i32 s4, 9
	s_cbranch_scc0 .LBB15_1614
; %bb.1610:
	global_load_dwordx2 v[11:12], v[7:8], off
	s_mov_b64 s[0:1], 0
	s_waitcnt vmcnt(0)
	v_cvt_f32_f64_e32 v9, v[11:12]
	s_branch .LBB15_1615
.LBB15_1611:
	s_mov_b64 s[0:1], -1
                                        ; implicit-def: $vgpr9
	s_branch .LBB15_1633
.LBB15_1612:
	s_mov_b64 s[0:1], -1
                                        ; implicit-def: $vgpr9
	s_branch .LBB15_1621
.LBB15_1613:
	s_mov_b64 s[0:1], -1
                                        ; implicit-def: $vgpr9
	s_branch .LBB15_1618
.LBB15_1614:
	s_mov_b64 s[0:1], -1
                                        ; implicit-def: $vgpr9
.LBB15_1615:
	s_andn2_b64 vcc, exec, s[0:1]
	s_cbranch_vccnz .LBB15_1617
; %bb.1616:
	global_load_dword v9, v[7:8], off
.LBB15_1617:
	s_mov_b64 s[0:1], 0
.LBB15_1618:
	s_andn2_b64 vcc, exec, s[0:1]
	s_cbranch_vccnz .LBB15_1620
; %bb.1619:
	global_load_dword v5, v[7:8], off
	s_waitcnt vmcnt(0)
	v_cvt_f32_f16_e32 v9, v5
.LBB15_1620:
	s_mov_b64 s[0:1], 0
.LBB15_1621:
	s_andn2_b64 vcc, exec, s[0:1]
	s_cbranch_vccnz .LBB15_1632
; %bb.1622:
	s_cmp_lt_i32 s4, 6
	s_cbranch_scc1 .LBB15_1625
; %bb.1623:
	s_cmp_gt_i32 s4, 6
	s_cbranch_scc0 .LBB15_1626
; %bb.1624:
	global_load_dwordx2 v[11:12], v[7:8], off
	s_mov_b64 s[0:1], 0
	s_waitcnt vmcnt(0)
	v_cvt_f32_f64_e32 v9, v[11:12]
	s_branch .LBB15_1627
.LBB15_1625:
	s_mov_b64 s[0:1], -1
                                        ; implicit-def: $vgpr9
	s_branch .LBB15_1630
.LBB15_1626:
	s_mov_b64 s[0:1], -1
                                        ; implicit-def: $vgpr9
.LBB15_1627:
	s_andn2_b64 vcc, exec, s[0:1]
	s_cbranch_vccnz .LBB15_1629
; %bb.1628:
	global_load_dword v9, v[7:8], off
.LBB15_1629:
	s_mov_b64 s[0:1], 0
.LBB15_1630:
	s_andn2_b64 vcc, exec, s[0:1]
	s_cbranch_vccnz .LBB15_1632
; %bb.1631:
	global_load_ushort v5, v[7:8], off
	s_waitcnt vmcnt(0)
	v_cvt_f32_f16_e32 v9, v5
.LBB15_1632:
	s_mov_b64 s[0:1], 0
.LBB15_1633:
	s_andn2_b64 vcc, exec, s[0:1]
	s_cbranch_vccnz .LBB15_1653
; %bb.1634:
	s_cmp_lt_i32 s4, 2
	s_cbranch_scc1 .LBB15_1638
; %bb.1635:
	s_cmp_lt_i32 s4, 3
	s_cbranch_scc1 .LBB15_1639
; %bb.1636:
	s_cmp_gt_i32 s4, 3
	s_cbranch_scc0 .LBB15_1640
; %bb.1637:
	global_load_dwordx2 v[11:12], v[7:8], off
	s_mov_b64 s[0:1], 0
	s_waitcnt vmcnt(0)
	v_xor_b32_e32 v9, v11, v12
	v_ffbh_i32_e32 v5, v12
	v_ashrrev_i32_e32 v9, 31, v9
	v_add_u32_e32 v5, -1, v5
	v_add_u32_e32 v9, 32, v9
	v_min_u32_e32 v5, v5, v9
	v_lshlrev_b64 v[11:12], v5, v[11:12]
	v_sub_u32_e32 v5, 32, v5
	v_min_u32_e32 v9, 1, v11
	v_or_b32_e32 v9, v12, v9
	v_cvt_f32_i32_e32 v9, v9
	v_ldexp_f32 v9, v9, v5
	s_branch .LBB15_1641
.LBB15_1638:
	s_mov_b64 s[0:1], -1
                                        ; implicit-def: $vgpr9
	s_branch .LBB15_1647
.LBB15_1639:
	s_mov_b64 s[0:1], -1
                                        ; implicit-def: $vgpr9
	s_branch .LBB15_1644
.LBB15_1640:
	s_mov_b64 s[0:1], -1
                                        ; implicit-def: $vgpr9
.LBB15_1641:
	s_andn2_b64 vcc, exec, s[0:1]
	s_cbranch_vccnz .LBB15_1643
; %bb.1642:
	global_load_dword v5, v[7:8], off
	s_waitcnt vmcnt(0)
	v_cvt_f32_i32_e32 v9, v5
.LBB15_1643:
	s_mov_b64 s[0:1], 0
.LBB15_1644:
	s_andn2_b64 vcc, exec, s[0:1]
	s_cbranch_vccnz .LBB15_1646
; %bb.1645:
	global_load_sshort v5, v[7:8], off
	s_waitcnt vmcnt(0)
	v_cvt_f32_i32_e32 v9, v5
.LBB15_1646:
	s_mov_b64 s[0:1], 0
.LBB15_1647:
	s_andn2_b64 vcc, exec, s[0:1]
	s_cbranch_vccnz .LBB15_1653
; %bb.1648:
	s_cmp_gt_i32 s4, 0
	s_cbranch_scc0 .LBB15_1650
; %bb.1649:
	global_load_sbyte v5, v[7:8], off
	s_mov_b64 s[0:1], 0
	s_waitcnt vmcnt(0)
	v_cvt_f32_i32_e32 v9, v5
	s_branch .LBB15_1651
.LBB15_1650:
	s_mov_b64 s[0:1], -1
                                        ; implicit-def: $vgpr9
.LBB15_1651:
	s_andn2_b64 vcc, exec, s[0:1]
	s_cbranch_vccnz .LBB15_1653
; %bb.1652:
	global_load_ubyte v5, v[7:8], off
	s_waitcnt vmcnt(0)
	v_cvt_f32_ubyte0_e32 v9, v5
.LBB15_1653:
	s_mov_b64 s[6:7], -1
.LBB15_1654:
	s_andn2_b64 vcc, exec, s[6:7]
	s_cbranch_vccnz .LBB15_2088
; %bb.1655:
	s_load_dwordx2 s[4:5], s[34:35], 0x158
	v_mov_b32_e32 v8, s9
	s_waitcnt lgkmcnt(0)
	v_cmp_nge_f32_e64 s[0:1], v1, -s4
	v_cmp_nge_f32_e32 vcc, s4, v1
	s_or_b64 vcc, s[0:1], vcc
	s_and_b32 s16, s5, 0xff
	v_cndmask_b32_e32 v7, 0, v1, vcc
	v_add_co_u32_e32 v5, vcc, s8, v6
	s_cmp_lt_i32 s16, 11
	v_addc_co_u32_e32 v6, vcc, 0, v8, vcc
	s_cbranch_scc1 .LBB15_1733
; %bb.1656:
	s_and_b32 s5, 0xffff, s16
	s_mov_b64 s[12:13], -1
	s_mov_b64 s[6:7], 0
	s_cmp_gt_i32 s5, 25
	s_mov_b64 s[10:11], 0
	s_mov_b64 s[0:1], 0
	s_cbranch_scc0 .LBB15_1689
; %bb.1657:
	s_cmp_gt_i32 s5, 28
	s_cbranch_scc0 .LBB15_1672
; %bb.1658:
	s_cmp_gt_i32 s5, 43
	;; [unrolled: 3-line block ×3, first 2 shown]
	s_cbranch_scc0 .LBB15_1662
; %bb.1660:
	s_mov_b64 s[0:1], -1
	s_mov_b64 s[12:13], 0
	s_cmp_eq_u32 s5, 46
	s_cbranch_scc0 .LBB15_1662
; %bb.1661:
	v_bfe_u32 v1, v7, 16, 1
	s_movk_i32 s0, 0x7fff
	v_add3_u32 v1, v7, v1, s0
	v_cmp_o_f32_e32 vcc, v7, v7
	v_mov_b32_e32 v8, 0x7fc0
	v_cndmask_b32_sdwa v1, v8, v1, vcc dst_sel:DWORD dst_unused:UNUSED_PAD src0_sel:DWORD src1_sel:WORD_1
	global_store_dword v[5:6], v1, off
	s_mov_b64 s[0:1], 0
	s_mov_b64 s[10:11], -1
.LBB15_1662:
	s_and_b64 vcc, exec, s[12:13]
	s_cbranch_vccz .LBB15_1667
; %bb.1663:
	s_cmp_eq_u32 s5, 44
	s_mov_b64 s[0:1], -1
	s_cbranch_scc0 .LBB15_1667
; %bb.1664:
	v_bfe_u32 v1, v7, 23, 8
	s_movk_i32 s0, 0xff
	v_cmp_ne_u32_e32 vcc, s0, v1
	v_mov_b32_e32 v8, 0xff
	s_and_saveexec_b64 s[10:11], vcc
; %bb.1665:
	s_mov_b32 s0, 0x3fffff
	v_and_b32_e32 v11, 0x400000, v7
	v_and_or_b32 v1, v7, s0, v1
	v_cmp_ne_u32_e32 vcc, 0, v11
	v_cmp_ne_u32_e64 s[0:1], 0, v1
	s_and_b64 s[0:1], vcc, s[0:1]
	v_lshrrev_b32_e32 v8, 23, v7
	v_cndmask_b32_e64 v1, 0, 1, s[0:1]
	v_add_u32_e32 v8, v8, v1
; %bb.1666:
	s_or_b64 exec, exec, s[10:11]
	s_mov_b64 s[0:1], 0
	s_mov_b64 s[10:11], -1
	global_store_byte v[5:6], v8, off
.LBB15_1667:
	s_mov_b64 s[12:13], 0
.LBB15_1668:
	s_and_b64 vcc, exec, s[12:13]
	s_cbranch_vccz .LBB15_1671
; %bb.1669:
	s_cmp_eq_u32 s5, 29
	s_mov_b64 s[0:1], -1
	s_cbranch_scc0 .LBB15_1671
; %bb.1670:
	v_trunc_f32_e32 v1, v7
	v_mul_f32_e32 v8, 0x2f800000, v1
	v_floor_f32_e32 v8, v8
	v_fmac_f32_e32 v1, 0xcf800000, v8
	v_cvt_u32_f32_e32 v12, v8
	v_cvt_u32_f32_e32 v11, v1
	s_mov_b64 s[0:1], 0
	s_mov_b64 s[10:11], -1
	global_store_dwordx2 v[5:6], v[11:12], off
.LBB15_1671:
	s_mov_b64 s[12:13], 0
.LBB15_1672:
	s_and_b64 vcc, exec, s[12:13]
	s_cbranch_vccz .LBB15_1688
; %bb.1673:
	s_cmp_lt_i32 s5, 27
	s_mov_b64 s[10:11], -1
	s_cbranch_scc1 .LBB15_1679
; %bb.1674:
	v_cvt_u32_f32_e32 v1, v7
	s_cmp_gt_i32 s5, 27
	s_cbranch_scc0 .LBB15_1676
; %bb.1675:
	s_mov_b64 s[10:11], 0
	global_store_dword v[5:6], v1, off
.LBB15_1676:
	s_andn2_b64 vcc, exec, s[10:11]
	s_cbranch_vccnz .LBB15_1678
; %bb.1677:
	global_store_short v[5:6], v1, off
.LBB15_1678:
	s_mov_b64 s[10:11], 0
.LBB15_1679:
	s_andn2_b64 vcc, exec, s[10:11]
	s_cbranch_vccnz .LBB15_1687
; %bb.1680:
	v_and_b32_e32 v1, 0x7fffffff, v7
	s_mov_b32 s10, 0x43800000
	v_cmp_gt_u32_e32 vcc, s10, v1
	v_mov_b32_e32 v8, 0x80
	s_and_saveexec_b64 s[10:11], vcc
	s_cbranch_execz .LBB15_1686
; %bb.1681:
	s_mov_b32 s12, 0x3bffffff
	v_cmp_lt_u32_e32 vcc, s12, v1
	s_mov_b64 s[12:13], 0
                                        ; implicit-def: $vgpr1
	s_and_saveexec_b64 s[14:15], vcc
	s_xor_b64 s[14:15], exec, s[14:15]
	s_cbranch_execz .LBB15_2135
; %bb.1682:
	v_bfe_u32 v1, v7, 20, 1
	s_mov_b32 s17, 0x487ffff
	v_add3_u32 v1, v7, v1, s17
	s_mov_b64 s[12:13], exec
	v_lshrrev_b32_e32 v1, 20, v1
	s_andn2_saveexec_b64 s[14:15], s[14:15]
	s_cbranch_execnz .LBB15_2136
.LBB15_1683:
	s_or_b64 exec, exec, s[14:15]
	v_mov_b32_e32 v8, 0
	s_and_saveexec_b64 s[14:15], s[12:13]
.LBB15_1684:
	v_lshrrev_b32_e32 v8, 24, v7
	s_movk_i32 s12, 0x80
	v_and_or_b32 v8, v8, s12, v1
.LBB15_1685:
	s_or_b64 exec, exec, s[14:15]
.LBB15_1686:
	s_or_b64 exec, exec, s[10:11]
	global_store_byte v[5:6], v8, off
.LBB15_1687:
	s_mov_b64 s[10:11], -1
.LBB15_1688:
	s_mov_b64 s[12:13], 0
.LBB15_1689:
	s_and_b64 vcc, exec, s[12:13]
	s_cbranch_vccz .LBB15_1729
; %bb.1690:
	s_cmp_gt_i32 s5, 22
	s_mov_b64 s[6:7], -1
	s_cbranch_scc0 .LBB15_1722
; %bb.1691:
	s_cmp_lt_i32 s5, 24
	s_cbranch_scc1 .LBB15_1711
; %bb.1692:
	s_cmp_gt_i32 s5, 24
	s_cbranch_scc0 .LBB15_1700
; %bb.1693:
	v_and_b32_e32 v1, 0x7fffffff, v7
	s_mov_b32 s6, 0x47800000
	v_cmp_gt_u32_e32 vcc, s6, v1
	v_mov_b32_e32 v8, 0x80
	s_and_saveexec_b64 s[6:7], vcc
	s_cbranch_execz .LBB15_1699
; %bb.1694:
	s_mov_b32 s10, 0x37ffffff
	v_cmp_lt_u32_e32 vcc, s10, v1
	s_mov_b64 s[10:11], 0
                                        ; implicit-def: $vgpr1
	s_and_saveexec_b64 s[12:13], vcc
	s_xor_b64 s[12:13], exec, s[12:13]
	s_cbranch_execz .LBB15_2138
; %bb.1695:
	v_bfe_u32 v1, v7, 21, 1
	s_mov_b32 s14, 0x88fffff
	v_add3_u32 v1, v7, v1, s14
	s_mov_b64 s[10:11], exec
	v_lshrrev_b32_e32 v1, 21, v1
	s_andn2_saveexec_b64 s[12:13], s[12:13]
	s_cbranch_execnz .LBB15_2139
.LBB15_1696:
	s_or_b64 exec, exec, s[12:13]
	v_mov_b32_e32 v8, 0
	s_and_saveexec_b64 s[12:13], s[10:11]
.LBB15_1697:
	v_lshrrev_b32_e32 v8, 24, v7
	s_movk_i32 s10, 0x80
	v_and_or_b32 v8, v8, s10, v1
.LBB15_1698:
	s_or_b64 exec, exec, s[12:13]
.LBB15_1699:
	s_or_b64 exec, exec, s[6:7]
	s_mov_b64 s[6:7], 0
	global_store_byte v[5:6], v8, off
.LBB15_1700:
	s_and_b64 vcc, exec, s[6:7]
	s_cbranch_vccz .LBB15_1710
; %bb.1701:
	v_and_b32_e32 v8, 0x7fffffff, v7
	s_mov_b32 s6, 0x43f00000
	v_cmp_gt_u32_e32 vcc, s6, v8
                                        ; implicit-def: $vgpr1
	s_and_saveexec_b64 s[6:7], vcc
	s_xor_b64 s[6:7], exec, s[6:7]
	s_cbranch_execz .LBB15_1707
; %bb.1702:
	s_mov_b32 s10, 0x3c7fffff
	v_cmp_lt_u32_e32 vcc, s10, v8
                                        ; implicit-def: $vgpr1
	s_and_saveexec_b64 s[10:11], vcc
	s_xor_b64 s[10:11], exec, s[10:11]
; %bb.1703:
	v_bfe_u32 v1, v7, 20, 1
	s_mov_b32 s12, 0x407ffff
	v_add3_u32 v1, v7, v1, s12
	v_lshrrev_b32_e32 v8, 20, v1
	v_and_b32_e32 v1, 0xff00000, v1
	s_mov_b32 s12, 0x7f00000
	v_mov_b32_e32 v11, 0x7e
	v_cmp_ne_u32_e32 vcc, s12, v1
	v_cndmask_b32_e32 v1, v11, v8, vcc
; %bb.1704:
	s_andn2_saveexec_b64 s[10:11], s[10:11]
; %bb.1705:
	s_mov_b32 s12, 0x46800000
	v_add_f32_e64 v1, |v7|, s12
; %bb.1706:
	s_or_b64 exec, exec, s[10:11]
                                        ; implicit-def: $vgpr8
.LBB15_1707:
	s_andn2_saveexec_b64 s[6:7], s[6:7]
; %bb.1708:
	s_mov_b32 s10, 0x7f800000
	v_mov_b32_e32 v1, 0x7e
	v_mov_b32_e32 v11, 0x7f
	v_cmp_lt_u32_e32 vcc, s10, v8
	v_cndmask_b32_e32 v1, v1, v11, vcc
; %bb.1709:
	s_or_b64 exec, exec, s[6:7]
	v_lshrrev_b32_e32 v8, 24, v7
	s_movk_i32 s6, 0x80
	v_and_or_b32 v1, v8, s6, v1
	global_store_byte v[5:6], v1, off
.LBB15_1710:
	s_mov_b64 s[6:7], 0
.LBB15_1711:
	s_andn2_b64 vcc, exec, s[6:7]
	s_cbranch_vccnz .LBB15_1721
; %bb.1712:
	v_and_b32_e32 v8, 0x7fffffff, v7
	s_mov_b32 s6, 0x47800000
	v_cmp_gt_u32_e32 vcc, s6, v8
                                        ; implicit-def: $vgpr1
	s_and_saveexec_b64 s[6:7], vcc
	s_xor_b64 s[6:7], exec, s[6:7]
	s_cbranch_execz .LBB15_1718
; %bb.1713:
	s_mov_b32 s10, 0x387fffff
	v_cmp_lt_u32_e32 vcc, s10, v8
                                        ; implicit-def: $vgpr1
	s_and_saveexec_b64 s[10:11], vcc
	s_xor_b64 s[10:11], exec, s[10:11]
; %bb.1714:
	v_bfe_u32 v1, v7, 21, 1
	s_mov_b32 s12, 0x80fffff
	v_add3_u32 v1, v7, v1, s12
	v_lshrrev_b32_e32 v1, 21, v1
; %bb.1715:
	s_andn2_saveexec_b64 s[10:11], s[10:11]
; %bb.1716:
	s_mov_b32 s12, 0x43000000
	v_add_f32_e64 v1, |v7|, s12
; %bb.1717:
	s_or_b64 exec, exec, s[10:11]
                                        ; implicit-def: $vgpr8
.LBB15_1718:
	s_andn2_saveexec_b64 s[6:7], s[6:7]
; %bb.1719:
	s_mov_b32 s10, 0x7f800000
	v_mov_b32_e32 v1, 0x7c
	v_mov_b32_e32 v11, 0x7f
	v_cmp_lt_u32_e32 vcc, s10, v8
	v_cndmask_b32_e32 v1, v1, v11, vcc
; %bb.1720:
	s_or_b64 exec, exec, s[6:7]
	v_lshrrev_b32_e32 v8, 24, v7
	s_movk_i32 s6, 0x80
	v_and_or_b32 v1, v8, s6, v1
	global_store_byte v[5:6], v1, off
.LBB15_1721:
	s_mov_b64 s[6:7], 0
	s_mov_b64 s[10:11], -1
.LBB15_1722:
	s_andn2_b64 vcc, exec, s[6:7]
	s_mov_b64 s[6:7], 0
	s_cbranch_vccnz .LBB15_1729
; %bb.1723:
	s_cmp_gt_i32 s5, 14
	s_mov_b64 s[12:13], -1
	s_cbranch_scc0 .LBB15_1727
; %bb.1724:
	s_cmp_eq_u32 s5, 15
	s_mov_b64 s[0:1], -1
	s_cbranch_scc0 .LBB15_1726
; %bb.1725:
	v_bfe_u32 v1, v7, 16, 1
	s_movk_i32 s0, 0x7fff
	v_add3_u32 v1, v7, v1, s0
	v_cmp_o_f32_e32 vcc, v7, v7
	v_mov_b32_e32 v8, 0x7fc0
	v_cndmask_b32_sdwa v1, v8, v1, vcc dst_sel:DWORD dst_unused:UNUSED_PAD src0_sel:DWORD src1_sel:WORD_1
	global_store_short v[5:6], v1, off
	s_mov_b64 s[0:1], 0
	s_mov_b64 s[10:11], -1
.LBB15_1726:
	s_mov_b64 s[12:13], 0
.LBB15_1727:
	s_and_b64 vcc, exec, s[12:13]
	s_cbranch_vccz .LBB15_1729
; %bb.1728:
	s_cmp_lg_u32 s5, 11
	s_mov_b64 s[6:7], -1
	s_cselect_b64 s[0:1], -1, 0
.LBB15_1729:
	s_and_b64 vcc, exec, s[0:1]
	s_cbranch_vccnz .LBB15_2137
; %bb.1730:
	s_andn2_b64 vcc, exec, s[6:7]
	s_cbranch_vccnz .LBB15_1732
.LBB15_1731:
	v_cmp_neq_f32_e32 vcc, 0, v7
	v_cndmask_b32_e64 v1, 0, 1, vcc
	s_mov_b64 s[10:11], -1
	global_store_byte v[5:6], v1, off
.LBB15_1732:
	s_mov_b64 s[0:1], 0
	s_branch .LBB15_1734
.LBB15_1733:
	s_mov_b64 s[0:1], -1
	s_mov_b64 s[10:11], 0
.LBB15_1734:
	s_and_b64 vcc, exec, s[0:1]
	s_cbranch_vccz .LBB15_1773
; %bb.1735:
	s_and_b32 s5, 0xffff, s16
	s_cmp_lt_i32 s5, 5
	s_mov_b64 s[0:1], -1
	s_cbranch_scc1 .LBB15_1756
; %bb.1736:
	s_cmp_lt_i32 s5, 8
	s_cbranch_scc1 .LBB15_1746
; %bb.1737:
	s_cmp_lt_i32 s5, 9
	s_cbranch_scc1 .LBB15_1743
; %bb.1738:
	s_cmp_gt_i32 s5, 9
	s_cbranch_scc0 .LBB15_1740
; %bb.1739:
	v_cvt_f64_f32_e32 v[11:12], v7
	v_mov_b32_e32 v13, 0
	v_mov_b32_e32 v14, v13
	s_mov_b64 s[0:1], 0
	global_store_dwordx4 v[5:6], v[11:14], off
.LBB15_1740:
	s_andn2_b64 vcc, exec, s[0:1]
	s_cbranch_vccnz .LBB15_1742
; %bb.1741:
	v_mov_b32_e32 v8, 0
	global_store_dwordx2 v[5:6], v[7:8], off
.LBB15_1742:
	s_mov_b64 s[0:1], 0
.LBB15_1743:
	s_andn2_b64 vcc, exec, s[0:1]
	s_cbranch_vccnz .LBB15_1745
; %bb.1744:
	v_cvt_f16_f32_e32 v1, v7
	global_store_dword v[5:6], v1, off
.LBB15_1745:
	s_mov_b64 s[0:1], 0
.LBB15_1746:
	s_andn2_b64 vcc, exec, s[0:1]
	s_cbranch_vccnz .LBB15_1755
; %bb.1747:
	s_cmp_lt_i32 s5, 6
	s_mov_b64 s[0:1], -1
	s_cbranch_scc1 .LBB15_1753
; %bb.1748:
	s_cmp_gt_i32 s5, 6
	s_cbranch_scc0 .LBB15_1750
; %bb.1749:
	v_cvt_f64_f32_e32 v[11:12], v7
	s_mov_b64 s[0:1], 0
	global_store_dwordx2 v[5:6], v[11:12], off
.LBB15_1750:
	s_andn2_b64 vcc, exec, s[0:1]
	s_cbranch_vccnz .LBB15_1752
; %bb.1751:
	global_store_dword v[5:6], v7, off
.LBB15_1752:
	s_mov_b64 s[0:1], 0
.LBB15_1753:
	s_andn2_b64 vcc, exec, s[0:1]
	s_cbranch_vccnz .LBB15_1755
; %bb.1754:
	v_cvt_f16_f32_e32 v1, v7
	global_store_short v[5:6], v1, off
.LBB15_1755:
	s_mov_b64 s[0:1], 0
.LBB15_1756:
	s_andn2_b64 vcc, exec, s[0:1]
	s_cbranch_vccnz .LBB15_1772
; %bb.1757:
	s_cmp_lt_i32 s5, 2
	s_mov_b64 s[0:1], -1
	s_cbranch_scc1 .LBB15_1767
; %bb.1758:
	s_cmp_lt_i32 s5, 3
	s_cbranch_scc1 .LBB15_1764
; %bb.1759:
	s_cmp_gt_i32 s5, 3
	s_cbranch_scc0 .LBB15_1761
; %bb.1760:
	v_trunc_f32_e32 v1, v7
	s_mov_b32 s0, 0x2f800000
	v_mul_f32_e64 v8, |v1|, s0
	v_floor_f32_e32 v8, v8
	s_mov_b32 s0, 0xcf800000
	v_cvt_u32_f32_e32 v11, v8
	v_fma_f32 v8, v8, s0, |v1|
	v_cvt_u32_f32_e32 v8, v8
	v_ashrrev_i32_e32 v1, 31, v1
	v_xor_b32_e32 v12, v11, v1
	s_mov_b64 s[0:1], 0
	v_xor_b32_e32 v8, v8, v1
	v_sub_co_u32_e32 v11, vcc, v8, v1
	v_subb_co_u32_e32 v12, vcc, v12, v1, vcc
	global_store_dwordx2 v[5:6], v[11:12], off
.LBB15_1761:
	s_andn2_b64 vcc, exec, s[0:1]
	s_cbranch_vccnz .LBB15_1763
; %bb.1762:
	v_cvt_i32_f32_e32 v1, v7
	global_store_dword v[5:6], v1, off
.LBB15_1763:
	s_mov_b64 s[0:1], 0
.LBB15_1764:
	s_andn2_b64 vcc, exec, s[0:1]
	s_cbranch_vccnz .LBB15_1766
; %bb.1765:
	v_cvt_i32_f32_e32 v1, v7
	global_store_short v[5:6], v1, off
.LBB15_1766:
	s_mov_b64 s[0:1], 0
.LBB15_1767:
	s_andn2_b64 vcc, exec, s[0:1]
	s_cbranch_vccnz .LBB15_1772
; %bb.1768:
	s_cmp_gt_i32 s5, 0
	s_mov_b64 s[0:1], -1
	s_cbranch_scc0 .LBB15_1770
; %bb.1769:
	v_cvt_i32_f32_e32 v1, v7
	s_mov_b64 s[0:1], 0
	global_store_byte v[5:6], v1, off
.LBB15_1770:
	s_andn2_b64 vcc, exec, s[0:1]
	s_cbranch_vccnz .LBB15_1772
; %bb.1771:
	v_trunc_f32_e32 v1, v7
	s_mov_b32 s0, 0x2f800000
	v_mul_f32_e64 v7, |v1|, s0
	v_floor_f32_e32 v7, v7
	s_mov_b32 s0, 0xcf800000
	v_fma_f32 v7, v7, s0, |v1|
	v_cvt_u32_f32_e32 v7, v7
	v_ashrrev_i32_e32 v1, 31, v1
	v_xor_b32_e32 v7, v7, v1
	v_sub_u32_e32 v1, v7, v1
	global_store_byte v[5:6], v1, off
.LBB15_1772:
	s_mov_b64 s[10:11], -1
.LBB15_1773:
	s_andn2_b64 vcc, exec, s[10:11]
	s_cbranch_vccnz .LBB15_2088
; %bb.1774:
	s_waitcnt vmcnt(0)
	v_cmp_nge_f32_e64 s[0:1], v3, -s4
	v_cmp_nge_f32_e32 vcc, s4, v3
	s_or_b64 vcc, s[0:1], vcc
	v_cndmask_b32_e32 v5, 0, v3, vcc
	v_mov_b32_e32 v1, s9
	s_and_b32 s17, 0xffff, s16
	v_add_co_u32_e32 v3, vcc, s8, v4
	s_cmp_lt_i32 s17, 11
	v_addc_co_u32_e32 v4, vcc, 0, v1, vcc
	s_cbranch_scc1 .LBB15_1852
; %bb.1775:
	s_mov_b64 s[12:13], -1
	s_mov_b64 s[6:7], 0
	s_cmp_gt_i32 s17, 25
	s_mov_b64 s[10:11], 0
	s_mov_b64 s[0:1], 0
	s_cbranch_scc0 .LBB15_1808
; %bb.1776:
	s_cmp_gt_i32 s17, 28
	s_cbranch_scc0 .LBB15_1791
; %bb.1777:
	s_cmp_gt_i32 s17, 43
	;; [unrolled: 3-line block ×3, first 2 shown]
	s_cbranch_scc0 .LBB15_1781
; %bb.1779:
	s_mov_b64 s[0:1], -1
	s_mov_b64 s[12:13], 0
	s_cmp_eq_u32 s17, 46
	s_cbranch_scc0 .LBB15_1781
; %bb.1780:
	v_bfe_u32 v1, v5, 16, 1
	s_movk_i32 s0, 0x7fff
	v_add3_u32 v1, v5, v1, s0
	v_cmp_o_f32_e32 vcc, v5, v5
	v_mov_b32_e32 v6, 0x7fc0
	v_cndmask_b32_sdwa v1, v6, v1, vcc dst_sel:DWORD dst_unused:UNUSED_PAD src0_sel:DWORD src1_sel:WORD_1
	global_store_dword v[3:4], v1, off
	s_mov_b64 s[0:1], 0
	s_mov_b64 s[10:11], -1
.LBB15_1781:
	s_and_b64 vcc, exec, s[12:13]
	s_cbranch_vccz .LBB15_1786
; %bb.1782:
	s_cmp_eq_u32 s17, 44
	s_mov_b64 s[0:1], -1
	s_cbranch_scc0 .LBB15_1786
; %bb.1783:
	v_bfe_u32 v1, v5, 23, 8
	s_movk_i32 s0, 0xff
	v_cmp_ne_u32_e32 vcc, s0, v1
	v_mov_b32_e32 v6, 0xff
	s_and_saveexec_b64 s[10:11], vcc
; %bb.1784:
	s_mov_b32 s0, 0x3fffff
	v_and_b32_e32 v7, 0x400000, v5
	v_and_or_b32 v1, v5, s0, v1
	v_cmp_ne_u32_e32 vcc, 0, v7
	v_cmp_ne_u32_e64 s[0:1], 0, v1
	s_and_b64 s[0:1], vcc, s[0:1]
	v_lshrrev_b32_e32 v6, 23, v5
	v_cndmask_b32_e64 v1, 0, 1, s[0:1]
	v_add_u32_e32 v6, v6, v1
; %bb.1785:
	s_or_b64 exec, exec, s[10:11]
	s_mov_b64 s[0:1], 0
	s_mov_b64 s[10:11], -1
	global_store_byte v[3:4], v6, off
.LBB15_1786:
	s_mov_b64 s[12:13], 0
.LBB15_1787:
	s_and_b64 vcc, exec, s[12:13]
	s_cbranch_vccz .LBB15_1790
; %bb.1788:
	s_cmp_eq_u32 s17, 29
	s_mov_b64 s[0:1], -1
	s_cbranch_scc0 .LBB15_1790
; %bb.1789:
	v_trunc_f32_e32 v1, v5
	v_mul_f32_e32 v6, 0x2f800000, v1
	v_floor_f32_e32 v6, v6
	v_fmac_f32_e32 v1, 0xcf800000, v6
	v_cvt_u32_f32_e32 v7, v6
	v_cvt_u32_f32_e32 v6, v1
	s_mov_b64 s[0:1], 0
	s_mov_b64 s[10:11], -1
	global_store_dwordx2 v[3:4], v[6:7], off
.LBB15_1790:
	s_mov_b64 s[12:13], 0
.LBB15_1791:
	s_and_b64 vcc, exec, s[12:13]
	s_cbranch_vccz .LBB15_1807
; %bb.1792:
	s_cmp_lt_i32 s17, 27
	s_mov_b64 s[10:11], -1
	s_cbranch_scc1 .LBB15_1798
; %bb.1793:
	s_cmp_gt_i32 s17, 27
	s_cbranch_scc0 .LBB15_1795
; %bb.1794:
	v_cvt_u32_f32_e32 v1, v5
	s_mov_b64 s[10:11], 0
	global_store_dword v[3:4], v1, off
.LBB15_1795:
	s_andn2_b64 vcc, exec, s[10:11]
	s_cbranch_vccnz .LBB15_1797
; %bb.1796:
	v_cvt_u32_f32_e32 v1, v5
	global_store_short v[3:4], v1, off
.LBB15_1797:
	s_mov_b64 s[10:11], 0
.LBB15_1798:
	s_andn2_b64 vcc, exec, s[10:11]
	s_cbranch_vccnz .LBB15_1806
; %bb.1799:
	v_and_b32_e32 v1, 0x7fffffff, v5
	s_mov_b32 s5, 0x43800000
	v_cmp_gt_u32_e32 vcc, s5, v1
	v_mov_b32_e32 v6, 0x80
	s_and_saveexec_b64 s[10:11], vcc
	s_cbranch_execz .LBB15_1805
; %bb.1800:
	s_mov_b32 s5, 0x3bffffff
	v_cmp_lt_u32_e32 vcc, s5, v1
	s_mov_b64 s[12:13], 0
                                        ; implicit-def: $vgpr1
	s_and_saveexec_b64 s[14:15], vcc
	s_xor_b64 s[14:15], exec, s[14:15]
	s_cbranch_execz .LBB15_2140
; %bb.1801:
	v_bfe_u32 v1, v5, 20, 1
	s_mov_b32 s5, 0x487ffff
	v_add3_u32 v1, v5, v1, s5
	s_mov_b64 s[12:13], exec
	v_lshrrev_b32_e32 v1, 20, v1
	s_andn2_saveexec_b64 s[14:15], s[14:15]
	s_cbranch_execnz .LBB15_2141
.LBB15_1802:
	s_or_b64 exec, exec, s[14:15]
	v_mov_b32_e32 v6, 0
	s_and_saveexec_b64 s[14:15], s[12:13]
.LBB15_1803:
	v_lshrrev_b32_e32 v6, 24, v5
	s_movk_i32 s5, 0x80
	v_and_or_b32 v6, v6, s5, v1
.LBB15_1804:
	s_or_b64 exec, exec, s[14:15]
.LBB15_1805:
	s_or_b64 exec, exec, s[10:11]
	global_store_byte v[3:4], v6, off
.LBB15_1806:
	s_mov_b64 s[10:11], -1
.LBB15_1807:
	s_mov_b64 s[12:13], 0
.LBB15_1808:
	s_and_b64 vcc, exec, s[12:13]
	s_cbranch_vccz .LBB15_1848
; %bb.1809:
	s_cmp_gt_i32 s17, 22
	s_mov_b64 s[6:7], -1
	s_cbranch_scc0 .LBB15_1841
; %bb.1810:
	s_cmp_lt_i32 s17, 24
	s_cbranch_scc1 .LBB15_1830
; %bb.1811:
	s_cmp_gt_i32 s17, 24
	s_cbranch_scc0 .LBB15_1819
; %bb.1812:
	v_and_b32_e32 v1, 0x7fffffff, v5
	s_mov_b32 s5, 0x47800000
	v_cmp_gt_u32_e32 vcc, s5, v1
	v_mov_b32_e32 v6, 0x80
	s_and_saveexec_b64 s[6:7], vcc
	s_cbranch_execz .LBB15_1818
; %bb.1813:
	s_mov_b32 s5, 0x37ffffff
	v_cmp_lt_u32_e32 vcc, s5, v1
	s_mov_b64 s[10:11], 0
                                        ; implicit-def: $vgpr1
	s_and_saveexec_b64 s[12:13], vcc
	s_xor_b64 s[12:13], exec, s[12:13]
	s_cbranch_execz .LBB15_2143
; %bb.1814:
	v_bfe_u32 v1, v5, 21, 1
	s_mov_b32 s5, 0x88fffff
	v_add3_u32 v1, v5, v1, s5
	s_mov_b64 s[10:11], exec
	v_lshrrev_b32_e32 v1, 21, v1
	s_andn2_saveexec_b64 s[12:13], s[12:13]
	s_cbranch_execnz .LBB15_2144
.LBB15_1815:
	s_or_b64 exec, exec, s[12:13]
	v_mov_b32_e32 v6, 0
	s_and_saveexec_b64 s[12:13], s[10:11]
.LBB15_1816:
	v_lshrrev_b32_e32 v6, 24, v5
	s_movk_i32 s5, 0x80
	v_and_or_b32 v6, v6, s5, v1
.LBB15_1817:
	s_or_b64 exec, exec, s[12:13]
.LBB15_1818:
	s_or_b64 exec, exec, s[6:7]
	s_mov_b64 s[6:7], 0
	global_store_byte v[3:4], v6, off
.LBB15_1819:
	s_and_b64 vcc, exec, s[6:7]
	s_cbranch_vccz .LBB15_1829
; %bb.1820:
	v_and_b32_e32 v6, 0x7fffffff, v5
	s_mov_b32 s5, 0x43f00000
	v_cmp_gt_u32_e32 vcc, s5, v6
                                        ; implicit-def: $vgpr1
	s_and_saveexec_b64 s[6:7], vcc
	s_xor_b64 s[6:7], exec, s[6:7]
	s_cbranch_execz .LBB15_1826
; %bb.1821:
	s_mov_b32 s5, 0x3c7fffff
	v_cmp_lt_u32_e32 vcc, s5, v6
                                        ; implicit-def: $vgpr1
	s_and_saveexec_b64 s[10:11], vcc
	s_xor_b64 s[10:11], exec, s[10:11]
; %bb.1822:
	v_bfe_u32 v1, v5, 20, 1
	s_mov_b32 s5, 0x407ffff
	v_add3_u32 v1, v5, v1, s5
	v_lshrrev_b32_e32 v6, 20, v1
	v_and_b32_e32 v1, 0xff00000, v1
	s_mov_b32 s5, 0x7f00000
	v_mov_b32_e32 v7, 0x7e
	v_cmp_ne_u32_e32 vcc, s5, v1
	v_cndmask_b32_e32 v1, v7, v6, vcc
; %bb.1823:
	s_andn2_saveexec_b64 s[10:11], s[10:11]
; %bb.1824:
	s_mov_b32 s5, 0x46800000
	v_add_f32_e64 v1, |v5|, s5
; %bb.1825:
	s_or_b64 exec, exec, s[10:11]
                                        ; implicit-def: $vgpr6
.LBB15_1826:
	s_andn2_saveexec_b64 s[6:7], s[6:7]
; %bb.1827:
	s_mov_b32 s5, 0x7f800000
	v_mov_b32_e32 v1, 0x7e
	v_mov_b32_e32 v7, 0x7f
	v_cmp_lt_u32_e32 vcc, s5, v6
	v_cndmask_b32_e32 v1, v1, v7, vcc
; %bb.1828:
	s_or_b64 exec, exec, s[6:7]
	v_lshrrev_b32_e32 v6, 24, v5
	s_movk_i32 s5, 0x80
	v_and_or_b32 v1, v6, s5, v1
	global_store_byte v[3:4], v1, off
.LBB15_1829:
	s_mov_b64 s[6:7], 0
.LBB15_1830:
	s_andn2_b64 vcc, exec, s[6:7]
	s_cbranch_vccnz .LBB15_1840
; %bb.1831:
	v_and_b32_e32 v6, 0x7fffffff, v5
	s_mov_b32 s5, 0x47800000
	v_cmp_gt_u32_e32 vcc, s5, v6
                                        ; implicit-def: $vgpr1
	s_and_saveexec_b64 s[6:7], vcc
	s_xor_b64 s[6:7], exec, s[6:7]
	s_cbranch_execz .LBB15_1837
; %bb.1832:
	s_mov_b32 s5, 0x387fffff
	v_cmp_lt_u32_e32 vcc, s5, v6
                                        ; implicit-def: $vgpr1
	s_and_saveexec_b64 s[10:11], vcc
	s_xor_b64 s[10:11], exec, s[10:11]
; %bb.1833:
	v_bfe_u32 v1, v5, 21, 1
	s_mov_b32 s5, 0x80fffff
	v_add3_u32 v1, v5, v1, s5
	v_lshrrev_b32_e32 v1, 21, v1
; %bb.1834:
	s_andn2_saveexec_b64 s[10:11], s[10:11]
; %bb.1835:
	s_mov_b32 s5, 0x43000000
	v_add_f32_e64 v1, |v5|, s5
; %bb.1836:
	s_or_b64 exec, exec, s[10:11]
                                        ; implicit-def: $vgpr6
.LBB15_1837:
	s_andn2_saveexec_b64 s[6:7], s[6:7]
; %bb.1838:
	s_mov_b32 s5, 0x7f800000
	v_mov_b32_e32 v1, 0x7c
	v_mov_b32_e32 v7, 0x7f
	v_cmp_lt_u32_e32 vcc, s5, v6
	v_cndmask_b32_e32 v1, v1, v7, vcc
; %bb.1839:
	s_or_b64 exec, exec, s[6:7]
	v_lshrrev_b32_e32 v6, 24, v5
	s_movk_i32 s5, 0x80
	v_and_or_b32 v1, v6, s5, v1
	global_store_byte v[3:4], v1, off
.LBB15_1840:
	s_mov_b64 s[6:7], 0
	s_mov_b64 s[10:11], -1
.LBB15_1841:
	s_andn2_b64 vcc, exec, s[6:7]
	s_mov_b64 s[6:7], 0
	s_cbranch_vccnz .LBB15_1848
; %bb.1842:
	s_cmp_gt_i32 s17, 14
	s_mov_b64 s[12:13], -1
	s_cbranch_scc0 .LBB15_1846
; %bb.1843:
	s_cmp_eq_u32 s17, 15
	s_mov_b64 s[0:1], -1
	s_cbranch_scc0 .LBB15_1845
; %bb.1844:
	v_bfe_u32 v1, v5, 16, 1
	s_movk_i32 s0, 0x7fff
	v_add3_u32 v1, v5, v1, s0
	v_cmp_o_f32_e32 vcc, v5, v5
	v_mov_b32_e32 v6, 0x7fc0
	v_cndmask_b32_sdwa v1, v6, v1, vcc dst_sel:DWORD dst_unused:UNUSED_PAD src0_sel:DWORD src1_sel:WORD_1
	global_store_short v[3:4], v1, off
	s_mov_b64 s[0:1], 0
	s_mov_b64 s[10:11], -1
.LBB15_1845:
	s_mov_b64 s[12:13], 0
.LBB15_1846:
	s_and_b64 vcc, exec, s[12:13]
	s_cbranch_vccz .LBB15_1848
; %bb.1847:
	s_cmp_lg_u32 s17, 11
	s_mov_b64 s[6:7], -1
	s_cselect_b64 s[0:1], -1, 0
.LBB15_1848:
	s_and_b64 vcc, exec, s[0:1]
	s_cbranch_vccnz .LBB15_2142
; %bb.1849:
	s_andn2_b64 vcc, exec, s[6:7]
	s_cbranch_vccnz .LBB15_1851
.LBB15_1850:
	v_cmp_neq_f32_e32 vcc, 0, v5
	v_cndmask_b32_e64 v1, 0, 1, vcc
	s_mov_b64 s[10:11], -1
	global_store_byte v[3:4], v1, off
.LBB15_1851:
	s_mov_b64 s[0:1], 0
	s_branch .LBB15_1853
.LBB15_1852:
	s_mov_b64 s[0:1], -1
	s_mov_b64 s[10:11], 0
.LBB15_1853:
	s_and_b64 vcc, exec, s[0:1]
	s_cbranch_vccz .LBB15_1892
; %bb.1854:
	s_cmp_lt_i32 s17, 5
	s_mov_b64 s[0:1], -1
	s_cbranch_scc1 .LBB15_1875
; %bb.1855:
	s_cmp_lt_i32 s17, 8
	s_cbranch_scc1 .LBB15_1865
; %bb.1856:
	s_cmp_lt_i32 s17, 9
	s_cbranch_scc1 .LBB15_1862
; %bb.1857:
	s_cmp_gt_i32 s17, 9
	s_cbranch_scc0 .LBB15_1859
; %bb.1858:
	v_cvt_f64_f32_e32 v[11:12], v5
	v_mov_b32_e32 v13, 0
	v_mov_b32_e32 v14, v13
	s_mov_b64 s[0:1], 0
	global_store_dwordx4 v[3:4], v[11:14], off
.LBB15_1859:
	s_andn2_b64 vcc, exec, s[0:1]
	s_cbranch_vccnz .LBB15_1861
; %bb.1860:
	v_mov_b32_e32 v6, 0
	global_store_dwordx2 v[3:4], v[5:6], off
.LBB15_1861:
	s_mov_b64 s[0:1], 0
.LBB15_1862:
	s_andn2_b64 vcc, exec, s[0:1]
	s_cbranch_vccnz .LBB15_1864
; %bb.1863:
	v_cvt_f16_f32_e32 v1, v5
	global_store_dword v[3:4], v1, off
.LBB15_1864:
	s_mov_b64 s[0:1], 0
.LBB15_1865:
	s_andn2_b64 vcc, exec, s[0:1]
	s_cbranch_vccnz .LBB15_1874
; %bb.1866:
	s_cmp_lt_i32 s17, 6
	s_mov_b64 s[0:1], -1
	s_cbranch_scc1 .LBB15_1872
; %bb.1867:
	s_cmp_gt_i32 s17, 6
	s_cbranch_scc0 .LBB15_1869
; %bb.1868:
	v_cvt_f64_f32_e32 v[6:7], v5
	s_mov_b64 s[0:1], 0
	global_store_dwordx2 v[3:4], v[6:7], off
.LBB15_1869:
	s_andn2_b64 vcc, exec, s[0:1]
	s_cbranch_vccnz .LBB15_1871
; %bb.1870:
	global_store_dword v[3:4], v5, off
.LBB15_1871:
	s_mov_b64 s[0:1], 0
.LBB15_1872:
	s_andn2_b64 vcc, exec, s[0:1]
	s_cbranch_vccnz .LBB15_1874
; %bb.1873:
	v_cvt_f16_f32_e32 v1, v5
	global_store_short v[3:4], v1, off
.LBB15_1874:
	s_mov_b64 s[0:1], 0
.LBB15_1875:
	s_andn2_b64 vcc, exec, s[0:1]
	s_cbranch_vccnz .LBB15_1891
; %bb.1876:
	s_cmp_lt_i32 s17, 2
	s_mov_b64 s[0:1], -1
	s_cbranch_scc1 .LBB15_1886
; %bb.1877:
	s_cmp_lt_i32 s17, 3
	s_cbranch_scc1 .LBB15_1883
; %bb.1878:
	s_cmp_gt_i32 s17, 3
	s_cbranch_scc0 .LBB15_1880
; %bb.1879:
	v_trunc_f32_e32 v1, v5
	s_mov_b32 s0, 0x2f800000
	v_mul_f32_e64 v6, |v1|, s0
	v_floor_f32_e32 v6, v6
	s_mov_b32 s0, 0xcf800000
	v_cvt_u32_f32_e32 v7, v6
	v_fma_f32 v6, v6, s0, |v1|
	v_cvt_u32_f32_e32 v6, v6
	v_ashrrev_i32_e32 v1, 31, v1
	v_xor_b32_e32 v7, v7, v1
	s_mov_b64 s[0:1], 0
	v_xor_b32_e32 v6, v6, v1
	v_sub_co_u32_e32 v6, vcc, v6, v1
	v_subb_co_u32_e32 v7, vcc, v7, v1, vcc
	global_store_dwordx2 v[3:4], v[6:7], off
.LBB15_1880:
	s_andn2_b64 vcc, exec, s[0:1]
	s_cbranch_vccnz .LBB15_1882
; %bb.1881:
	v_cvt_i32_f32_e32 v1, v5
	global_store_dword v[3:4], v1, off
.LBB15_1882:
	s_mov_b64 s[0:1], 0
.LBB15_1883:
	s_andn2_b64 vcc, exec, s[0:1]
	s_cbranch_vccnz .LBB15_1885
; %bb.1884:
	v_cvt_i32_f32_e32 v1, v5
	global_store_short v[3:4], v1, off
.LBB15_1885:
	s_mov_b64 s[0:1], 0
.LBB15_1886:
	s_andn2_b64 vcc, exec, s[0:1]
	s_cbranch_vccnz .LBB15_1891
; %bb.1887:
	s_cmp_gt_i32 s17, 0
	s_mov_b64 s[0:1], -1
	s_cbranch_scc0 .LBB15_1889
; %bb.1888:
	v_cvt_i32_f32_e32 v1, v5
	s_mov_b64 s[0:1], 0
	global_store_byte v[3:4], v1, off
.LBB15_1889:
	s_andn2_b64 vcc, exec, s[0:1]
	s_cbranch_vccnz .LBB15_1891
; %bb.1890:
	v_trunc_f32_e32 v1, v5
	s_mov_b32 s0, 0x2f800000
	v_mul_f32_e64 v5, |v1|, s0
	v_floor_f32_e32 v5, v5
	s_mov_b32 s0, 0xcf800000
	v_fma_f32 v5, v5, s0, |v1|
	v_cvt_u32_f32_e32 v5, v5
	v_ashrrev_i32_e32 v1, 31, v1
	v_xor_b32_e32 v5, v5, v1
	v_sub_u32_e32 v1, v5, v1
	global_store_byte v[3:4], v1, off
.LBB15_1891:
	s_mov_b64 s[10:11], -1
.LBB15_1892:
	s_andn2_b64 vcc, exec, s[10:11]
	s_cbranch_vccnz .LBB15_2088
; %bb.1893:
	v_cmp_nge_f32_e64 s[0:1], v10, -s4
	v_cmp_nge_f32_e32 vcc, s4, v10
	s_or_b64 vcc, s[0:1], vcc
	v_cndmask_b32_e32 v3, 0, v10, vcc
	v_mov_b32_e32 v4, s9
	v_add_co_u32_e32 v1, vcc, s8, v2
	s_cmp_lt_i32 s17, 11
	v_addc_co_u32_e32 v2, vcc, 0, v4, vcc
	s_cbranch_scc1 .LBB15_1971
; %bb.1894:
	s_mov_b64 s[12:13], -1
	s_mov_b64 s[6:7], 0
	s_cmp_gt_i32 s17, 25
	s_mov_b64 s[10:11], 0
	s_mov_b64 s[0:1], 0
	s_cbranch_scc0 .LBB15_1927
; %bb.1895:
	s_cmp_gt_i32 s17, 28
	s_cbranch_scc0 .LBB15_1910
; %bb.1896:
	s_cmp_gt_i32 s17, 43
	;; [unrolled: 3-line block ×3, first 2 shown]
	s_cbranch_scc0 .LBB15_1900
; %bb.1898:
	s_mov_b64 s[0:1], -1
	s_mov_b64 s[12:13], 0
	s_cmp_eq_u32 s17, 46
	s_cbranch_scc0 .LBB15_1900
; %bb.1899:
	v_bfe_u32 v4, v3, 16, 1
	s_movk_i32 s0, 0x7fff
	v_add3_u32 v4, v3, v4, s0
	v_cmp_o_f32_e32 vcc, v3, v3
	v_mov_b32_e32 v5, 0x7fc0
	v_cndmask_b32_sdwa v4, v5, v4, vcc dst_sel:DWORD dst_unused:UNUSED_PAD src0_sel:DWORD src1_sel:WORD_1
	global_store_dword v[1:2], v4, off
	s_mov_b64 s[0:1], 0
	s_mov_b64 s[10:11], -1
.LBB15_1900:
	s_and_b64 vcc, exec, s[12:13]
	s_cbranch_vccz .LBB15_1905
; %bb.1901:
	s_cmp_eq_u32 s17, 44
	s_mov_b64 s[0:1], -1
	s_cbranch_scc0 .LBB15_1905
; %bb.1902:
	v_bfe_u32 v4, v3, 23, 8
	s_movk_i32 s0, 0xff
	v_cmp_ne_u32_e32 vcc, s0, v4
	v_mov_b32_e32 v5, 0xff
	s_and_saveexec_b64 s[10:11], vcc
; %bb.1903:
	s_mov_b32 s0, 0x3fffff
	v_and_b32_e32 v6, 0x400000, v3
	v_and_or_b32 v4, v3, s0, v4
	v_cmp_ne_u32_e32 vcc, 0, v6
	v_cmp_ne_u32_e64 s[0:1], 0, v4
	s_and_b64 s[0:1], vcc, s[0:1]
	v_lshrrev_b32_e32 v5, 23, v3
	v_cndmask_b32_e64 v4, 0, 1, s[0:1]
	v_add_u32_e32 v5, v5, v4
; %bb.1904:
	s_or_b64 exec, exec, s[10:11]
	s_mov_b64 s[0:1], 0
	s_mov_b64 s[10:11], -1
	global_store_byte v[1:2], v5, off
.LBB15_1905:
	s_mov_b64 s[12:13], 0
.LBB15_1906:
	s_and_b64 vcc, exec, s[12:13]
	s_cbranch_vccz .LBB15_1909
; %bb.1907:
	s_cmp_eq_u32 s17, 29
	s_mov_b64 s[0:1], -1
	s_cbranch_scc0 .LBB15_1909
; %bb.1908:
	v_trunc_f32_e32 v4, v3
	v_mul_f32_e32 v5, 0x2f800000, v4
	v_floor_f32_e32 v6, v5
	v_fmac_f32_e32 v4, 0xcf800000, v6
	v_cvt_u32_f32_e32 v5, v6
	v_cvt_u32_f32_e32 v4, v4
	s_mov_b64 s[0:1], 0
	s_mov_b64 s[10:11], -1
	global_store_dwordx2 v[1:2], v[4:5], off
.LBB15_1909:
	s_mov_b64 s[12:13], 0
.LBB15_1910:
	s_and_b64 vcc, exec, s[12:13]
	s_cbranch_vccz .LBB15_1926
; %bb.1911:
	s_cmp_lt_i32 s17, 27
	s_mov_b64 s[10:11], -1
	s_cbranch_scc1 .LBB15_1917
; %bb.1912:
	v_cvt_u32_f32_e32 v4, v3
	s_cmp_gt_i32 s17, 27
	s_cbranch_scc0 .LBB15_1914
; %bb.1913:
	s_mov_b64 s[10:11], 0
	global_store_dword v[1:2], v4, off
.LBB15_1914:
	s_andn2_b64 vcc, exec, s[10:11]
	s_cbranch_vccnz .LBB15_1916
; %bb.1915:
	global_store_short v[1:2], v4, off
.LBB15_1916:
	s_mov_b64 s[10:11], 0
.LBB15_1917:
	s_andn2_b64 vcc, exec, s[10:11]
	s_cbranch_vccnz .LBB15_1925
; %bb.1918:
	v_and_b32_e32 v4, 0x7fffffff, v3
	s_mov_b32 s5, 0x43800000
	v_cmp_gt_u32_e32 vcc, s5, v4
	v_mov_b32_e32 v5, 0x80
	s_and_saveexec_b64 s[10:11], vcc
	s_cbranch_execz .LBB15_1924
; %bb.1919:
	s_mov_b32 s5, 0x3bffffff
	v_cmp_lt_u32_e32 vcc, s5, v4
	s_mov_b64 s[12:13], 0
                                        ; implicit-def: $vgpr4
	s_and_saveexec_b64 s[14:15], vcc
	s_xor_b64 s[14:15], exec, s[14:15]
	s_cbranch_execz .LBB15_2145
; %bb.1920:
	v_bfe_u32 v4, v3, 20, 1
	s_mov_b32 s5, 0x487ffff
	v_add3_u32 v4, v3, v4, s5
	s_mov_b64 s[12:13], exec
	v_lshrrev_b32_e32 v4, 20, v4
	s_andn2_saveexec_b64 s[14:15], s[14:15]
	s_cbranch_execnz .LBB15_2146
.LBB15_1921:
	s_or_b64 exec, exec, s[14:15]
	v_mov_b32_e32 v5, 0
	s_and_saveexec_b64 s[14:15], s[12:13]
.LBB15_1922:
	v_lshrrev_b32_e32 v5, 24, v3
	s_movk_i32 s5, 0x80
	v_and_or_b32 v5, v5, s5, v4
.LBB15_1923:
	s_or_b64 exec, exec, s[14:15]
.LBB15_1924:
	s_or_b64 exec, exec, s[10:11]
	global_store_byte v[1:2], v5, off
.LBB15_1925:
	s_mov_b64 s[10:11], -1
.LBB15_1926:
	s_mov_b64 s[12:13], 0
.LBB15_1927:
	s_and_b64 vcc, exec, s[12:13]
	s_cbranch_vccz .LBB15_1967
; %bb.1928:
	s_cmp_gt_i32 s17, 22
	s_mov_b64 s[6:7], -1
	s_cbranch_scc0 .LBB15_1960
; %bb.1929:
	s_cmp_lt_i32 s17, 24
	s_cbranch_scc1 .LBB15_1949
; %bb.1930:
	s_cmp_gt_i32 s17, 24
	s_cbranch_scc0 .LBB15_1938
; %bb.1931:
	v_and_b32_e32 v4, 0x7fffffff, v3
	s_mov_b32 s5, 0x47800000
	v_cmp_gt_u32_e32 vcc, s5, v4
	v_mov_b32_e32 v5, 0x80
	s_and_saveexec_b64 s[6:7], vcc
	s_cbranch_execz .LBB15_1937
; %bb.1932:
	s_mov_b32 s5, 0x37ffffff
	v_cmp_lt_u32_e32 vcc, s5, v4
	s_mov_b64 s[10:11], 0
                                        ; implicit-def: $vgpr4
	s_and_saveexec_b64 s[12:13], vcc
	s_xor_b64 s[12:13], exec, s[12:13]
	s_cbranch_execz .LBB15_2148
; %bb.1933:
	v_bfe_u32 v4, v3, 21, 1
	s_mov_b32 s5, 0x88fffff
	v_add3_u32 v4, v3, v4, s5
	s_mov_b64 s[10:11], exec
	v_lshrrev_b32_e32 v4, 21, v4
	s_andn2_saveexec_b64 s[12:13], s[12:13]
	s_cbranch_execnz .LBB15_2149
.LBB15_1934:
	s_or_b64 exec, exec, s[12:13]
	v_mov_b32_e32 v5, 0
	s_and_saveexec_b64 s[12:13], s[10:11]
.LBB15_1935:
	v_lshrrev_b32_e32 v5, 24, v3
	s_movk_i32 s5, 0x80
	v_and_or_b32 v5, v5, s5, v4
.LBB15_1936:
	s_or_b64 exec, exec, s[12:13]
.LBB15_1937:
	s_or_b64 exec, exec, s[6:7]
	s_mov_b64 s[6:7], 0
	global_store_byte v[1:2], v5, off
.LBB15_1938:
	s_and_b64 vcc, exec, s[6:7]
	s_cbranch_vccz .LBB15_1948
; %bb.1939:
	v_and_b32_e32 v5, 0x7fffffff, v3
	s_mov_b32 s5, 0x43f00000
	v_cmp_gt_u32_e32 vcc, s5, v5
                                        ; implicit-def: $vgpr4
	s_and_saveexec_b64 s[6:7], vcc
	s_xor_b64 s[6:7], exec, s[6:7]
	s_cbranch_execz .LBB15_1945
; %bb.1940:
	s_mov_b32 s5, 0x3c7fffff
	v_cmp_lt_u32_e32 vcc, s5, v5
                                        ; implicit-def: $vgpr4
	s_and_saveexec_b64 s[10:11], vcc
	s_xor_b64 s[10:11], exec, s[10:11]
; %bb.1941:
	v_bfe_u32 v4, v3, 20, 1
	s_mov_b32 s5, 0x407ffff
	v_add3_u32 v4, v3, v4, s5
	v_lshrrev_b32_e32 v5, 20, v4
	v_and_b32_e32 v4, 0xff00000, v4
	s_mov_b32 s5, 0x7f00000
	v_mov_b32_e32 v6, 0x7e
	v_cmp_ne_u32_e32 vcc, s5, v4
	v_cndmask_b32_e32 v4, v6, v5, vcc
; %bb.1942:
	s_andn2_saveexec_b64 s[10:11], s[10:11]
; %bb.1943:
	s_mov_b32 s5, 0x46800000
	v_add_f32_e64 v4, |v3|, s5
; %bb.1944:
	s_or_b64 exec, exec, s[10:11]
                                        ; implicit-def: $vgpr5
.LBB15_1945:
	s_andn2_saveexec_b64 s[6:7], s[6:7]
; %bb.1946:
	s_mov_b32 s5, 0x7f800000
	v_mov_b32_e32 v4, 0x7e
	v_mov_b32_e32 v6, 0x7f
	v_cmp_lt_u32_e32 vcc, s5, v5
	v_cndmask_b32_e32 v4, v4, v6, vcc
; %bb.1947:
	s_or_b64 exec, exec, s[6:7]
	v_lshrrev_b32_e32 v5, 24, v3
	s_movk_i32 s5, 0x80
	v_and_or_b32 v4, v5, s5, v4
	global_store_byte v[1:2], v4, off
.LBB15_1948:
	s_mov_b64 s[6:7], 0
.LBB15_1949:
	s_andn2_b64 vcc, exec, s[6:7]
	s_cbranch_vccnz .LBB15_1959
; %bb.1950:
	v_and_b32_e32 v5, 0x7fffffff, v3
	s_mov_b32 s5, 0x47800000
	v_cmp_gt_u32_e32 vcc, s5, v5
                                        ; implicit-def: $vgpr4
	s_and_saveexec_b64 s[6:7], vcc
	s_xor_b64 s[6:7], exec, s[6:7]
	s_cbranch_execz .LBB15_1956
; %bb.1951:
	s_mov_b32 s5, 0x387fffff
	v_cmp_lt_u32_e32 vcc, s5, v5
                                        ; implicit-def: $vgpr4
	s_and_saveexec_b64 s[10:11], vcc
	s_xor_b64 s[10:11], exec, s[10:11]
; %bb.1952:
	v_bfe_u32 v4, v3, 21, 1
	s_mov_b32 s5, 0x80fffff
	v_add3_u32 v4, v3, v4, s5
	v_lshrrev_b32_e32 v4, 21, v4
; %bb.1953:
	s_andn2_saveexec_b64 s[10:11], s[10:11]
; %bb.1954:
	s_mov_b32 s5, 0x43000000
	v_add_f32_e64 v4, |v3|, s5
; %bb.1955:
	s_or_b64 exec, exec, s[10:11]
                                        ; implicit-def: $vgpr5
.LBB15_1956:
	s_andn2_saveexec_b64 s[6:7], s[6:7]
; %bb.1957:
	s_mov_b32 s5, 0x7f800000
	v_mov_b32_e32 v4, 0x7c
	v_mov_b32_e32 v6, 0x7f
	v_cmp_lt_u32_e32 vcc, s5, v5
	v_cndmask_b32_e32 v4, v4, v6, vcc
; %bb.1958:
	s_or_b64 exec, exec, s[6:7]
	v_lshrrev_b32_e32 v5, 24, v3
	s_movk_i32 s5, 0x80
	v_and_or_b32 v4, v5, s5, v4
	global_store_byte v[1:2], v4, off
.LBB15_1959:
	s_mov_b64 s[6:7], 0
	s_mov_b64 s[10:11], -1
.LBB15_1960:
	s_andn2_b64 vcc, exec, s[6:7]
	s_mov_b64 s[6:7], 0
	s_cbranch_vccnz .LBB15_1967
; %bb.1961:
	s_cmp_gt_i32 s17, 14
	s_mov_b64 s[12:13], -1
	s_cbranch_scc0 .LBB15_1965
; %bb.1962:
	s_cmp_eq_u32 s17, 15
	s_mov_b64 s[0:1], -1
	s_cbranch_scc0 .LBB15_1964
; %bb.1963:
	v_bfe_u32 v4, v3, 16, 1
	s_movk_i32 s0, 0x7fff
	v_add3_u32 v4, v3, v4, s0
	v_cmp_o_f32_e32 vcc, v3, v3
	v_mov_b32_e32 v5, 0x7fc0
	v_cndmask_b32_sdwa v4, v5, v4, vcc dst_sel:DWORD dst_unused:UNUSED_PAD src0_sel:DWORD src1_sel:WORD_1
	global_store_short v[1:2], v4, off
	s_mov_b64 s[0:1], 0
	s_mov_b64 s[10:11], -1
.LBB15_1964:
	s_mov_b64 s[12:13], 0
.LBB15_1965:
	s_and_b64 vcc, exec, s[12:13]
	s_cbranch_vccz .LBB15_1967
; %bb.1966:
	s_cmp_lg_u32 s17, 11
	s_mov_b64 s[6:7], -1
	s_cselect_b64 s[0:1], -1, 0
.LBB15_1967:
	s_and_b64 vcc, exec, s[0:1]
	s_cbranch_vccnz .LBB15_2147
; %bb.1968:
	s_andn2_b64 vcc, exec, s[6:7]
	s_cbranch_vccnz .LBB15_1970
.LBB15_1969:
	v_cmp_neq_f32_e32 vcc, 0, v3
	v_cndmask_b32_e64 v4, 0, 1, vcc
	s_mov_b64 s[10:11], -1
	global_store_byte v[1:2], v4, off
.LBB15_1970:
	s_mov_b64 s[0:1], 0
	s_branch .LBB15_1972
.LBB15_1971:
	s_mov_b64 s[0:1], -1
	s_mov_b64 s[10:11], 0
.LBB15_1972:
	s_and_b64 vcc, exec, s[0:1]
	s_cbranch_vccz .LBB15_2011
; %bb.1973:
	s_cmp_lt_i32 s17, 5
	s_mov_b64 s[0:1], -1
	s_cbranch_scc1 .LBB15_1994
; %bb.1974:
	s_cmp_lt_i32 s17, 8
	s_cbranch_scc1 .LBB15_1984
; %bb.1975:
	s_cmp_lt_i32 s17, 9
	s_cbranch_scc1 .LBB15_1981
; %bb.1976:
	s_cmp_gt_i32 s17, 9
	s_cbranch_scc0 .LBB15_1978
; %bb.1977:
	v_cvt_f64_f32_e32 v[4:5], v3
	v_mov_b32_e32 v6, 0
	v_mov_b32_e32 v7, v6
	s_mov_b64 s[0:1], 0
	global_store_dwordx4 v[1:2], v[4:7], off
.LBB15_1978:
	s_andn2_b64 vcc, exec, s[0:1]
	s_cbranch_vccnz .LBB15_1980
; %bb.1979:
	v_mov_b32_e32 v4, 0
	global_store_dwordx2 v[1:2], v[3:4], off
.LBB15_1980:
	s_mov_b64 s[0:1], 0
.LBB15_1981:
	s_andn2_b64 vcc, exec, s[0:1]
	s_cbranch_vccnz .LBB15_1983
; %bb.1982:
	v_cvt_f16_f32_e32 v4, v3
	global_store_dword v[1:2], v4, off
.LBB15_1983:
	s_mov_b64 s[0:1], 0
.LBB15_1984:
	s_andn2_b64 vcc, exec, s[0:1]
	s_cbranch_vccnz .LBB15_1993
; %bb.1985:
	s_cmp_lt_i32 s17, 6
	s_mov_b64 s[0:1], -1
	s_cbranch_scc1 .LBB15_1991
; %bb.1986:
	s_cmp_gt_i32 s17, 6
	s_cbranch_scc0 .LBB15_1988
; %bb.1987:
	v_cvt_f64_f32_e32 v[4:5], v3
	s_mov_b64 s[0:1], 0
	global_store_dwordx2 v[1:2], v[4:5], off
.LBB15_1988:
	s_andn2_b64 vcc, exec, s[0:1]
	s_cbranch_vccnz .LBB15_1990
; %bb.1989:
	global_store_dword v[1:2], v3, off
.LBB15_1990:
	s_mov_b64 s[0:1], 0
.LBB15_1991:
	s_andn2_b64 vcc, exec, s[0:1]
	s_cbranch_vccnz .LBB15_1993
; %bb.1992:
	v_cvt_f16_f32_e32 v4, v3
	global_store_short v[1:2], v4, off
.LBB15_1993:
	s_mov_b64 s[0:1], 0
.LBB15_1994:
	s_andn2_b64 vcc, exec, s[0:1]
	s_cbranch_vccnz .LBB15_2010
; %bb.1995:
	s_cmp_lt_i32 s17, 2
	s_mov_b64 s[0:1], -1
	s_cbranch_scc1 .LBB15_2005
; %bb.1996:
	s_cmp_lt_i32 s17, 3
	s_cbranch_scc1 .LBB15_2002
; %bb.1997:
	s_cmp_gt_i32 s17, 3
	s_cbranch_scc0 .LBB15_1999
; %bb.1998:
	v_trunc_f32_e32 v4, v3
	s_mov_b32 s0, 0x2f800000
	v_mul_f32_e64 v5, |v4|, s0
	v_floor_f32_e32 v5, v5
	s_mov_b32 s0, 0xcf800000
	v_cvt_u32_f32_e32 v6, v5
	v_fma_f32 v5, v5, s0, |v4|
	v_cvt_u32_f32_e32 v5, v5
	v_ashrrev_i32_e32 v7, 31, v4
	v_xor_b32_e32 v6, v6, v7
	s_mov_b64 s[0:1], 0
	v_xor_b32_e32 v4, v5, v7
	v_sub_co_u32_e32 v4, vcc, v4, v7
	v_subb_co_u32_e32 v5, vcc, v6, v7, vcc
	global_store_dwordx2 v[1:2], v[4:5], off
.LBB15_1999:
	s_andn2_b64 vcc, exec, s[0:1]
	s_cbranch_vccnz .LBB15_2001
; %bb.2000:
	v_cvt_i32_f32_e32 v4, v3
	global_store_dword v[1:2], v4, off
.LBB15_2001:
	s_mov_b64 s[0:1], 0
.LBB15_2002:
	s_andn2_b64 vcc, exec, s[0:1]
	s_cbranch_vccnz .LBB15_2004
; %bb.2003:
	v_cvt_i32_f32_e32 v4, v3
	global_store_short v[1:2], v4, off
.LBB15_2004:
	s_mov_b64 s[0:1], 0
.LBB15_2005:
	s_andn2_b64 vcc, exec, s[0:1]
	s_cbranch_vccnz .LBB15_2010
; %bb.2006:
	s_cmp_gt_i32 s17, 0
	s_mov_b64 s[0:1], -1
	s_cbranch_scc0 .LBB15_2008
; %bb.2007:
	v_cvt_i32_f32_e32 v4, v3
	s_mov_b64 s[0:1], 0
	global_store_byte v[1:2], v4, off
.LBB15_2008:
	s_andn2_b64 vcc, exec, s[0:1]
	s_cbranch_vccnz .LBB15_2010
; %bb.2009:
	v_trunc_f32_e32 v3, v3
	s_mov_b32 s0, 0x2f800000
	v_mul_f32_e64 v4, |v3|, s0
	v_floor_f32_e32 v4, v4
	s_mov_b32 s0, 0xcf800000
	v_fma_f32 v4, v4, s0, |v3|
	v_cvt_u32_f32_e32 v4, v4
	v_ashrrev_i32_e32 v3, 31, v3
	v_xor_b32_e32 v4, v4, v3
	v_sub_u32_e32 v3, v4, v3
	global_store_byte v[1:2], v3, off
.LBB15_2010:
	s_mov_b64 s[10:11], -1
.LBB15_2011:
	s_andn2_b64 vcc, exec, s[10:11]
	s_cbranch_vccnz .LBB15_2088
; %bb.2012:
	v_cmp_nge_f32_e64 s[0:1], v9, -s4
	v_cmp_nge_f32_e32 vcc, s4, v9
	s_or_b64 vcc, s[0:1], vcc
	v_cndmask_b32_e32 v2, 0, v9, vcc
	v_mov_b32_e32 v1, s9
	v_add_co_u32_e32 v0, vcc, s8, v0
	s_cmp_lt_i32 s17, 11
	v_addc_co_u32_e32 v1, vcc, 0, v1, vcc
	s_cbranch_scc1 .LBB15_2133
; %bb.2013:
	s_mov_b64 s[6:7], -1
	s_mov_b64 s[4:5], 0
	s_cmp_gt_i32 s17, 25
	s_mov_b64 s[0:1], 0
	s_cbranch_scc0 .LBB15_2046
; %bb.2014:
	s_cmp_gt_i32 s17, 28
	s_cbranch_scc0 .LBB15_2030
; %bb.2015:
	s_cmp_gt_i32 s17, 43
	;; [unrolled: 3-line block ×3, first 2 shown]
	s_cbranch_scc0 .LBB15_2020
; %bb.2017:
	s_cmp_eq_u32 s17, 46
	s_mov_b64 s[0:1], -1
	s_cbranch_scc0 .LBB15_2019
; %bb.2018:
	v_bfe_u32 v3, v2, 16, 1
	s_movk_i32 s0, 0x7fff
	v_add3_u32 v3, v2, v3, s0
	v_cmp_o_f32_e32 vcc, v2, v2
	v_mov_b32_e32 v4, 0x7fc0
	v_cndmask_b32_sdwa v3, v4, v3, vcc dst_sel:DWORD dst_unused:UNUSED_PAD src0_sel:DWORD src1_sel:WORD_1
	global_store_dword v[0:1], v3, off
	s_mov_b64 s[0:1], 0
.LBB15_2019:
	s_mov_b64 s[6:7], 0
.LBB15_2020:
	s_and_b64 vcc, exec, s[6:7]
	s_cbranch_vccz .LBB15_2025
; %bb.2021:
	s_cmp_eq_u32 s17, 44
	s_mov_b64 s[0:1], -1
	s_cbranch_scc0 .LBB15_2025
; %bb.2022:
	v_bfe_u32 v3, v2, 23, 8
	s_movk_i32 s0, 0xff
	v_cmp_ne_u32_e32 vcc, s0, v3
	v_mov_b32_e32 v4, 0xff
	s_and_saveexec_b64 s[6:7], vcc
; %bb.2023:
	s_mov_b32 s0, 0x3fffff
	v_and_b32_e32 v5, 0x400000, v2
	v_and_or_b32 v3, v2, s0, v3
	v_cmp_ne_u32_e32 vcc, 0, v5
	v_cmp_ne_u32_e64 s[0:1], 0, v3
	s_and_b64 s[0:1], vcc, s[0:1]
	v_lshrrev_b32_e32 v4, 23, v2
	v_cndmask_b32_e64 v3, 0, 1, s[0:1]
	v_add_u32_e32 v4, v4, v3
; %bb.2024:
	s_or_b64 exec, exec, s[6:7]
	s_mov_b64 s[0:1], 0
	global_store_byte v[0:1], v4, off
.LBB15_2025:
	s_mov_b64 s[6:7], 0
.LBB15_2026:
	s_and_b64 vcc, exec, s[6:7]
	s_cbranch_vccz .LBB15_2029
; %bb.2027:
	s_cmp_eq_u32 s17, 29
	s_mov_b64 s[0:1], -1
	s_cbranch_scc0 .LBB15_2029
; %bb.2028:
	v_trunc_f32_e32 v3, v2
	v_mul_f32_e32 v4, 0x2f800000, v3
	v_floor_f32_e32 v5, v4
	v_fmac_f32_e32 v3, 0xcf800000, v5
	v_cvt_u32_f32_e32 v4, v5
	v_cvt_u32_f32_e32 v3, v3
	s_mov_b64 s[0:1], 0
	global_store_dwordx2 v[0:1], v[3:4], off
.LBB15_2029:
	s_mov_b64 s[6:7], 0
.LBB15_2030:
	s_and_b64 vcc, exec, s[6:7]
	s_cbranch_vccz .LBB15_2045
; %bb.2031:
	s_cmp_lt_i32 s17, 27
	s_mov_b64 s[6:7], -1
	s_cbranch_scc1 .LBB15_2037
; %bb.2032:
	s_cmp_gt_i32 s17, 27
	s_cbranch_scc0 .LBB15_2034
; %bb.2033:
	v_cvt_u32_f32_e32 v3, v2
	s_mov_b64 s[6:7], 0
	global_store_dword v[0:1], v3, off
.LBB15_2034:
	s_andn2_b64 vcc, exec, s[6:7]
	s_cbranch_vccnz .LBB15_2036
; %bb.2035:
	v_cvt_u32_f32_e32 v3, v2
	global_store_short v[0:1], v3, off
.LBB15_2036:
	s_mov_b64 s[6:7], 0
.LBB15_2037:
	s_andn2_b64 vcc, exec, s[6:7]
	s_cbranch_vccnz .LBB15_2045
; %bb.2038:
	v_and_b32_e32 v3, 0x7fffffff, v2
	s_mov_b32 s6, 0x43800000
	v_cmp_gt_u32_e32 vcc, s6, v3
	v_mov_b32_e32 v4, 0x80
	s_and_saveexec_b64 s[6:7], vcc
	s_cbranch_execz .LBB15_2044
; %bb.2039:
	s_mov_b32 s8, 0x3bffffff
	v_cmp_lt_u32_e32 vcc, s8, v3
	s_mov_b64 s[8:9], 0
                                        ; implicit-def: $vgpr3
	s_and_saveexec_b64 s[10:11], vcc
	s_xor_b64 s[10:11], exec, s[10:11]
	s_cbranch_execz .LBB15_2150
; %bb.2040:
	v_bfe_u32 v3, v2, 20, 1
	s_mov_b32 s12, 0x487ffff
	v_add3_u32 v3, v2, v3, s12
	s_mov_b64 s[8:9], exec
	v_lshrrev_b32_e32 v3, 20, v3
	s_andn2_saveexec_b64 s[10:11], s[10:11]
	s_cbranch_execnz .LBB15_2151
.LBB15_2041:
	s_or_b64 exec, exec, s[10:11]
	v_mov_b32_e32 v4, 0
	s_and_saveexec_b64 s[10:11], s[8:9]
.LBB15_2042:
	v_lshrrev_b32_e32 v4, 24, v2
	s_movk_i32 s8, 0x80
	v_and_or_b32 v4, v4, s8, v3
.LBB15_2043:
	s_or_b64 exec, exec, s[10:11]
.LBB15_2044:
	s_or_b64 exec, exec, s[6:7]
	global_store_byte v[0:1], v4, off
.LBB15_2045:
	s_mov_b64 s[6:7], 0
.LBB15_2046:
	s_and_b64 vcc, exec, s[6:7]
	s_cbranch_vccz .LBB15_2086
; %bb.2047:
	s_cmp_gt_i32 s17, 22
	s_mov_b64 s[4:5], -1
	s_cbranch_scc0 .LBB15_2079
; %bb.2048:
	s_cmp_lt_i32 s17, 24
	s_cbranch_scc1 .LBB15_2068
; %bb.2049:
	s_cmp_gt_i32 s17, 24
	s_cbranch_scc0 .LBB15_2057
; %bb.2050:
	v_and_b32_e32 v3, 0x7fffffff, v2
	s_mov_b32 s4, 0x47800000
	v_cmp_gt_u32_e32 vcc, s4, v3
	v_mov_b32_e32 v4, 0x80
	s_and_saveexec_b64 s[4:5], vcc
	s_cbranch_execz .LBB15_2056
; %bb.2051:
	s_mov_b32 s6, 0x37ffffff
	v_cmp_lt_u32_e32 vcc, s6, v3
	s_mov_b64 s[6:7], 0
                                        ; implicit-def: $vgpr3
	s_and_saveexec_b64 s[8:9], vcc
	s_xor_b64 s[8:9], exec, s[8:9]
	s_cbranch_execz .LBB15_2153
; %bb.2052:
	v_bfe_u32 v3, v2, 21, 1
	s_mov_b32 s10, 0x88fffff
	v_add3_u32 v3, v2, v3, s10
	s_mov_b64 s[6:7], exec
	v_lshrrev_b32_e32 v3, 21, v3
	s_andn2_saveexec_b64 s[8:9], s[8:9]
	s_cbranch_execnz .LBB15_2154
.LBB15_2053:
	s_or_b64 exec, exec, s[8:9]
	v_mov_b32_e32 v4, 0
	s_and_saveexec_b64 s[8:9], s[6:7]
.LBB15_2054:
	v_lshrrev_b32_e32 v4, 24, v2
	s_movk_i32 s6, 0x80
	v_and_or_b32 v4, v4, s6, v3
.LBB15_2055:
	s_or_b64 exec, exec, s[8:9]
.LBB15_2056:
	s_or_b64 exec, exec, s[4:5]
	s_mov_b64 s[4:5], 0
	global_store_byte v[0:1], v4, off
.LBB15_2057:
	s_and_b64 vcc, exec, s[4:5]
	s_cbranch_vccz .LBB15_2067
; %bb.2058:
	v_and_b32_e32 v4, 0x7fffffff, v2
	s_mov_b32 s4, 0x43f00000
	v_cmp_gt_u32_e32 vcc, s4, v4
                                        ; implicit-def: $vgpr3
	s_and_saveexec_b64 s[4:5], vcc
	s_xor_b64 s[4:5], exec, s[4:5]
	s_cbranch_execz .LBB15_2064
; %bb.2059:
	s_mov_b32 s6, 0x3c7fffff
	v_cmp_lt_u32_e32 vcc, s6, v4
                                        ; implicit-def: $vgpr3
	s_and_saveexec_b64 s[6:7], vcc
	s_xor_b64 s[6:7], exec, s[6:7]
; %bb.2060:
	v_bfe_u32 v3, v2, 20, 1
	s_mov_b32 s8, 0x407ffff
	v_add3_u32 v3, v2, v3, s8
	v_lshrrev_b32_e32 v4, 20, v3
	v_and_b32_e32 v3, 0xff00000, v3
	s_mov_b32 s8, 0x7f00000
	v_mov_b32_e32 v5, 0x7e
	v_cmp_ne_u32_e32 vcc, s8, v3
	v_cndmask_b32_e32 v3, v5, v4, vcc
; %bb.2061:
	s_andn2_saveexec_b64 s[6:7], s[6:7]
; %bb.2062:
	s_mov_b32 s8, 0x46800000
	v_add_f32_e64 v3, |v2|, s8
; %bb.2063:
	s_or_b64 exec, exec, s[6:7]
                                        ; implicit-def: $vgpr4
.LBB15_2064:
	s_andn2_saveexec_b64 s[4:5], s[4:5]
; %bb.2065:
	s_mov_b32 s6, 0x7f800000
	v_mov_b32_e32 v3, 0x7e
	v_mov_b32_e32 v5, 0x7f
	v_cmp_lt_u32_e32 vcc, s6, v4
	v_cndmask_b32_e32 v3, v3, v5, vcc
; %bb.2066:
	s_or_b64 exec, exec, s[4:5]
	v_lshrrev_b32_e32 v4, 24, v2
	s_movk_i32 s4, 0x80
	v_and_or_b32 v3, v4, s4, v3
	global_store_byte v[0:1], v3, off
.LBB15_2067:
	s_mov_b64 s[4:5], 0
.LBB15_2068:
	s_andn2_b64 vcc, exec, s[4:5]
	s_cbranch_vccnz .LBB15_2078
; %bb.2069:
	v_and_b32_e32 v4, 0x7fffffff, v2
	s_mov_b32 s4, 0x47800000
	v_cmp_gt_u32_e32 vcc, s4, v4
                                        ; implicit-def: $vgpr3
	s_and_saveexec_b64 s[4:5], vcc
	s_xor_b64 s[4:5], exec, s[4:5]
	s_cbranch_execz .LBB15_2075
; %bb.2070:
	s_mov_b32 s6, 0x387fffff
	v_cmp_lt_u32_e32 vcc, s6, v4
                                        ; implicit-def: $vgpr3
	s_and_saveexec_b64 s[6:7], vcc
	s_xor_b64 s[6:7], exec, s[6:7]
; %bb.2071:
	v_bfe_u32 v3, v2, 21, 1
	s_mov_b32 s8, 0x80fffff
	v_add3_u32 v3, v2, v3, s8
	v_lshrrev_b32_e32 v3, 21, v3
; %bb.2072:
	s_andn2_saveexec_b64 s[6:7], s[6:7]
; %bb.2073:
	s_mov_b32 s8, 0x43000000
	v_add_f32_e64 v3, |v2|, s8
; %bb.2074:
	s_or_b64 exec, exec, s[6:7]
                                        ; implicit-def: $vgpr4
.LBB15_2075:
	s_andn2_saveexec_b64 s[4:5], s[4:5]
; %bb.2076:
	s_mov_b32 s6, 0x7f800000
	v_mov_b32_e32 v3, 0x7c
	v_mov_b32_e32 v5, 0x7f
	v_cmp_lt_u32_e32 vcc, s6, v4
	v_cndmask_b32_e32 v3, v3, v5, vcc
; %bb.2077:
	s_or_b64 exec, exec, s[4:5]
	v_lshrrev_b32_e32 v4, 24, v2
	s_movk_i32 s4, 0x80
	v_and_or_b32 v3, v4, s4, v3
	global_store_byte v[0:1], v3, off
.LBB15_2078:
	s_mov_b64 s[4:5], 0
.LBB15_2079:
	s_andn2_b64 vcc, exec, s[4:5]
	s_mov_b64 s[4:5], 0
	s_cbranch_vccnz .LBB15_2086
; %bb.2080:
	s_cmp_gt_i32 s17, 14
	s_mov_b64 s[6:7], -1
	s_cbranch_scc0 .LBB15_2084
; %bb.2081:
	s_cmp_eq_u32 s17, 15
	s_mov_b64 s[0:1], -1
	s_cbranch_scc0 .LBB15_2083
; %bb.2082:
	v_bfe_u32 v3, v2, 16, 1
	s_movk_i32 s0, 0x7fff
	v_add3_u32 v3, v2, v3, s0
	v_cmp_o_f32_e32 vcc, v2, v2
	v_mov_b32_e32 v4, 0x7fc0
	v_cndmask_b32_sdwa v3, v4, v3, vcc dst_sel:DWORD dst_unused:UNUSED_PAD src0_sel:DWORD src1_sel:WORD_1
	global_store_short v[0:1], v3, off
	s_mov_b64 s[0:1], 0
.LBB15_2083:
	s_mov_b64 s[6:7], 0
.LBB15_2084:
	s_and_b64 vcc, exec, s[6:7]
	s_cbranch_vccz .LBB15_2086
; %bb.2085:
	s_cmp_lg_u32 s17, 11
	s_mov_b64 s[4:5], -1
	s_cselect_b64 s[0:1], -1, 0
.LBB15_2086:
	s_and_b64 vcc, exec, s[0:1]
	s_cbranch_vccnz .LBB15_2152
.LBB15_2087:
	s_mov_b64 s[0:1], 0
	s_branch .LBB15_2089
.LBB15_2088:
	s_mov_b64 s[0:1], 0
	s_mov_b64 s[4:5], 0
                                        ; implicit-def: $vgpr0_vgpr1
                                        ; implicit-def: $sgpr16
                                        ; implicit-def: $vgpr2
.LBB15_2089:
	s_and_b64 s[6:7], s[4:5], exec
	s_andn2_b64 s[4:5], s[28:29], exec
	s_and_b64 s[2:3], s[2:3], exec
	s_and_b64 s[0:1], s[0:1], exec
	s_or_b64 s[28:29], s[4:5], s[2:3]
.LBB15_2090:
	s_or_b64 exec, exec, s[30:31]
	s_and_saveexec_b64 s[2:3], s[28:29]
	s_cbranch_execz .LBB15_2093
; %bb.2091:
	; divergent unreachable
	s_or_b64 exec, exec, s[2:3]
	s_and_saveexec_b64 s[2:3], s[6:7]
	s_xor_b64 s[2:3], exec, s[2:3]
	s_cbranch_execnz .LBB15_2094
.LBB15_2092:
	s_or_b64 exec, exec, s[2:3]
	s_and_saveexec_b64 s[2:3], s[0:1]
	s_cbranch_execnz .LBB15_2095
	s_branch .LBB15_2132
.LBB15_2093:
	s_or_b64 exec, exec, s[2:3]
	s_and_saveexec_b64 s[2:3], s[6:7]
	s_xor_b64 s[2:3], exec, s[2:3]
	s_cbranch_execz .LBB15_2092
.LBB15_2094:
	v_cmp_neq_f32_e32 vcc, 0, v2
	s_waitcnt vmcnt(0)
	v_cndmask_b32_e64 v3, 0, 1, vcc
	global_store_byte v[0:1], v3, off
	s_or_b64 exec, exec, s[2:3]
	s_and_saveexec_b64 s[2:3], s[0:1]
	s_cbranch_execz .LBB15_2132
.LBB15_2095:
	s_sext_i32_i16 s2, s16
	s_cmp_lt_i32 s2, 5
	s_mov_b64 s[0:1], -1
	s_cbranch_scc1 .LBB15_2116
; %bb.2096:
	s_cmp_lt_i32 s2, 8
	s_cbranch_scc1 .LBB15_2106
; %bb.2097:
	s_cmp_lt_i32 s2, 9
	s_cbranch_scc1 .LBB15_2103
; %bb.2098:
	s_cmp_gt_i32 s2, 9
	s_cbranch_scc0 .LBB15_2100
; %bb.2099:
	s_waitcnt vmcnt(0)
	v_cvt_f64_f32_e32 v[3:4], v2
	v_mov_b32_e32 v5, 0
	v_mov_b32_e32 v6, v5
	s_mov_b64 s[0:1], 0
	global_store_dwordx4 v[0:1], v[3:6], off
.LBB15_2100:
	s_andn2_b64 vcc, exec, s[0:1]
	s_cbranch_vccnz .LBB15_2102
; %bb.2101:
	s_waitcnt vmcnt(0)
	v_mov_b32_e32 v3, 0
	global_store_dwordx2 v[0:1], v[2:3], off
.LBB15_2102:
	s_mov_b64 s[0:1], 0
.LBB15_2103:
	s_andn2_b64 vcc, exec, s[0:1]
	s_cbranch_vccnz .LBB15_2105
; %bb.2104:
	s_waitcnt vmcnt(0)
	v_cvt_f16_f32_e32 v3, v2
	global_store_dword v[0:1], v3, off
.LBB15_2105:
	s_mov_b64 s[0:1], 0
.LBB15_2106:
	s_andn2_b64 vcc, exec, s[0:1]
	s_cbranch_vccnz .LBB15_2115
; %bb.2107:
	s_sext_i32_i16 s2, s16
	s_cmp_lt_i32 s2, 6
	s_mov_b64 s[0:1], -1
	s_cbranch_scc1 .LBB15_2113
; %bb.2108:
	s_cmp_gt_i32 s2, 6
	s_cbranch_scc0 .LBB15_2110
; %bb.2109:
	s_waitcnt vmcnt(0)
	v_cvt_f64_f32_e32 v[3:4], v2
	s_mov_b64 s[0:1], 0
	global_store_dwordx2 v[0:1], v[3:4], off
.LBB15_2110:
	s_andn2_b64 vcc, exec, s[0:1]
	s_cbranch_vccnz .LBB15_2112
; %bb.2111:
	s_waitcnt vmcnt(0)
	global_store_dword v[0:1], v2, off
.LBB15_2112:
	s_mov_b64 s[0:1], 0
.LBB15_2113:
	s_andn2_b64 vcc, exec, s[0:1]
	s_cbranch_vccnz .LBB15_2115
; %bb.2114:
	s_waitcnt vmcnt(0)
	v_cvt_f16_f32_e32 v3, v2
	global_store_short v[0:1], v3, off
.LBB15_2115:
	s_mov_b64 s[0:1], 0
.LBB15_2116:
	s_andn2_b64 vcc, exec, s[0:1]
	s_cbranch_vccnz .LBB15_2132
; %bb.2117:
	s_sext_i32_i16 s2, s16
	s_cmp_lt_i32 s2, 2
	s_mov_b64 s[0:1], -1
	s_cbranch_scc1 .LBB15_2127
; %bb.2118:
	s_cmp_lt_i32 s2, 3
	s_cbranch_scc1 .LBB15_2124
; %bb.2119:
	s_cmp_gt_i32 s2, 3
	s_cbranch_scc0 .LBB15_2121
; %bb.2120:
	s_waitcnt vmcnt(0)
	v_trunc_f32_e32 v3, v2
	s_mov_b32 s0, 0x2f800000
	v_mul_f32_e64 v4, |v3|, s0
	v_floor_f32_e32 v4, v4
	s_mov_b32 s0, 0xcf800000
	v_cvt_u32_f32_e32 v5, v4
	v_fma_f32 v4, v4, s0, |v3|
	v_cvt_u32_f32_e32 v4, v4
	v_ashrrev_i32_e32 v6, 31, v3
	v_xor_b32_e32 v5, v5, v6
	s_mov_b64 s[0:1], 0
	v_xor_b32_e32 v3, v4, v6
	v_sub_co_u32_e32 v3, vcc, v3, v6
	v_subb_co_u32_e32 v4, vcc, v5, v6, vcc
	global_store_dwordx2 v[0:1], v[3:4], off
.LBB15_2121:
	s_andn2_b64 vcc, exec, s[0:1]
	s_cbranch_vccnz .LBB15_2123
; %bb.2122:
	s_waitcnt vmcnt(0)
	v_cvt_i32_f32_e32 v3, v2
	global_store_dword v[0:1], v3, off
.LBB15_2123:
	s_mov_b64 s[0:1], 0
.LBB15_2124:
	s_andn2_b64 vcc, exec, s[0:1]
	s_cbranch_vccnz .LBB15_2126
; %bb.2125:
	s_waitcnt vmcnt(0)
	v_cvt_i32_f32_e32 v3, v2
	global_store_short v[0:1], v3, off
.LBB15_2126:
	s_mov_b64 s[0:1], 0
.LBB15_2127:
	s_andn2_b64 vcc, exec, s[0:1]
	s_cbranch_vccnz .LBB15_2132
; %bb.2128:
	s_sext_i32_i16 s0, s16
	s_cmp_gt_i32 s0, 0
	s_mov_b64 s[0:1], -1
	s_cbranch_scc0 .LBB15_2130
; %bb.2129:
	s_waitcnt vmcnt(0)
	v_cvt_i32_f32_e32 v3, v2
	s_mov_b64 s[0:1], 0
	global_store_byte v[0:1], v3, off
.LBB15_2130:
	s_andn2_b64 vcc, exec, s[0:1]
	s_cbranch_vccnz .LBB15_2132
; %bb.2131:
	v_trunc_f32_e32 v2, v2
	s_mov_b32 s0, 0x2f800000
	s_waitcnt vmcnt(0)
	v_mul_f32_e64 v3, |v2|, s0
	v_floor_f32_e32 v3, v3
	s_mov_b32 s0, 0xcf800000
	v_fma_f32 v3, v3, s0, |v2|
	v_cvt_u32_f32_e32 v3, v3
	v_ashrrev_i32_e32 v2, 31, v2
	v_xor_b32_e32 v3, v3, v2
	v_sub_u32_e32 v2, v3, v2
	global_store_byte v[0:1], v2, off
	s_endpgm
.LBB15_2132:
	s_endpgm
.LBB15_2133:
	s_mov_b64 s[4:5], 0
	s_mov_b64 s[0:1], -1
	s_branch .LBB15_2089
.LBB15_2134:
	s_trap 2
	s_or_b64 s[2:3], s[2:3], exec
	s_cbranch_execz .LBB15_1603
	s_branch .LBB15_1604
.LBB15_2135:
	s_andn2_saveexec_b64 s[14:15], s[14:15]
	s_cbranch_execz .LBB15_1683
.LBB15_2136:
	s_mov_b32 s17, 0x46000000
	v_add_f32_e64 v1, |v7|, s17
	v_and_b32_e32 v1, 0xff, v1
	v_cmp_ne_u32_e32 vcc, 0, v1
	s_andn2_b64 s[12:13], s[12:13], exec
	s_and_b64 s[18:19], vcc, exec
	s_or_b64 s[12:13], s[12:13], s[18:19]
	s_or_b64 exec, exec, s[14:15]
	v_mov_b32_e32 v8, 0
	s_and_saveexec_b64 s[14:15], s[12:13]
	s_cbranch_execnz .LBB15_1684
	s_branch .LBB15_1685
.LBB15_2137:
	s_trap 2
	s_or_b64 s[2:3], s[2:3], exec
	s_cbranch_execz .LBB15_1731
	s_branch .LBB15_1732
.LBB15_2138:
	s_andn2_saveexec_b64 s[12:13], s[12:13]
	s_cbranch_execz .LBB15_1696
.LBB15_2139:
	s_mov_b32 s14, 0x42800000
	v_add_f32_e64 v1, |v7|, s14
	v_and_b32_e32 v1, 0xff, v1
	v_cmp_ne_u32_e32 vcc, 0, v1
	s_andn2_b64 s[10:11], s[10:11], exec
	s_and_b64 s[14:15], vcc, exec
	s_or_b64 s[10:11], s[10:11], s[14:15]
	s_or_b64 exec, exec, s[12:13]
	v_mov_b32_e32 v8, 0
	s_and_saveexec_b64 s[12:13], s[10:11]
	s_cbranch_execnz .LBB15_1697
	s_branch .LBB15_1698
.LBB15_2140:
	s_andn2_saveexec_b64 s[14:15], s[14:15]
	s_cbranch_execz .LBB15_1802
.LBB15_2141:
	s_mov_b32 s5, 0x46000000
	v_add_f32_e64 v1, |v5|, s5
	v_and_b32_e32 v1, 0xff, v1
	v_cmp_ne_u32_e32 vcc, 0, v1
	s_andn2_b64 s[12:13], s[12:13], exec
	s_and_b64 s[18:19], vcc, exec
	s_or_b64 s[12:13], s[12:13], s[18:19]
	s_or_b64 exec, exec, s[14:15]
	v_mov_b32_e32 v6, 0
	s_and_saveexec_b64 s[14:15], s[12:13]
	s_cbranch_execnz .LBB15_1803
	s_branch .LBB15_1804
.LBB15_2142:
	s_trap 2
	s_or_b64 s[2:3], s[2:3], exec
	s_cbranch_execz .LBB15_1850
	s_branch .LBB15_1851
.LBB15_2143:
	s_andn2_saveexec_b64 s[12:13], s[12:13]
	s_cbranch_execz .LBB15_1815
.LBB15_2144:
	s_mov_b32 s5, 0x42800000
	v_add_f32_e64 v1, |v5|, s5
	v_and_b32_e32 v1, 0xff, v1
	v_cmp_ne_u32_e32 vcc, 0, v1
	s_andn2_b64 s[10:11], s[10:11], exec
	s_and_b64 s[14:15], vcc, exec
	s_or_b64 s[10:11], s[10:11], s[14:15]
	s_or_b64 exec, exec, s[12:13]
	v_mov_b32_e32 v6, 0
	s_and_saveexec_b64 s[12:13], s[10:11]
	s_cbranch_execnz .LBB15_1816
	s_branch .LBB15_1817
.LBB15_2145:
	s_andn2_saveexec_b64 s[14:15], s[14:15]
	s_cbranch_execz .LBB15_1921
.LBB15_2146:
	s_mov_b32 s5, 0x46000000
	v_add_f32_e64 v4, |v3|, s5
	v_and_b32_e32 v4, 0xff, v4
	v_cmp_ne_u32_e32 vcc, 0, v4
	s_andn2_b64 s[12:13], s[12:13], exec
	s_and_b64 s[18:19], vcc, exec
	s_or_b64 s[12:13], s[12:13], s[18:19]
	s_or_b64 exec, exec, s[14:15]
	v_mov_b32_e32 v5, 0
	s_and_saveexec_b64 s[14:15], s[12:13]
	s_cbranch_execnz .LBB15_1922
	s_branch .LBB15_1923
.LBB15_2147:
	s_trap 2
	s_or_b64 s[2:3], s[2:3], exec
	s_cbranch_execz .LBB15_1969
	s_branch .LBB15_1970
.LBB15_2148:
	s_andn2_saveexec_b64 s[12:13], s[12:13]
	s_cbranch_execz .LBB15_1934
.LBB15_2149:
	s_mov_b32 s5, 0x42800000
	v_add_f32_e64 v4, |v3|, s5
	v_and_b32_e32 v4, 0xff, v4
	v_cmp_ne_u32_e32 vcc, 0, v4
	s_andn2_b64 s[10:11], s[10:11], exec
	s_and_b64 s[14:15], vcc, exec
	s_or_b64 s[10:11], s[10:11], s[14:15]
	s_or_b64 exec, exec, s[12:13]
	v_mov_b32_e32 v5, 0
	s_and_saveexec_b64 s[12:13], s[10:11]
	s_cbranch_execnz .LBB15_1935
	s_branch .LBB15_1936
.LBB15_2150:
	s_andn2_saveexec_b64 s[10:11], s[10:11]
	s_cbranch_execz .LBB15_2041
.LBB15_2151:
	s_mov_b32 s12, 0x46000000
	v_add_f32_e64 v3, |v2|, s12
	v_and_b32_e32 v3, 0xff, v3
	v_cmp_ne_u32_e32 vcc, 0, v3
	s_andn2_b64 s[8:9], s[8:9], exec
	s_and_b64 s[12:13], vcc, exec
	s_or_b64 s[8:9], s[8:9], s[12:13]
	s_or_b64 exec, exec, s[10:11]
	v_mov_b32_e32 v4, 0
	s_and_saveexec_b64 s[10:11], s[8:9]
	s_cbranch_execnz .LBB15_2042
	s_branch .LBB15_2043
.LBB15_2152:
	s_mov_b64 s[4:5], 0
	s_or_b64 s[2:3], s[2:3], exec
	s_trap 2
	s_branch .LBB15_2087
.LBB15_2153:
	s_andn2_saveexec_b64 s[8:9], s[8:9]
	s_cbranch_execz .LBB15_2053
.LBB15_2154:
	s_mov_b32 s10, 0x42800000
	v_add_f32_e64 v3, |v2|, s10
	v_and_b32_e32 v3, 0xff, v3
	v_cmp_ne_u32_e32 vcc, 0, v3
	s_andn2_b64 s[6:7], s[6:7], exec
	s_and_b64 s[10:11], vcc, exec
	s_or_b64 s[6:7], s[6:7], s[10:11]
	s_or_b64 exec, exec, s[8:9]
	v_mov_b32_e32 v4, 0
	s_and_saveexec_b64 s[8:9], s[6:7]
	s_cbranch_execnz .LBB15_2054
	s_branch .LBB15_2055
	.section	.rodata,"a",@progbits
	.p2align	6, 0x0
	.amdhsa_kernel _ZN2at6native32elementwise_kernel_manual_unrollILi128ELi4EZNS0_15gpu_kernel_implIZZZNS0_12_GLOBAL__N_117hardshrink_kernelERNS_18TensorIteratorBaseERKN3c106ScalarEENKUlvE_clEvENKUlvE0_clEvEUlfE_EEvS5_RKT_EUlibE0_EEviT1_
		.amdhsa_group_segment_fixed_size 0
		.amdhsa_private_segment_fixed_size 0
		.amdhsa_kernarg_size 360
		.amdhsa_user_sgpr_count 6
		.amdhsa_user_sgpr_private_segment_buffer 1
		.amdhsa_user_sgpr_dispatch_ptr 0
		.amdhsa_user_sgpr_queue_ptr 0
		.amdhsa_user_sgpr_kernarg_segment_ptr 1
		.amdhsa_user_sgpr_dispatch_id 0
		.amdhsa_user_sgpr_flat_scratch_init 0
		.amdhsa_user_sgpr_private_segment_size 0
		.amdhsa_uses_dynamic_stack 0
		.amdhsa_system_sgpr_private_segment_wavefront_offset 0
		.amdhsa_system_sgpr_workgroup_id_x 1
		.amdhsa_system_sgpr_workgroup_id_y 0
		.amdhsa_system_sgpr_workgroup_id_z 0
		.amdhsa_system_sgpr_workgroup_info 0
		.amdhsa_system_vgpr_workitem_id 0
		.amdhsa_next_free_vgpr 18
		.amdhsa_next_free_sgpr 79
		.amdhsa_reserve_vcc 1
		.amdhsa_reserve_flat_scratch 0
		.amdhsa_float_round_mode_32 0
		.amdhsa_float_round_mode_16_64 0
		.amdhsa_float_denorm_mode_32 3
		.amdhsa_float_denorm_mode_16_64 3
		.amdhsa_dx10_clamp 1
		.amdhsa_ieee_mode 1
		.amdhsa_fp16_overflow 0
		.amdhsa_exception_fp_ieee_invalid_op 0
		.amdhsa_exception_fp_denorm_src 0
		.amdhsa_exception_fp_ieee_div_zero 0
		.amdhsa_exception_fp_ieee_overflow 0
		.amdhsa_exception_fp_ieee_underflow 0
		.amdhsa_exception_fp_ieee_inexact 0
		.amdhsa_exception_int_div_zero 0
	.end_amdhsa_kernel
	.section	.text._ZN2at6native32elementwise_kernel_manual_unrollILi128ELi4EZNS0_15gpu_kernel_implIZZZNS0_12_GLOBAL__N_117hardshrink_kernelERNS_18TensorIteratorBaseERKN3c106ScalarEENKUlvE_clEvENKUlvE0_clEvEUlfE_EEvS5_RKT_EUlibE0_EEviT1_,"axG",@progbits,_ZN2at6native32elementwise_kernel_manual_unrollILi128ELi4EZNS0_15gpu_kernel_implIZZZNS0_12_GLOBAL__N_117hardshrink_kernelERNS_18TensorIteratorBaseERKN3c106ScalarEENKUlvE_clEvENKUlvE0_clEvEUlfE_EEvS5_RKT_EUlibE0_EEviT1_,comdat
.Lfunc_end15:
	.size	_ZN2at6native32elementwise_kernel_manual_unrollILi128ELi4EZNS0_15gpu_kernel_implIZZZNS0_12_GLOBAL__N_117hardshrink_kernelERNS_18TensorIteratorBaseERKN3c106ScalarEENKUlvE_clEvENKUlvE0_clEvEUlfE_EEvS5_RKT_EUlibE0_EEviT1_, .Lfunc_end15-_ZN2at6native32elementwise_kernel_manual_unrollILi128ELi4EZNS0_15gpu_kernel_implIZZZNS0_12_GLOBAL__N_117hardshrink_kernelERNS_18TensorIteratorBaseERKN3c106ScalarEENKUlvE_clEvENKUlvE0_clEvEUlfE_EEvS5_RKT_EUlibE0_EEviT1_
                                        ; -- End function
	.set _ZN2at6native32elementwise_kernel_manual_unrollILi128ELi4EZNS0_15gpu_kernel_implIZZZNS0_12_GLOBAL__N_117hardshrink_kernelERNS_18TensorIteratorBaseERKN3c106ScalarEENKUlvE_clEvENKUlvE0_clEvEUlfE_EEvS5_RKT_EUlibE0_EEviT1_.num_vgpr, 18
	.set _ZN2at6native32elementwise_kernel_manual_unrollILi128ELi4EZNS0_15gpu_kernel_implIZZZNS0_12_GLOBAL__N_117hardshrink_kernelERNS_18TensorIteratorBaseERKN3c106ScalarEENKUlvE_clEvENKUlvE0_clEvEUlfE_EEvS5_RKT_EUlibE0_EEviT1_.num_agpr, 0
	.set _ZN2at6native32elementwise_kernel_manual_unrollILi128ELi4EZNS0_15gpu_kernel_implIZZZNS0_12_GLOBAL__N_117hardshrink_kernelERNS_18TensorIteratorBaseERKN3c106ScalarEENKUlvE_clEvENKUlvE0_clEvEUlfE_EEvS5_RKT_EUlibE0_EEviT1_.numbered_sgpr, 79
	.set _ZN2at6native32elementwise_kernel_manual_unrollILi128ELi4EZNS0_15gpu_kernel_implIZZZNS0_12_GLOBAL__N_117hardshrink_kernelERNS_18TensorIteratorBaseERKN3c106ScalarEENKUlvE_clEvENKUlvE0_clEvEUlfE_EEvS5_RKT_EUlibE0_EEviT1_.num_named_barrier, 0
	.set _ZN2at6native32elementwise_kernel_manual_unrollILi128ELi4EZNS0_15gpu_kernel_implIZZZNS0_12_GLOBAL__N_117hardshrink_kernelERNS_18TensorIteratorBaseERKN3c106ScalarEENKUlvE_clEvENKUlvE0_clEvEUlfE_EEvS5_RKT_EUlibE0_EEviT1_.private_seg_size, 0
	.set _ZN2at6native32elementwise_kernel_manual_unrollILi128ELi4EZNS0_15gpu_kernel_implIZZZNS0_12_GLOBAL__N_117hardshrink_kernelERNS_18TensorIteratorBaseERKN3c106ScalarEENKUlvE_clEvENKUlvE0_clEvEUlfE_EEvS5_RKT_EUlibE0_EEviT1_.uses_vcc, 1
	.set _ZN2at6native32elementwise_kernel_manual_unrollILi128ELi4EZNS0_15gpu_kernel_implIZZZNS0_12_GLOBAL__N_117hardshrink_kernelERNS_18TensorIteratorBaseERKN3c106ScalarEENKUlvE_clEvENKUlvE0_clEvEUlfE_EEvS5_RKT_EUlibE0_EEviT1_.uses_flat_scratch, 0
	.set _ZN2at6native32elementwise_kernel_manual_unrollILi128ELi4EZNS0_15gpu_kernel_implIZZZNS0_12_GLOBAL__N_117hardshrink_kernelERNS_18TensorIteratorBaseERKN3c106ScalarEENKUlvE_clEvENKUlvE0_clEvEUlfE_EEvS5_RKT_EUlibE0_EEviT1_.has_dyn_sized_stack, 0
	.set _ZN2at6native32elementwise_kernel_manual_unrollILi128ELi4EZNS0_15gpu_kernel_implIZZZNS0_12_GLOBAL__N_117hardshrink_kernelERNS_18TensorIteratorBaseERKN3c106ScalarEENKUlvE_clEvENKUlvE0_clEvEUlfE_EEvS5_RKT_EUlibE0_EEviT1_.has_recursion, 0
	.set _ZN2at6native32elementwise_kernel_manual_unrollILi128ELi4EZNS0_15gpu_kernel_implIZZZNS0_12_GLOBAL__N_117hardshrink_kernelERNS_18TensorIteratorBaseERKN3c106ScalarEENKUlvE_clEvENKUlvE0_clEvEUlfE_EEvS5_RKT_EUlibE0_EEviT1_.has_indirect_call, 0
	.section	.AMDGPU.csdata,"",@progbits
; Kernel info:
; codeLenInByte = 37636
; TotalNumSgprs: 83
; NumVgprs: 18
; ScratchSize: 0
; MemoryBound: 1
; FloatMode: 240
; IeeeMode: 1
; LDSByteSize: 0 bytes/workgroup (compile time only)
; SGPRBlocks: 10
; VGPRBlocks: 4
; NumSGPRsForWavesPerEU: 83
; NumVGPRsForWavesPerEU: 18
; Occupancy: 9
; WaveLimiterHint : 1
; COMPUTE_PGM_RSRC2:SCRATCH_EN: 0
; COMPUTE_PGM_RSRC2:USER_SGPR: 6
; COMPUTE_PGM_RSRC2:TRAP_HANDLER: 0
; COMPUTE_PGM_RSRC2:TGID_X_EN: 1
; COMPUTE_PGM_RSRC2:TGID_Y_EN: 0
; COMPUTE_PGM_RSRC2:TGID_Z_EN: 0
; COMPUTE_PGM_RSRC2:TIDIG_COMP_CNT: 0
	.section	.text._ZN2at6native29vectorized_elementwise_kernelILi16EZZZNS0_12_GLOBAL__N_117hardshrink_kernelERNS_18TensorIteratorBaseERKN3c106ScalarEENKUlvE_clEvENKUlvE1_clEvEUlNS5_4HalfEE_St5arrayIPcLm2EEEEviT0_T1_,"axG",@progbits,_ZN2at6native29vectorized_elementwise_kernelILi16EZZZNS0_12_GLOBAL__N_117hardshrink_kernelERNS_18TensorIteratorBaseERKN3c106ScalarEENKUlvE_clEvENKUlvE1_clEvEUlNS5_4HalfEE_St5arrayIPcLm2EEEEviT0_T1_,comdat
	.globl	_ZN2at6native29vectorized_elementwise_kernelILi16EZZZNS0_12_GLOBAL__N_117hardshrink_kernelERNS_18TensorIteratorBaseERKN3c106ScalarEENKUlvE_clEvENKUlvE1_clEvEUlNS5_4HalfEE_St5arrayIPcLm2EEEEviT0_T1_ ; -- Begin function _ZN2at6native29vectorized_elementwise_kernelILi16EZZZNS0_12_GLOBAL__N_117hardshrink_kernelERNS_18TensorIteratorBaseERKN3c106ScalarEENKUlvE_clEvENKUlvE1_clEvEUlNS5_4HalfEE_St5arrayIPcLm2EEEEviT0_T1_
	.p2align	8
	.type	_ZN2at6native29vectorized_elementwise_kernelILi16EZZZNS0_12_GLOBAL__N_117hardshrink_kernelERNS_18TensorIteratorBaseERKN3c106ScalarEENKUlvE_clEvENKUlvE1_clEvEUlNS5_4HalfEE_St5arrayIPcLm2EEEEviT0_T1_,@function
_ZN2at6native29vectorized_elementwise_kernelILi16EZZZNS0_12_GLOBAL__N_117hardshrink_kernelERNS_18TensorIteratorBaseERKN3c106ScalarEENKUlvE_clEvENKUlvE1_clEvEUlNS5_4HalfEE_St5arrayIPcLm2EEEEviT0_T1_: ; @_ZN2at6native29vectorized_elementwise_kernelILi16EZZZNS0_12_GLOBAL__N_117hardshrink_kernelERNS_18TensorIteratorBaseERKN3c106ScalarEENKUlvE_clEvENKUlvE1_clEvEUlNS5_4HalfEE_St5arrayIPcLm2EEEEviT0_T1_
; %bb.0:
	s_load_dwordx2 s[12:13], s[4:5], 0x0
	s_load_dwordx4 s[8:11], s[4:5], 0x8
	s_lshl_b32 s14, s6, 11
	s_mov_b64 s[0:1], -1
	s_waitcnt lgkmcnt(0)
	s_sub_i32 s12, s12, s14
	s_cmpk_gt_i32 s12, 0x7ff
	s_cbranch_scc0 .LBB16_2
; %bb.1:
	s_ashr_i32 s15, s14, 31
	s_lshl_b64 s[0:1], s[14:15], 1
	s_add_u32 s2, s10, s0
	s_addc_u32 s3, s11, s1
	v_lshlrev_b32_e32 v5, 4, v0
	global_load_dwordx4 v[1:4], v5, s[2:3]
	s_add_u32 s16, s8, s0
	s_addc_u32 s17, s9, s1
	s_mov_b32 s15, 0x5040100
	s_waitcnt vmcnt(0)
	v_cmp_nle_f16_e64 s[18:19], -s13, v1
	v_cmp_nge_f16_e32 vcc, s13, v1
	v_cmp_nle_f16_e64 s[20:21], -s13, v2
	v_lshrrev_b32_e32 v7, 16, v2
	v_cmp_nge_f16_e64 s[0:1], s13, v2
	s_or_b64 vcc, s[18:19], vcc
	v_lshrrev_b32_e32 v6, 16, v1
	v_cmp_nle_f16_e64 s[22:23], -s13, v3
	v_lshrrev_b32_e32 v8, 16, v3
	v_cmp_nge_f16_e64 s[2:3], s13, v3
	v_cndmask_b32_e32 v1, 0, v1, vcc
	v_cmp_nle_f16_e64 s[18:19], -s13, v7
	v_cmp_nge_f16_e32 vcc, s13, v7
	s_or_b64 s[0:1], s[20:21], s[0:1]
	v_cmp_nle_f16_e64 s[24:25], -s13, v4
	v_lshrrev_b32_e32 v9, 16, v4
	v_cmp_nge_f16_e64 s[4:5], s13, v4
	v_cndmask_b32_e64 v2, 0, v2, s[0:1]
	v_cmp_nle_f16_e64 s[20:21], -s13, v8
	v_cmp_nge_f16_e64 s[0:1], s13, v8
	s_or_b64 s[2:3], s[22:23], s[2:3]
	s_or_b64 vcc, s[18:19], vcc
	v_cmp_nle_f16_e64 s[26:27], -s13, v6
	v_cmp_nge_f16_e64 s[6:7], s13, v6
	v_cndmask_b32_e64 v3, 0, v3, s[2:3]
	v_cmp_nle_f16_e64 s[22:23], -s13, v9
	v_cmp_nge_f16_e64 s[2:3], s13, v9
	s_or_b64 s[4:5], s[24:25], s[4:5]
	v_cndmask_b32_e32 v7, 0, v7, vcc
	s_or_b64 vcc, s[20:21], s[0:1]
	v_cndmask_b32_e64 v4, 0, v4, s[4:5]
	s_or_b64 s[4:5], s[26:27], s[6:7]
	v_cndmask_b32_e32 v8, 0, v8, vcc
	s_or_b64 vcc, s[22:23], s[2:3]
	v_cndmask_b32_e64 v6, 0, v6, s[4:5]
	v_cndmask_b32_e32 v9, 0, v9, vcc
	v_perm_b32 v4, v9, v4, s15
	v_perm_b32 v3, v8, v3, s15
	;; [unrolled: 1-line block ×4, first 2 shown]
	global_store_dwordx4 v5, v[1:4], s[16:17]
	s_mov_b64 s[0:1], 0
.LBB16_2:
	s_andn2_b64 vcc, exec, s[0:1]
	s_cbranch_vccnz .LBB16_27
; %bb.3:
	v_cmp_gt_i32_e32 vcc, s12, v0
	v_mov_b32_e32 v3, 0
	v_or_b32_e32 v1, s14, v0
	v_mov_b32_e32 v7, 0
	v_mov_b32_e32 v2, v0
	s_and_saveexec_b64 s[2:3], vcc
	s_cbranch_execz .LBB16_5
; %bb.4:
	v_mov_b32_e32 v2, 0
	v_lshlrev_b64 v[4:5], 1, v[1:2]
	v_mov_b32_e32 v2, s11
	v_add_co_u32_e64 v4, s[0:1], s10, v4
	v_addc_co_u32_e64 v5, s[0:1], v2, v5, s[0:1]
	global_load_ushort v7, v[4:5], off
	v_or_b32_e32 v2, 0x100, v0
.LBB16_5:
	s_or_b64 exec, exec, s[2:3]
	v_cmp_gt_i32_e64 s[0:1], s12, v2
	s_and_saveexec_b64 s[2:3], s[0:1]
	s_cbranch_execz .LBB16_7
; %bb.6:
	v_add_u32_e32 v3, s14, v2
	v_mov_b32_e32 v4, 0
	v_lshlrev_b64 v[3:4], 1, v[3:4]
	v_mov_b32_e32 v5, s11
	v_add_co_u32_e64 v3, s[0:1], s10, v3
	v_addc_co_u32_e64 v4, s[0:1], v5, v4, s[0:1]
	global_load_ushort v3, v[3:4], off
	v_add_u32_e32 v2, 0x100, v2
.LBB16_7:
	s_or_b64 exec, exec, s[2:3]
	v_cmp_gt_i32_e64 s[0:1], s12, v2
	v_mov_b32_e32 v4, 0
	v_mov_b32_e32 v8, 0
	s_and_saveexec_b64 s[2:3], s[0:1]
	s_cbranch_execz .LBB16_9
; %bb.8:
	v_add_u32_e32 v5, s14, v2
	v_mov_b32_e32 v6, 0
	v_lshlrev_b64 v[5:6], 1, v[5:6]
	v_mov_b32_e32 v8, s11
	v_add_co_u32_e64 v5, s[0:1], s10, v5
	v_addc_co_u32_e64 v6, s[0:1], v8, v6, s[0:1]
	global_load_ushort v8, v[5:6], off
	v_add_u32_e32 v2, 0x100, v2
.LBB16_9:
	s_or_b64 exec, exec, s[2:3]
	v_cmp_gt_i32_e64 s[0:1], s12, v2
	s_and_saveexec_b64 s[2:3], s[0:1]
	s_cbranch_execz .LBB16_11
; %bb.10:
	v_add_u32_e32 v4, s14, v2
	v_mov_b32_e32 v5, 0
	v_lshlrev_b64 v[4:5], 1, v[4:5]
	v_mov_b32_e32 v6, s11
	v_add_co_u32_e64 v4, s[0:1], s10, v4
	v_addc_co_u32_e64 v5, s[0:1], v6, v5, s[0:1]
	global_load_ushort v4, v[4:5], off
	v_add_u32_e32 v2, 0x100, v2
.LBB16_11:
	s_or_b64 exec, exec, s[2:3]
	v_cmp_gt_i32_e64 s[0:1], s12, v2
	v_mov_b32_e32 v5, 0
	v_mov_b32_e32 v9, 0
	s_and_saveexec_b64 s[2:3], s[0:1]
	s_cbranch_execz .LBB16_13
; %bb.12:
	v_add_u32_e32 v9, s14, v2
	v_mov_b32_e32 v10, 0
	v_lshlrev_b64 v[9:10], 1, v[9:10]
	v_mov_b32_e32 v6, s11
	v_add_co_u32_e64 v9, s[0:1], s10, v9
	v_addc_co_u32_e64 v10, s[0:1], v6, v10, s[0:1]
	global_load_ushort v9, v[9:10], off
	v_add_u32_e32 v2, 0x100, v2
.LBB16_13:
	s_or_b64 exec, exec, s[2:3]
	v_cmp_gt_i32_e64 s[0:1], s12, v2
	s_and_saveexec_b64 s[2:3], s[0:1]
	s_cbranch_execz .LBB16_15
; %bb.14:
	v_add_u32_e32 v5, s14, v2
	v_mov_b32_e32 v6, 0
	v_lshlrev_b64 v[5:6], 1, v[5:6]
	v_mov_b32_e32 v10, s11
	v_add_co_u32_e64 v5, s[0:1], s10, v5
	v_addc_co_u32_e64 v6, s[0:1], v10, v6, s[0:1]
	global_load_ushort v5, v[5:6], off
	v_add_u32_e32 v2, 0x100, v2
.LBB16_15:
	s_or_b64 exec, exec, s[2:3]
	v_cmp_gt_i32_e64 s[0:1], s12, v2
	v_mov_b32_e32 v6, 0
	v_mov_b32_e32 v10, 0
	s_and_saveexec_b64 s[2:3], s[0:1]
	s_cbranch_execnz .LBB16_28
; %bb.16:
	s_or_b64 exec, exec, s[2:3]
	v_cmp_gt_i32_e64 s[0:1], s12, v2
	s_and_saveexec_b64 s[2:3], s[0:1]
	s_cbranch_execnz .LBB16_29
.LBB16_17:
	s_or_b64 exec, exec, s[2:3]
	s_and_saveexec_b64 s[0:1], vcc
	s_cbranch_execz .LBB16_19
.LBB16_18:
	v_mov_b32_e32 v2, 0
	v_lshlrev_b64 v[1:2], 1, v[1:2]
	v_mov_b32_e32 v11, s9
	v_add_co_u32_e32 v1, vcc, s8, v1
	v_addc_co_u32_e32 v2, vcc, v11, v2, vcc
	s_waitcnt vmcnt(0)
	v_cmp_nge_f16_e64 s[2:3], v7, -s13
	v_cmp_nge_f16_e32 vcc, s13, v7
	s_or_b64 vcc, s[2:3], vcc
	v_or_b32_e32 v0, 0x100, v0
	v_cndmask_b32_e32 v7, 0, v7, vcc
	global_store_short v[1:2], v7, off
.LBB16_19:
	s_or_b64 exec, exec, s[0:1]
	s_xor_b32 s4, s13, 0x8000
	v_cmp_gt_i32_e32 vcc, s12, v0
	s_and_saveexec_b64 s[2:3], vcc
	s_cbranch_execnz .LBB16_30
; %bb.20:
	s_or_b64 exec, exec, s[2:3]
	v_cmp_gt_i32_e32 vcc, s12, v0
	s_and_saveexec_b64 s[2:3], vcc
	s_cbranch_execnz .LBB16_31
.LBB16_21:
	s_or_b64 exec, exec, s[2:3]
	v_cmp_gt_i32_e32 vcc, s12, v0
	s_and_saveexec_b64 s[2:3], vcc
	s_cbranch_execnz .LBB16_32
.LBB16_22:
	s_or_b64 exec, exec, s[2:3]
	v_cmp_gt_i32_e32 vcc, s12, v0
	s_and_saveexec_b64 s[2:3], vcc
	s_cbranch_execnz .LBB16_33
.LBB16_23:
	s_or_b64 exec, exec, s[2:3]
	v_cmp_gt_i32_e32 vcc, s12, v0
	s_and_saveexec_b64 s[2:3], vcc
	s_cbranch_execnz .LBB16_34
.LBB16_24:
	s_or_b64 exec, exec, s[2:3]
	v_cmp_gt_i32_e32 vcc, s12, v0
	s_and_saveexec_b64 s[2:3], vcc
	s_cbranch_execnz .LBB16_35
.LBB16_25:
	s_or_b64 exec, exec, s[2:3]
	v_cmp_gt_i32_e32 vcc, s12, v0
	s_and_saveexec_b64 s[0:1], vcc
	s_cbranch_execz .LBB16_27
.LBB16_26:
	v_add_u32_e32 v0, s14, v0
	v_mov_b32_e32 v1, 0
	s_waitcnt vmcnt(0)
	v_cmp_nle_f16_e32 vcc, s4, v6
	v_cmp_nge_f16_e64 s[0:1], s13, v6
	v_lshlrev_b64 v[0:1], 1, v[0:1]
	s_or_b64 vcc, vcc, s[0:1]
	v_cndmask_b32_e32 v2, 0, v6, vcc
	v_mov_b32_e32 v3, s9
	v_add_co_u32_e32 v0, vcc, s8, v0
	v_addc_co_u32_e32 v1, vcc, v3, v1, vcc
	global_store_short v[0:1], v2, off
.LBB16_27:
	s_endpgm
.LBB16_28:
	v_add_u32_e32 v10, s14, v2
	v_mov_b32_e32 v11, 0
	v_lshlrev_b64 v[10:11], 1, v[10:11]
	v_mov_b32_e32 v12, s11
	v_add_co_u32_e64 v10, s[0:1], s10, v10
	v_addc_co_u32_e64 v11, s[0:1], v12, v11, s[0:1]
	global_load_ushort v10, v[10:11], off
	v_add_u32_e32 v2, 0x100, v2
	s_or_b64 exec, exec, s[2:3]
	v_cmp_gt_i32_e64 s[0:1], s12, v2
	s_and_saveexec_b64 s[2:3], s[0:1]
	s_cbranch_execz .LBB16_17
.LBB16_29:
	v_add_u32_e32 v11, s14, v2
	v_mov_b32_e32 v12, 0
	v_lshlrev_b64 v[11:12], 1, v[11:12]
	v_mov_b32_e32 v2, s11
	v_add_co_u32_e64 v11, s[0:1], s10, v11
	v_addc_co_u32_e64 v12, s[0:1], v2, v12, s[0:1]
	global_load_ushort v6, v[11:12], off
	s_or_b64 exec, exec, s[2:3]
	s_and_saveexec_b64 s[0:1], vcc
	s_cbranch_execnz .LBB16_18
	s_branch .LBB16_19
.LBB16_30:
	v_add_u32_e32 v1, s14, v0
	v_mov_b32_e32 v2, 0
	s_waitcnt vmcnt(0)
	v_cmp_nle_f16_e32 vcc, s4, v3
	v_cmp_nge_f16_e64 s[0:1], s13, v3
	v_lshlrev_b64 v[1:2], 1, v[1:2]
	s_or_b64 vcc, vcc, s[0:1]
	v_cndmask_b32_e32 v3, 0, v3, vcc
	v_mov_b32_e32 v7, s9
	v_add_co_u32_e32 v1, vcc, s8, v1
	v_addc_co_u32_e32 v2, vcc, v7, v2, vcc
	v_add_u32_e32 v0, 0x100, v0
	global_store_short v[1:2], v3, off
	s_or_b64 exec, exec, s[2:3]
	v_cmp_gt_i32_e32 vcc, s12, v0
	s_and_saveexec_b64 s[2:3], vcc
	s_cbranch_execz .LBB16_21
.LBB16_31:
	v_add_u32_e32 v1, s14, v0
	v_mov_b32_e32 v2, 0
	s_waitcnt vmcnt(0)
	v_cmp_nle_f16_e32 vcc, s4, v8
	v_cmp_nge_f16_e64 s[0:1], s13, v8
	v_lshlrev_b64 v[1:2], 1, v[1:2]
	s_or_b64 vcc, vcc, s[0:1]
	v_cndmask_b32_e32 v3, 0, v8, vcc
	v_mov_b32_e32 v7, s9
	v_add_co_u32_e32 v1, vcc, s8, v1
	v_addc_co_u32_e32 v2, vcc, v7, v2, vcc
	v_add_u32_e32 v0, 0x100, v0
	global_store_short v[1:2], v3, off
	s_or_b64 exec, exec, s[2:3]
	v_cmp_gt_i32_e32 vcc, s12, v0
	s_and_saveexec_b64 s[2:3], vcc
	s_cbranch_execz .LBB16_22
.LBB16_32:
	v_add_u32_e32 v1, s14, v0
	v_mov_b32_e32 v2, 0
	s_waitcnt vmcnt(0)
	v_cmp_nle_f16_e32 vcc, s4, v4
	v_cmp_nge_f16_e64 s[0:1], s13, v4
	v_lshlrev_b64 v[1:2], 1, v[1:2]
	s_or_b64 vcc, vcc, s[0:1]
	v_cndmask_b32_e32 v3, 0, v4, vcc
	v_mov_b32_e32 v4, s9
	v_add_co_u32_e32 v1, vcc, s8, v1
	v_addc_co_u32_e32 v2, vcc, v4, v2, vcc
	v_add_u32_e32 v0, 0x100, v0
	global_store_short v[1:2], v3, off
	s_or_b64 exec, exec, s[2:3]
	v_cmp_gt_i32_e32 vcc, s12, v0
	s_and_saveexec_b64 s[2:3], vcc
	s_cbranch_execz .LBB16_23
.LBB16_33:
	v_add_u32_e32 v1, s14, v0
	v_mov_b32_e32 v2, 0
	s_waitcnt vmcnt(0)
	v_cmp_nle_f16_e32 vcc, s4, v9
	v_cmp_nge_f16_e64 s[0:1], s13, v9
	v_lshlrev_b64 v[1:2], 1, v[1:2]
	s_or_b64 vcc, vcc, s[0:1]
	v_cndmask_b32_e32 v3, 0, v9, vcc
	v_mov_b32_e32 v4, s9
	v_add_co_u32_e32 v1, vcc, s8, v1
	v_addc_co_u32_e32 v2, vcc, v4, v2, vcc
	v_add_u32_e32 v0, 0x100, v0
	global_store_short v[1:2], v3, off
	s_or_b64 exec, exec, s[2:3]
	v_cmp_gt_i32_e32 vcc, s12, v0
	s_and_saveexec_b64 s[2:3], vcc
	s_cbranch_execz .LBB16_24
.LBB16_34:
	v_add_u32_e32 v1, s14, v0
	v_mov_b32_e32 v2, 0
	s_waitcnt vmcnt(0)
	v_cmp_nle_f16_e32 vcc, s4, v5
	v_cmp_nge_f16_e64 s[0:1], s13, v5
	v_lshlrev_b64 v[1:2], 1, v[1:2]
	s_or_b64 vcc, vcc, s[0:1]
	v_cndmask_b32_e32 v3, 0, v5, vcc
	v_mov_b32_e32 v4, s9
	v_add_co_u32_e32 v1, vcc, s8, v1
	v_addc_co_u32_e32 v2, vcc, v4, v2, vcc
	v_add_u32_e32 v0, 0x100, v0
	global_store_short v[1:2], v3, off
	s_or_b64 exec, exec, s[2:3]
	v_cmp_gt_i32_e32 vcc, s12, v0
	s_and_saveexec_b64 s[2:3], vcc
	s_cbranch_execz .LBB16_25
.LBB16_35:
	v_add_u32_e32 v1, s14, v0
	v_mov_b32_e32 v2, 0
	s_waitcnt vmcnt(0)
	v_cmp_nle_f16_e32 vcc, s4, v10
	v_cmp_nge_f16_e64 s[0:1], s13, v10
	v_lshlrev_b64 v[1:2], 1, v[1:2]
	s_or_b64 vcc, vcc, s[0:1]
	v_cndmask_b32_e32 v3, 0, v10, vcc
	v_mov_b32_e32 v4, s9
	v_add_co_u32_e32 v1, vcc, s8, v1
	v_addc_co_u32_e32 v2, vcc, v4, v2, vcc
	v_add_u32_e32 v0, 0x100, v0
	global_store_short v[1:2], v3, off
	s_or_b64 exec, exec, s[2:3]
	v_cmp_gt_i32_e32 vcc, s12, v0
	s_and_saveexec_b64 s[0:1], vcc
	s_cbranch_execnz .LBB16_26
	s_branch .LBB16_27
	.section	.rodata,"a",@progbits
	.p2align	6, 0x0
	.amdhsa_kernel _ZN2at6native29vectorized_elementwise_kernelILi16EZZZNS0_12_GLOBAL__N_117hardshrink_kernelERNS_18TensorIteratorBaseERKN3c106ScalarEENKUlvE_clEvENKUlvE1_clEvEUlNS5_4HalfEE_St5arrayIPcLm2EEEEviT0_T1_
		.amdhsa_group_segment_fixed_size 0
		.amdhsa_private_segment_fixed_size 0
		.amdhsa_kernarg_size 24
		.amdhsa_user_sgpr_count 6
		.amdhsa_user_sgpr_private_segment_buffer 1
		.amdhsa_user_sgpr_dispatch_ptr 0
		.amdhsa_user_sgpr_queue_ptr 0
		.amdhsa_user_sgpr_kernarg_segment_ptr 1
		.amdhsa_user_sgpr_dispatch_id 0
		.amdhsa_user_sgpr_flat_scratch_init 0
		.amdhsa_user_sgpr_private_segment_size 0
		.amdhsa_uses_dynamic_stack 0
		.amdhsa_system_sgpr_private_segment_wavefront_offset 0
		.amdhsa_system_sgpr_workgroup_id_x 1
		.amdhsa_system_sgpr_workgroup_id_y 0
		.amdhsa_system_sgpr_workgroup_id_z 0
		.amdhsa_system_sgpr_workgroup_info 0
		.amdhsa_system_vgpr_workitem_id 0
		.amdhsa_next_free_vgpr 13
		.amdhsa_next_free_sgpr 28
		.amdhsa_reserve_vcc 1
		.amdhsa_reserve_flat_scratch 0
		.amdhsa_float_round_mode_32 0
		.amdhsa_float_round_mode_16_64 0
		.amdhsa_float_denorm_mode_32 3
		.amdhsa_float_denorm_mode_16_64 3
		.amdhsa_dx10_clamp 1
		.amdhsa_ieee_mode 1
		.amdhsa_fp16_overflow 0
		.amdhsa_exception_fp_ieee_invalid_op 0
		.amdhsa_exception_fp_denorm_src 0
		.amdhsa_exception_fp_ieee_div_zero 0
		.amdhsa_exception_fp_ieee_overflow 0
		.amdhsa_exception_fp_ieee_underflow 0
		.amdhsa_exception_fp_ieee_inexact 0
		.amdhsa_exception_int_div_zero 0
	.end_amdhsa_kernel
	.section	.text._ZN2at6native29vectorized_elementwise_kernelILi16EZZZNS0_12_GLOBAL__N_117hardshrink_kernelERNS_18TensorIteratorBaseERKN3c106ScalarEENKUlvE_clEvENKUlvE1_clEvEUlNS5_4HalfEE_St5arrayIPcLm2EEEEviT0_T1_,"axG",@progbits,_ZN2at6native29vectorized_elementwise_kernelILi16EZZZNS0_12_GLOBAL__N_117hardshrink_kernelERNS_18TensorIteratorBaseERKN3c106ScalarEENKUlvE_clEvENKUlvE1_clEvEUlNS5_4HalfEE_St5arrayIPcLm2EEEEviT0_T1_,comdat
.Lfunc_end16:
	.size	_ZN2at6native29vectorized_elementwise_kernelILi16EZZZNS0_12_GLOBAL__N_117hardshrink_kernelERNS_18TensorIteratorBaseERKN3c106ScalarEENKUlvE_clEvENKUlvE1_clEvEUlNS5_4HalfEE_St5arrayIPcLm2EEEEviT0_T1_, .Lfunc_end16-_ZN2at6native29vectorized_elementwise_kernelILi16EZZZNS0_12_GLOBAL__N_117hardshrink_kernelERNS_18TensorIteratorBaseERKN3c106ScalarEENKUlvE_clEvENKUlvE1_clEvEUlNS5_4HalfEE_St5arrayIPcLm2EEEEviT0_T1_
                                        ; -- End function
	.set _ZN2at6native29vectorized_elementwise_kernelILi16EZZZNS0_12_GLOBAL__N_117hardshrink_kernelERNS_18TensorIteratorBaseERKN3c106ScalarEENKUlvE_clEvENKUlvE1_clEvEUlNS5_4HalfEE_St5arrayIPcLm2EEEEviT0_T1_.num_vgpr, 13
	.set _ZN2at6native29vectorized_elementwise_kernelILi16EZZZNS0_12_GLOBAL__N_117hardshrink_kernelERNS_18TensorIteratorBaseERKN3c106ScalarEENKUlvE_clEvENKUlvE1_clEvEUlNS5_4HalfEE_St5arrayIPcLm2EEEEviT0_T1_.num_agpr, 0
	.set _ZN2at6native29vectorized_elementwise_kernelILi16EZZZNS0_12_GLOBAL__N_117hardshrink_kernelERNS_18TensorIteratorBaseERKN3c106ScalarEENKUlvE_clEvENKUlvE1_clEvEUlNS5_4HalfEE_St5arrayIPcLm2EEEEviT0_T1_.numbered_sgpr, 28
	.set _ZN2at6native29vectorized_elementwise_kernelILi16EZZZNS0_12_GLOBAL__N_117hardshrink_kernelERNS_18TensorIteratorBaseERKN3c106ScalarEENKUlvE_clEvENKUlvE1_clEvEUlNS5_4HalfEE_St5arrayIPcLm2EEEEviT0_T1_.num_named_barrier, 0
	.set _ZN2at6native29vectorized_elementwise_kernelILi16EZZZNS0_12_GLOBAL__N_117hardshrink_kernelERNS_18TensorIteratorBaseERKN3c106ScalarEENKUlvE_clEvENKUlvE1_clEvEUlNS5_4HalfEE_St5arrayIPcLm2EEEEviT0_T1_.private_seg_size, 0
	.set _ZN2at6native29vectorized_elementwise_kernelILi16EZZZNS0_12_GLOBAL__N_117hardshrink_kernelERNS_18TensorIteratorBaseERKN3c106ScalarEENKUlvE_clEvENKUlvE1_clEvEUlNS5_4HalfEE_St5arrayIPcLm2EEEEviT0_T1_.uses_vcc, 1
	.set _ZN2at6native29vectorized_elementwise_kernelILi16EZZZNS0_12_GLOBAL__N_117hardshrink_kernelERNS_18TensorIteratorBaseERKN3c106ScalarEENKUlvE_clEvENKUlvE1_clEvEUlNS5_4HalfEE_St5arrayIPcLm2EEEEviT0_T1_.uses_flat_scratch, 0
	.set _ZN2at6native29vectorized_elementwise_kernelILi16EZZZNS0_12_GLOBAL__N_117hardshrink_kernelERNS_18TensorIteratorBaseERKN3c106ScalarEENKUlvE_clEvENKUlvE1_clEvEUlNS5_4HalfEE_St5arrayIPcLm2EEEEviT0_T1_.has_dyn_sized_stack, 0
	.set _ZN2at6native29vectorized_elementwise_kernelILi16EZZZNS0_12_GLOBAL__N_117hardshrink_kernelERNS_18TensorIteratorBaseERKN3c106ScalarEENKUlvE_clEvENKUlvE1_clEvEUlNS5_4HalfEE_St5arrayIPcLm2EEEEviT0_T1_.has_recursion, 0
	.set _ZN2at6native29vectorized_elementwise_kernelILi16EZZZNS0_12_GLOBAL__N_117hardshrink_kernelERNS_18TensorIteratorBaseERKN3c106ScalarEENKUlvE_clEvENKUlvE1_clEvEUlNS5_4HalfEE_St5arrayIPcLm2EEEEviT0_T1_.has_indirect_call, 0
	.section	.AMDGPU.csdata,"",@progbits
; Kernel info:
; codeLenInByte = 1756
; TotalNumSgprs: 32
; NumVgprs: 13
; ScratchSize: 0
; MemoryBound: 0
; FloatMode: 240
; IeeeMode: 1
; LDSByteSize: 0 bytes/workgroup (compile time only)
; SGPRBlocks: 3
; VGPRBlocks: 3
; NumSGPRsForWavesPerEU: 32
; NumVGPRsForWavesPerEU: 13
; Occupancy: 10
; WaveLimiterHint : 0
; COMPUTE_PGM_RSRC2:SCRATCH_EN: 0
; COMPUTE_PGM_RSRC2:USER_SGPR: 6
; COMPUTE_PGM_RSRC2:TRAP_HANDLER: 0
; COMPUTE_PGM_RSRC2:TGID_X_EN: 1
; COMPUTE_PGM_RSRC2:TGID_Y_EN: 0
; COMPUTE_PGM_RSRC2:TGID_Z_EN: 0
; COMPUTE_PGM_RSRC2:TIDIG_COMP_CNT: 0
	.section	.text._ZN2at6native29vectorized_elementwise_kernelILi8EZZZNS0_12_GLOBAL__N_117hardshrink_kernelERNS_18TensorIteratorBaseERKN3c106ScalarEENKUlvE_clEvENKUlvE1_clEvEUlNS5_4HalfEE_St5arrayIPcLm2EEEEviT0_T1_,"axG",@progbits,_ZN2at6native29vectorized_elementwise_kernelILi8EZZZNS0_12_GLOBAL__N_117hardshrink_kernelERNS_18TensorIteratorBaseERKN3c106ScalarEENKUlvE_clEvENKUlvE1_clEvEUlNS5_4HalfEE_St5arrayIPcLm2EEEEviT0_T1_,comdat
	.globl	_ZN2at6native29vectorized_elementwise_kernelILi8EZZZNS0_12_GLOBAL__N_117hardshrink_kernelERNS_18TensorIteratorBaseERKN3c106ScalarEENKUlvE_clEvENKUlvE1_clEvEUlNS5_4HalfEE_St5arrayIPcLm2EEEEviT0_T1_ ; -- Begin function _ZN2at6native29vectorized_elementwise_kernelILi8EZZZNS0_12_GLOBAL__N_117hardshrink_kernelERNS_18TensorIteratorBaseERKN3c106ScalarEENKUlvE_clEvENKUlvE1_clEvEUlNS5_4HalfEE_St5arrayIPcLm2EEEEviT0_T1_
	.p2align	8
	.type	_ZN2at6native29vectorized_elementwise_kernelILi8EZZZNS0_12_GLOBAL__N_117hardshrink_kernelERNS_18TensorIteratorBaseERKN3c106ScalarEENKUlvE_clEvENKUlvE1_clEvEUlNS5_4HalfEE_St5arrayIPcLm2EEEEviT0_T1_,@function
_ZN2at6native29vectorized_elementwise_kernelILi8EZZZNS0_12_GLOBAL__N_117hardshrink_kernelERNS_18TensorIteratorBaseERKN3c106ScalarEENKUlvE_clEvENKUlvE1_clEvEUlNS5_4HalfEE_St5arrayIPcLm2EEEEviT0_T1_: ; @_ZN2at6native29vectorized_elementwise_kernelILi8EZZZNS0_12_GLOBAL__N_117hardshrink_kernelERNS_18TensorIteratorBaseERKN3c106ScalarEENKUlvE_clEvENKUlvE1_clEvEUlNS5_4HalfEE_St5arrayIPcLm2EEEEviT0_T1_
; %bb.0:
	s_load_dwordx2 s[12:13], s[4:5], 0x0
	s_load_dwordx4 s[8:11], s[4:5], 0x8
	s_lshl_b32 s14, s6, 11
	s_mov_b64 s[0:1], -1
	s_waitcnt lgkmcnt(0)
	s_sub_i32 s12, s12, s14
	s_cmpk_gt_i32 s12, 0x7ff
	s_cbranch_scc0 .LBB17_2
; %bb.1:
	s_ashr_i32 s15, s14, 31
	s_lshl_b64 s[0:1], s[14:15], 1
	s_add_u32 s2, s10, s0
	s_addc_u32 s3, s11, s1
	v_lshlrev_b32_e32 v5, 4, v0
	global_load_dwordx4 v[1:4], v5, s[2:3]
	s_add_u32 s16, s8, s0
	s_addc_u32 s17, s9, s1
	s_mov_b32 s15, 0x5040100
	s_waitcnt vmcnt(0)
	v_cmp_nle_f16_e64 s[18:19], -s13, v1
	v_cmp_nge_f16_e32 vcc, s13, v1
	v_cmp_nle_f16_e64 s[20:21], -s13, v2
	v_lshrrev_b32_e32 v7, 16, v2
	v_cmp_nge_f16_e64 s[0:1], s13, v2
	s_or_b64 vcc, s[18:19], vcc
	v_lshrrev_b32_e32 v6, 16, v1
	v_cmp_nle_f16_e64 s[22:23], -s13, v3
	v_lshrrev_b32_e32 v8, 16, v3
	v_cmp_nge_f16_e64 s[2:3], s13, v3
	v_cndmask_b32_e32 v1, 0, v1, vcc
	v_cmp_nle_f16_e64 s[18:19], -s13, v7
	v_cmp_nge_f16_e32 vcc, s13, v7
	s_or_b64 s[0:1], s[20:21], s[0:1]
	v_cmp_nle_f16_e64 s[24:25], -s13, v4
	v_lshrrev_b32_e32 v9, 16, v4
	v_cmp_nge_f16_e64 s[4:5], s13, v4
	v_cndmask_b32_e64 v2, 0, v2, s[0:1]
	v_cmp_nle_f16_e64 s[20:21], -s13, v8
	v_cmp_nge_f16_e64 s[0:1], s13, v8
	s_or_b64 s[2:3], s[22:23], s[2:3]
	s_or_b64 vcc, s[18:19], vcc
	v_cmp_nle_f16_e64 s[26:27], -s13, v6
	v_cmp_nge_f16_e64 s[6:7], s13, v6
	v_cndmask_b32_e64 v3, 0, v3, s[2:3]
	v_cmp_nle_f16_e64 s[22:23], -s13, v9
	v_cmp_nge_f16_e64 s[2:3], s13, v9
	s_or_b64 s[4:5], s[24:25], s[4:5]
	v_cndmask_b32_e32 v7, 0, v7, vcc
	s_or_b64 vcc, s[20:21], s[0:1]
	v_cndmask_b32_e64 v4, 0, v4, s[4:5]
	s_or_b64 s[4:5], s[26:27], s[6:7]
	v_cndmask_b32_e32 v8, 0, v8, vcc
	s_or_b64 vcc, s[22:23], s[2:3]
	v_cndmask_b32_e64 v6, 0, v6, s[4:5]
	v_cndmask_b32_e32 v9, 0, v9, vcc
	v_perm_b32 v4, v9, v4, s15
	v_perm_b32 v3, v8, v3, s15
	v_perm_b32 v2, v7, v2, s15
	v_perm_b32 v1, v6, v1, s15
	global_store_dwordx4 v5, v[1:4], s[16:17]
	s_mov_b64 s[0:1], 0
.LBB17_2:
	s_andn2_b64 vcc, exec, s[0:1]
	s_cbranch_vccnz .LBB17_27
; %bb.3:
	v_cmp_gt_i32_e32 vcc, s12, v0
	v_mov_b32_e32 v3, 0
	v_or_b32_e32 v1, s14, v0
	v_mov_b32_e32 v7, 0
	v_mov_b32_e32 v2, v0
	s_and_saveexec_b64 s[2:3], vcc
	s_cbranch_execz .LBB17_5
; %bb.4:
	v_mov_b32_e32 v2, 0
	v_lshlrev_b64 v[4:5], 1, v[1:2]
	v_mov_b32_e32 v2, s11
	v_add_co_u32_e64 v4, s[0:1], s10, v4
	v_addc_co_u32_e64 v5, s[0:1], v2, v5, s[0:1]
	global_load_ushort v7, v[4:5], off
	v_or_b32_e32 v2, 0x100, v0
.LBB17_5:
	s_or_b64 exec, exec, s[2:3]
	v_cmp_gt_i32_e64 s[0:1], s12, v2
	s_and_saveexec_b64 s[2:3], s[0:1]
	s_cbranch_execz .LBB17_7
; %bb.6:
	v_add_u32_e32 v3, s14, v2
	v_mov_b32_e32 v4, 0
	v_lshlrev_b64 v[3:4], 1, v[3:4]
	v_mov_b32_e32 v5, s11
	v_add_co_u32_e64 v3, s[0:1], s10, v3
	v_addc_co_u32_e64 v4, s[0:1], v5, v4, s[0:1]
	global_load_ushort v3, v[3:4], off
	v_add_u32_e32 v2, 0x100, v2
.LBB17_7:
	s_or_b64 exec, exec, s[2:3]
	v_cmp_gt_i32_e64 s[0:1], s12, v2
	v_mov_b32_e32 v4, 0
	v_mov_b32_e32 v8, 0
	s_and_saveexec_b64 s[2:3], s[0:1]
	s_cbranch_execz .LBB17_9
; %bb.8:
	v_add_u32_e32 v5, s14, v2
	v_mov_b32_e32 v6, 0
	v_lshlrev_b64 v[5:6], 1, v[5:6]
	v_mov_b32_e32 v8, s11
	v_add_co_u32_e64 v5, s[0:1], s10, v5
	v_addc_co_u32_e64 v6, s[0:1], v8, v6, s[0:1]
	global_load_ushort v8, v[5:6], off
	v_add_u32_e32 v2, 0x100, v2
.LBB17_9:
	s_or_b64 exec, exec, s[2:3]
	v_cmp_gt_i32_e64 s[0:1], s12, v2
	s_and_saveexec_b64 s[2:3], s[0:1]
	s_cbranch_execz .LBB17_11
; %bb.10:
	v_add_u32_e32 v4, s14, v2
	v_mov_b32_e32 v5, 0
	v_lshlrev_b64 v[4:5], 1, v[4:5]
	v_mov_b32_e32 v6, s11
	v_add_co_u32_e64 v4, s[0:1], s10, v4
	v_addc_co_u32_e64 v5, s[0:1], v6, v5, s[0:1]
	global_load_ushort v4, v[4:5], off
	v_add_u32_e32 v2, 0x100, v2
.LBB17_11:
	s_or_b64 exec, exec, s[2:3]
	v_cmp_gt_i32_e64 s[0:1], s12, v2
	v_mov_b32_e32 v5, 0
	v_mov_b32_e32 v9, 0
	s_and_saveexec_b64 s[2:3], s[0:1]
	s_cbranch_execz .LBB17_13
; %bb.12:
	v_add_u32_e32 v9, s14, v2
	v_mov_b32_e32 v10, 0
	v_lshlrev_b64 v[9:10], 1, v[9:10]
	v_mov_b32_e32 v6, s11
	v_add_co_u32_e64 v9, s[0:1], s10, v9
	v_addc_co_u32_e64 v10, s[0:1], v6, v10, s[0:1]
	global_load_ushort v9, v[9:10], off
	v_add_u32_e32 v2, 0x100, v2
.LBB17_13:
	s_or_b64 exec, exec, s[2:3]
	v_cmp_gt_i32_e64 s[0:1], s12, v2
	s_and_saveexec_b64 s[2:3], s[0:1]
	s_cbranch_execz .LBB17_15
; %bb.14:
	v_add_u32_e32 v5, s14, v2
	v_mov_b32_e32 v6, 0
	v_lshlrev_b64 v[5:6], 1, v[5:6]
	v_mov_b32_e32 v10, s11
	v_add_co_u32_e64 v5, s[0:1], s10, v5
	v_addc_co_u32_e64 v6, s[0:1], v10, v6, s[0:1]
	global_load_ushort v5, v[5:6], off
	v_add_u32_e32 v2, 0x100, v2
.LBB17_15:
	s_or_b64 exec, exec, s[2:3]
	v_cmp_gt_i32_e64 s[0:1], s12, v2
	v_mov_b32_e32 v6, 0
	v_mov_b32_e32 v10, 0
	s_and_saveexec_b64 s[2:3], s[0:1]
	s_cbranch_execnz .LBB17_28
; %bb.16:
	s_or_b64 exec, exec, s[2:3]
	v_cmp_gt_i32_e64 s[0:1], s12, v2
	s_and_saveexec_b64 s[2:3], s[0:1]
	s_cbranch_execnz .LBB17_29
.LBB17_17:
	s_or_b64 exec, exec, s[2:3]
	s_and_saveexec_b64 s[0:1], vcc
	s_cbranch_execz .LBB17_19
.LBB17_18:
	v_mov_b32_e32 v2, 0
	v_lshlrev_b64 v[1:2], 1, v[1:2]
	v_mov_b32_e32 v11, s9
	v_add_co_u32_e32 v1, vcc, s8, v1
	v_addc_co_u32_e32 v2, vcc, v11, v2, vcc
	s_waitcnt vmcnt(0)
	v_cmp_nge_f16_e64 s[2:3], v7, -s13
	v_cmp_nge_f16_e32 vcc, s13, v7
	s_or_b64 vcc, s[2:3], vcc
	v_or_b32_e32 v0, 0x100, v0
	v_cndmask_b32_e32 v7, 0, v7, vcc
	global_store_short v[1:2], v7, off
.LBB17_19:
	s_or_b64 exec, exec, s[0:1]
	s_xor_b32 s4, s13, 0x8000
	v_cmp_gt_i32_e32 vcc, s12, v0
	s_and_saveexec_b64 s[2:3], vcc
	s_cbranch_execnz .LBB17_30
; %bb.20:
	s_or_b64 exec, exec, s[2:3]
	v_cmp_gt_i32_e32 vcc, s12, v0
	s_and_saveexec_b64 s[2:3], vcc
	s_cbranch_execnz .LBB17_31
.LBB17_21:
	s_or_b64 exec, exec, s[2:3]
	v_cmp_gt_i32_e32 vcc, s12, v0
	s_and_saveexec_b64 s[2:3], vcc
	s_cbranch_execnz .LBB17_32
.LBB17_22:
	s_or_b64 exec, exec, s[2:3]
	v_cmp_gt_i32_e32 vcc, s12, v0
	s_and_saveexec_b64 s[2:3], vcc
	s_cbranch_execnz .LBB17_33
.LBB17_23:
	s_or_b64 exec, exec, s[2:3]
	v_cmp_gt_i32_e32 vcc, s12, v0
	s_and_saveexec_b64 s[2:3], vcc
	s_cbranch_execnz .LBB17_34
.LBB17_24:
	s_or_b64 exec, exec, s[2:3]
	v_cmp_gt_i32_e32 vcc, s12, v0
	s_and_saveexec_b64 s[2:3], vcc
	s_cbranch_execnz .LBB17_35
.LBB17_25:
	s_or_b64 exec, exec, s[2:3]
	v_cmp_gt_i32_e32 vcc, s12, v0
	s_and_saveexec_b64 s[0:1], vcc
	s_cbranch_execz .LBB17_27
.LBB17_26:
	v_add_u32_e32 v0, s14, v0
	v_mov_b32_e32 v1, 0
	s_waitcnt vmcnt(0)
	v_cmp_nle_f16_e32 vcc, s4, v6
	v_cmp_nge_f16_e64 s[0:1], s13, v6
	v_lshlrev_b64 v[0:1], 1, v[0:1]
	s_or_b64 vcc, vcc, s[0:1]
	v_cndmask_b32_e32 v2, 0, v6, vcc
	v_mov_b32_e32 v3, s9
	v_add_co_u32_e32 v0, vcc, s8, v0
	v_addc_co_u32_e32 v1, vcc, v3, v1, vcc
	global_store_short v[0:1], v2, off
.LBB17_27:
	s_endpgm
.LBB17_28:
	v_add_u32_e32 v10, s14, v2
	v_mov_b32_e32 v11, 0
	v_lshlrev_b64 v[10:11], 1, v[10:11]
	v_mov_b32_e32 v12, s11
	v_add_co_u32_e64 v10, s[0:1], s10, v10
	v_addc_co_u32_e64 v11, s[0:1], v12, v11, s[0:1]
	global_load_ushort v10, v[10:11], off
	v_add_u32_e32 v2, 0x100, v2
	s_or_b64 exec, exec, s[2:3]
	v_cmp_gt_i32_e64 s[0:1], s12, v2
	s_and_saveexec_b64 s[2:3], s[0:1]
	s_cbranch_execz .LBB17_17
.LBB17_29:
	v_add_u32_e32 v11, s14, v2
	v_mov_b32_e32 v12, 0
	v_lshlrev_b64 v[11:12], 1, v[11:12]
	v_mov_b32_e32 v2, s11
	v_add_co_u32_e64 v11, s[0:1], s10, v11
	v_addc_co_u32_e64 v12, s[0:1], v2, v12, s[0:1]
	global_load_ushort v6, v[11:12], off
	s_or_b64 exec, exec, s[2:3]
	s_and_saveexec_b64 s[0:1], vcc
	s_cbranch_execnz .LBB17_18
	s_branch .LBB17_19
.LBB17_30:
	v_add_u32_e32 v1, s14, v0
	v_mov_b32_e32 v2, 0
	s_waitcnt vmcnt(0)
	v_cmp_nle_f16_e32 vcc, s4, v3
	v_cmp_nge_f16_e64 s[0:1], s13, v3
	v_lshlrev_b64 v[1:2], 1, v[1:2]
	s_or_b64 vcc, vcc, s[0:1]
	v_cndmask_b32_e32 v3, 0, v3, vcc
	v_mov_b32_e32 v7, s9
	v_add_co_u32_e32 v1, vcc, s8, v1
	v_addc_co_u32_e32 v2, vcc, v7, v2, vcc
	v_add_u32_e32 v0, 0x100, v0
	global_store_short v[1:2], v3, off
	s_or_b64 exec, exec, s[2:3]
	v_cmp_gt_i32_e32 vcc, s12, v0
	s_and_saveexec_b64 s[2:3], vcc
	s_cbranch_execz .LBB17_21
.LBB17_31:
	v_add_u32_e32 v1, s14, v0
	v_mov_b32_e32 v2, 0
	s_waitcnt vmcnt(0)
	v_cmp_nle_f16_e32 vcc, s4, v8
	v_cmp_nge_f16_e64 s[0:1], s13, v8
	v_lshlrev_b64 v[1:2], 1, v[1:2]
	s_or_b64 vcc, vcc, s[0:1]
	v_cndmask_b32_e32 v3, 0, v8, vcc
	v_mov_b32_e32 v7, s9
	v_add_co_u32_e32 v1, vcc, s8, v1
	v_addc_co_u32_e32 v2, vcc, v7, v2, vcc
	v_add_u32_e32 v0, 0x100, v0
	global_store_short v[1:2], v3, off
	s_or_b64 exec, exec, s[2:3]
	v_cmp_gt_i32_e32 vcc, s12, v0
	s_and_saveexec_b64 s[2:3], vcc
	s_cbranch_execz .LBB17_22
.LBB17_32:
	v_add_u32_e32 v1, s14, v0
	v_mov_b32_e32 v2, 0
	s_waitcnt vmcnt(0)
	v_cmp_nle_f16_e32 vcc, s4, v4
	v_cmp_nge_f16_e64 s[0:1], s13, v4
	v_lshlrev_b64 v[1:2], 1, v[1:2]
	s_or_b64 vcc, vcc, s[0:1]
	v_cndmask_b32_e32 v3, 0, v4, vcc
	v_mov_b32_e32 v4, s9
	v_add_co_u32_e32 v1, vcc, s8, v1
	v_addc_co_u32_e32 v2, vcc, v4, v2, vcc
	v_add_u32_e32 v0, 0x100, v0
	global_store_short v[1:2], v3, off
	s_or_b64 exec, exec, s[2:3]
	v_cmp_gt_i32_e32 vcc, s12, v0
	s_and_saveexec_b64 s[2:3], vcc
	s_cbranch_execz .LBB17_23
.LBB17_33:
	v_add_u32_e32 v1, s14, v0
	v_mov_b32_e32 v2, 0
	s_waitcnt vmcnt(0)
	v_cmp_nle_f16_e32 vcc, s4, v9
	v_cmp_nge_f16_e64 s[0:1], s13, v9
	v_lshlrev_b64 v[1:2], 1, v[1:2]
	s_or_b64 vcc, vcc, s[0:1]
	v_cndmask_b32_e32 v3, 0, v9, vcc
	v_mov_b32_e32 v4, s9
	v_add_co_u32_e32 v1, vcc, s8, v1
	v_addc_co_u32_e32 v2, vcc, v4, v2, vcc
	v_add_u32_e32 v0, 0x100, v0
	global_store_short v[1:2], v3, off
	s_or_b64 exec, exec, s[2:3]
	v_cmp_gt_i32_e32 vcc, s12, v0
	s_and_saveexec_b64 s[2:3], vcc
	s_cbranch_execz .LBB17_24
.LBB17_34:
	v_add_u32_e32 v1, s14, v0
	v_mov_b32_e32 v2, 0
	s_waitcnt vmcnt(0)
	v_cmp_nle_f16_e32 vcc, s4, v5
	v_cmp_nge_f16_e64 s[0:1], s13, v5
	v_lshlrev_b64 v[1:2], 1, v[1:2]
	s_or_b64 vcc, vcc, s[0:1]
	v_cndmask_b32_e32 v3, 0, v5, vcc
	v_mov_b32_e32 v4, s9
	v_add_co_u32_e32 v1, vcc, s8, v1
	v_addc_co_u32_e32 v2, vcc, v4, v2, vcc
	v_add_u32_e32 v0, 0x100, v0
	global_store_short v[1:2], v3, off
	s_or_b64 exec, exec, s[2:3]
	v_cmp_gt_i32_e32 vcc, s12, v0
	s_and_saveexec_b64 s[2:3], vcc
	s_cbranch_execz .LBB17_25
.LBB17_35:
	v_add_u32_e32 v1, s14, v0
	v_mov_b32_e32 v2, 0
	s_waitcnt vmcnt(0)
	v_cmp_nle_f16_e32 vcc, s4, v10
	v_cmp_nge_f16_e64 s[0:1], s13, v10
	v_lshlrev_b64 v[1:2], 1, v[1:2]
	s_or_b64 vcc, vcc, s[0:1]
	v_cndmask_b32_e32 v3, 0, v10, vcc
	v_mov_b32_e32 v4, s9
	v_add_co_u32_e32 v1, vcc, s8, v1
	v_addc_co_u32_e32 v2, vcc, v4, v2, vcc
	v_add_u32_e32 v0, 0x100, v0
	global_store_short v[1:2], v3, off
	s_or_b64 exec, exec, s[2:3]
	v_cmp_gt_i32_e32 vcc, s12, v0
	s_and_saveexec_b64 s[0:1], vcc
	s_cbranch_execnz .LBB17_26
	s_branch .LBB17_27
	.section	.rodata,"a",@progbits
	.p2align	6, 0x0
	.amdhsa_kernel _ZN2at6native29vectorized_elementwise_kernelILi8EZZZNS0_12_GLOBAL__N_117hardshrink_kernelERNS_18TensorIteratorBaseERKN3c106ScalarEENKUlvE_clEvENKUlvE1_clEvEUlNS5_4HalfEE_St5arrayIPcLm2EEEEviT0_T1_
		.amdhsa_group_segment_fixed_size 0
		.amdhsa_private_segment_fixed_size 0
		.amdhsa_kernarg_size 24
		.amdhsa_user_sgpr_count 6
		.amdhsa_user_sgpr_private_segment_buffer 1
		.amdhsa_user_sgpr_dispatch_ptr 0
		.amdhsa_user_sgpr_queue_ptr 0
		.amdhsa_user_sgpr_kernarg_segment_ptr 1
		.amdhsa_user_sgpr_dispatch_id 0
		.amdhsa_user_sgpr_flat_scratch_init 0
		.amdhsa_user_sgpr_private_segment_size 0
		.amdhsa_uses_dynamic_stack 0
		.amdhsa_system_sgpr_private_segment_wavefront_offset 0
		.amdhsa_system_sgpr_workgroup_id_x 1
		.amdhsa_system_sgpr_workgroup_id_y 0
		.amdhsa_system_sgpr_workgroup_id_z 0
		.amdhsa_system_sgpr_workgroup_info 0
		.amdhsa_system_vgpr_workitem_id 0
		.amdhsa_next_free_vgpr 13
		.amdhsa_next_free_sgpr 28
		.amdhsa_reserve_vcc 1
		.amdhsa_reserve_flat_scratch 0
		.amdhsa_float_round_mode_32 0
		.amdhsa_float_round_mode_16_64 0
		.amdhsa_float_denorm_mode_32 3
		.amdhsa_float_denorm_mode_16_64 3
		.amdhsa_dx10_clamp 1
		.amdhsa_ieee_mode 1
		.amdhsa_fp16_overflow 0
		.amdhsa_exception_fp_ieee_invalid_op 0
		.amdhsa_exception_fp_denorm_src 0
		.amdhsa_exception_fp_ieee_div_zero 0
		.amdhsa_exception_fp_ieee_overflow 0
		.amdhsa_exception_fp_ieee_underflow 0
		.amdhsa_exception_fp_ieee_inexact 0
		.amdhsa_exception_int_div_zero 0
	.end_amdhsa_kernel
	.section	.text._ZN2at6native29vectorized_elementwise_kernelILi8EZZZNS0_12_GLOBAL__N_117hardshrink_kernelERNS_18TensorIteratorBaseERKN3c106ScalarEENKUlvE_clEvENKUlvE1_clEvEUlNS5_4HalfEE_St5arrayIPcLm2EEEEviT0_T1_,"axG",@progbits,_ZN2at6native29vectorized_elementwise_kernelILi8EZZZNS0_12_GLOBAL__N_117hardshrink_kernelERNS_18TensorIteratorBaseERKN3c106ScalarEENKUlvE_clEvENKUlvE1_clEvEUlNS5_4HalfEE_St5arrayIPcLm2EEEEviT0_T1_,comdat
.Lfunc_end17:
	.size	_ZN2at6native29vectorized_elementwise_kernelILi8EZZZNS0_12_GLOBAL__N_117hardshrink_kernelERNS_18TensorIteratorBaseERKN3c106ScalarEENKUlvE_clEvENKUlvE1_clEvEUlNS5_4HalfEE_St5arrayIPcLm2EEEEviT0_T1_, .Lfunc_end17-_ZN2at6native29vectorized_elementwise_kernelILi8EZZZNS0_12_GLOBAL__N_117hardshrink_kernelERNS_18TensorIteratorBaseERKN3c106ScalarEENKUlvE_clEvENKUlvE1_clEvEUlNS5_4HalfEE_St5arrayIPcLm2EEEEviT0_T1_
                                        ; -- End function
	.set _ZN2at6native29vectorized_elementwise_kernelILi8EZZZNS0_12_GLOBAL__N_117hardshrink_kernelERNS_18TensorIteratorBaseERKN3c106ScalarEENKUlvE_clEvENKUlvE1_clEvEUlNS5_4HalfEE_St5arrayIPcLm2EEEEviT0_T1_.num_vgpr, 13
	.set _ZN2at6native29vectorized_elementwise_kernelILi8EZZZNS0_12_GLOBAL__N_117hardshrink_kernelERNS_18TensorIteratorBaseERKN3c106ScalarEENKUlvE_clEvENKUlvE1_clEvEUlNS5_4HalfEE_St5arrayIPcLm2EEEEviT0_T1_.num_agpr, 0
	.set _ZN2at6native29vectorized_elementwise_kernelILi8EZZZNS0_12_GLOBAL__N_117hardshrink_kernelERNS_18TensorIteratorBaseERKN3c106ScalarEENKUlvE_clEvENKUlvE1_clEvEUlNS5_4HalfEE_St5arrayIPcLm2EEEEviT0_T1_.numbered_sgpr, 28
	.set _ZN2at6native29vectorized_elementwise_kernelILi8EZZZNS0_12_GLOBAL__N_117hardshrink_kernelERNS_18TensorIteratorBaseERKN3c106ScalarEENKUlvE_clEvENKUlvE1_clEvEUlNS5_4HalfEE_St5arrayIPcLm2EEEEviT0_T1_.num_named_barrier, 0
	.set _ZN2at6native29vectorized_elementwise_kernelILi8EZZZNS0_12_GLOBAL__N_117hardshrink_kernelERNS_18TensorIteratorBaseERKN3c106ScalarEENKUlvE_clEvENKUlvE1_clEvEUlNS5_4HalfEE_St5arrayIPcLm2EEEEviT0_T1_.private_seg_size, 0
	.set _ZN2at6native29vectorized_elementwise_kernelILi8EZZZNS0_12_GLOBAL__N_117hardshrink_kernelERNS_18TensorIteratorBaseERKN3c106ScalarEENKUlvE_clEvENKUlvE1_clEvEUlNS5_4HalfEE_St5arrayIPcLm2EEEEviT0_T1_.uses_vcc, 1
	.set _ZN2at6native29vectorized_elementwise_kernelILi8EZZZNS0_12_GLOBAL__N_117hardshrink_kernelERNS_18TensorIteratorBaseERKN3c106ScalarEENKUlvE_clEvENKUlvE1_clEvEUlNS5_4HalfEE_St5arrayIPcLm2EEEEviT0_T1_.uses_flat_scratch, 0
	.set _ZN2at6native29vectorized_elementwise_kernelILi8EZZZNS0_12_GLOBAL__N_117hardshrink_kernelERNS_18TensorIteratorBaseERKN3c106ScalarEENKUlvE_clEvENKUlvE1_clEvEUlNS5_4HalfEE_St5arrayIPcLm2EEEEviT0_T1_.has_dyn_sized_stack, 0
	.set _ZN2at6native29vectorized_elementwise_kernelILi8EZZZNS0_12_GLOBAL__N_117hardshrink_kernelERNS_18TensorIteratorBaseERKN3c106ScalarEENKUlvE_clEvENKUlvE1_clEvEUlNS5_4HalfEE_St5arrayIPcLm2EEEEviT0_T1_.has_recursion, 0
	.set _ZN2at6native29vectorized_elementwise_kernelILi8EZZZNS0_12_GLOBAL__N_117hardshrink_kernelERNS_18TensorIteratorBaseERKN3c106ScalarEENKUlvE_clEvENKUlvE1_clEvEUlNS5_4HalfEE_St5arrayIPcLm2EEEEviT0_T1_.has_indirect_call, 0
	.section	.AMDGPU.csdata,"",@progbits
; Kernel info:
; codeLenInByte = 1756
; TotalNumSgprs: 32
; NumVgprs: 13
; ScratchSize: 0
; MemoryBound: 0
; FloatMode: 240
; IeeeMode: 1
; LDSByteSize: 0 bytes/workgroup (compile time only)
; SGPRBlocks: 3
; VGPRBlocks: 3
; NumSGPRsForWavesPerEU: 32
; NumVGPRsForWavesPerEU: 13
; Occupancy: 10
; WaveLimiterHint : 0
; COMPUTE_PGM_RSRC2:SCRATCH_EN: 0
; COMPUTE_PGM_RSRC2:USER_SGPR: 6
; COMPUTE_PGM_RSRC2:TRAP_HANDLER: 0
; COMPUTE_PGM_RSRC2:TGID_X_EN: 1
; COMPUTE_PGM_RSRC2:TGID_Y_EN: 0
; COMPUTE_PGM_RSRC2:TGID_Z_EN: 0
; COMPUTE_PGM_RSRC2:TIDIG_COMP_CNT: 0
	.section	.text._ZN2at6native29vectorized_elementwise_kernelILi4EZZZNS0_12_GLOBAL__N_117hardshrink_kernelERNS_18TensorIteratorBaseERKN3c106ScalarEENKUlvE_clEvENKUlvE1_clEvEUlNS5_4HalfEE_St5arrayIPcLm2EEEEviT0_T1_,"axG",@progbits,_ZN2at6native29vectorized_elementwise_kernelILi4EZZZNS0_12_GLOBAL__N_117hardshrink_kernelERNS_18TensorIteratorBaseERKN3c106ScalarEENKUlvE_clEvENKUlvE1_clEvEUlNS5_4HalfEE_St5arrayIPcLm2EEEEviT0_T1_,comdat
	.globl	_ZN2at6native29vectorized_elementwise_kernelILi4EZZZNS0_12_GLOBAL__N_117hardshrink_kernelERNS_18TensorIteratorBaseERKN3c106ScalarEENKUlvE_clEvENKUlvE1_clEvEUlNS5_4HalfEE_St5arrayIPcLm2EEEEviT0_T1_ ; -- Begin function _ZN2at6native29vectorized_elementwise_kernelILi4EZZZNS0_12_GLOBAL__N_117hardshrink_kernelERNS_18TensorIteratorBaseERKN3c106ScalarEENKUlvE_clEvENKUlvE1_clEvEUlNS5_4HalfEE_St5arrayIPcLm2EEEEviT0_T1_
	.p2align	8
	.type	_ZN2at6native29vectorized_elementwise_kernelILi4EZZZNS0_12_GLOBAL__N_117hardshrink_kernelERNS_18TensorIteratorBaseERKN3c106ScalarEENKUlvE_clEvENKUlvE1_clEvEUlNS5_4HalfEE_St5arrayIPcLm2EEEEviT0_T1_,@function
_ZN2at6native29vectorized_elementwise_kernelILi4EZZZNS0_12_GLOBAL__N_117hardshrink_kernelERNS_18TensorIteratorBaseERKN3c106ScalarEENKUlvE_clEvENKUlvE1_clEvEUlNS5_4HalfEE_St5arrayIPcLm2EEEEviT0_T1_: ; @_ZN2at6native29vectorized_elementwise_kernelILi4EZZZNS0_12_GLOBAL__N_117hardshrink_kernelERNS_18TensorIteratorBaseERKN3c106ScalarEENKUlvE_clEvENKUlvE1_clEvEUlNS5_4HalfEE_St5arrayIPcLm2EEEEviT0_T1_
; %bb.0:
	s_load_dwordx2 s[12:13], s[4:5], 0x0
	s_load_dwordx4 s[8:11], s[4:5], 0x8
	s_lshl_b32 s14, s6, 11
	s_mov_b64 s[0:1], -1
	s_waitcnt lgkmcnt(0)
	s_sub_i32 s12, s12, s14
	s_cmpk_gt_i32 s12, 0x7ff
	s_cbranch_scc0 .LBB18_2
; %bb.1:
	s_ashr_i32 s15, s14, 31
	s_lshl_b64 s[16:17], s[14:15], 1
	s_add_u32 s0, s10, s16
	s_addc_u32 s1, s11, s17
	v_lshlrev_b32_e32 v5, 3, v0
	global_load_dwordx2 v[1:2], v5, s[0:1]
	global_load_dwordx2 v[3:4], v5, s[0:1] offset:2048
	s_waitcnt vmcnt(1)
	v_cmp_nge_f16_e64 s[18:19], v1, -s13
	v_cmp_nge_f16_e32 vcc, s13, v1
	v_cmp_nge_f16_sdwa s[6:7], v1, -s13 src0_sel:WORD_1 src1_sel:DWORD
	v_cmp_nle_f16_sdwa s[20:21], v1, s13 src0_sel:WORD_1 src1_sel:DWORD
	v_and_b32_e32 v6, 0xffff0000, v1
	v_and_b32_e32 v1, 0xffff, v1
	v_cmp_nge_f16_e64 s[22:23], v2, -s13
	v_cmp_nge_f16_e64 s[0:1], s13, v2
	s_or_b64 vcc, s[18:19], vcc
	v_and_b32_e32 v7, 0xffff, v2
	v_cmp_nge_f16_sdwa s[24:25], v2, -s13 src0_sel:WORD_1 src1_sel:DWORD
	v_cmp_nle_f16_sdwa s[26:27], v2, s13 src0_sel:WORD_1 src1_sel:DWORD
	v_cndmask_b32_e32 v1, 0, v1, vcc
	s_or_b64 vcc, s[22:23], s[0:1]
	v_and_b32_e32 v2, 0xffff0000, v2
	s_waitcnt vmcnt(0)
	v_cmp_nge_f16_sdwa s[30:31], v3, -s13 src0_sel:WORD_1 src1_sel:DWORD
	v_cmp_nle_f16_sdwa s[34:35], v3, s13 src0_sel:WORD_1 src1_sel:DWORD
	v_cndmask_b32_e32 v7, 0, v7, vcc
	s_or_b64 vcc, s[24:25], s[26:27]
	v_cmp_nge_f16_e64 s[28:29], v3, -s13
	v_cmp_nge_f16_e64 s[2:3], s13, v3
	v_and_b32_e32 v8, 0xffff0000, v3
	v_cndmask_b32_e32 v2, 0, v2, vcc
	s_or_b64 vcc, s[30:31], s[34:35]
	v_and_b32_e32 v3, 0xffff, v3
	v_cmp_nge_f16_e64 s[36:37], v4, -s13
	v_cmp_nge_f16_e64 s[4:5], s13, v4
	v_cndmask_b32_e32 v8, 0, v8, vcc
	s_or_b64 vcc, s[28:29], s[2:3]
	v_and_b32_e32 v9, 0xffff, v4
	v_cmp_nge_f16_sdwa s[38:39], v4, -s13 src0_sel:WORD_1 src1_sel:DWORD
	v_cmp_nle_f16_sdwa s[40:41], v4, s13 src0_sel:WORD_1 src1_sel:DWORD
	s_or_b64 s[6:7], s[6:7], s[20:21]
	v_cndmask_b32_e32 v3, 0, v3, vcc
	s_or_b64 vcc, s[36:37], s[4:5]
	v_cndmask_b32_e64 v6, 0, v6, s[6:7]
	v_cndmask_b32_e32 v9, 0, v9, vcc
	s_or_b64 vcc, s[38:39], s[40:41]
	v_and_b32_e32 v4, 0xffff0000, v4
	v_or_b32_e32 v1, v6, v1
	s_add_u32 s0, s8, s16
	v_cndmask_b32_e32 v4, 0, v4, vcc
	v_or3_b32 v2, 0, v7, v2
	v_or_b32_e32 v3, v8, v3
	v_or3_b32 v1, v1, 0, 0
	s_addc_u32 s1, s9, s17
	v_or3_b32 v4, 0, v9, v4
	v_or3_b32 v3, v3, 0, 0
	global_store_dwordx2 v5, v[1:2], s[0:1]
	global_store_dwordx2 v5, v[3:4], s[0:1] offset:2048
	s_mov_b64 s[0:1], 0
.LBB18_2:
	s_andn2_b64 vcc, exec, s[0:1]
	s_cbranch_vccnz .LBB18_27
; %bb.3:
	v_cmp_gt_i32_e32 vcc, s12, v0
	v_mov_b32_e32 v3, 0
	v_or_b32_e32 v1, s14, v0
	v_mov_b32_e32 v7, 0
	v_mov_b32_e32 v2, v0
	s_and_saveexec_b64 s[2:3], vcc
	s_cbranch_execz .LBB18_5
; %bb.4:
	v_mov_b32_e32 v2, 0
	v_lshlrev_b64 v[4:5], 1, v[1:2]
	v_mov_b32_e32 v2, s11
	v_add_co_u32_e64 v4, s[0:1], s10, v4
	v_addc_co_u32_e64 v5, s[0:1], v2, v5, s[0:1]
	global_load_ushort v7, v[4:5], off
	v_or_b32_e32 v2, 0x100, v0
.LBB18_5:
	s_or_b64 exec, exec, s[2:3]
	v_cmp_gt_i32_e64 s[0:1], s12, v2
	s_and_saveexec_b64 s[2:3], s[0:1]
	s_cbranch_execz .LBB18_7
; %bb.6:
	v_add_u32_e32 v3, s14, v2
	v_mov_b32_e32 v4, 0
	v_lshlrev_b64 v[3:4], 1, v[3:4]
	v_mov_b32_e32 v5, s11
	v_add_co_u32_e64 v3, s[0:1], s10, v3
	v_addc_co_u32_e64 v4, s[0:1], v5, v4, s[0:1]
	global_load_ushort v3, v[3:4], off
	v_add_u32_e32 v2, 0x100, v2
.LBB18_7:
	s_or_b64 exec, exec, s[2:3]
	v_cmp_gt_i32_e64 s[0:1], s12, v2
	v_mov_b32_e32 v4, 0
	v_mov_b32_e32 v8, 0
	s_and_saveexec_b64 s[2:3], s[0:1]
	s_cbranch_execz .LBB18_9
; %bb.8:
	v_add_u32_e32 v5, s14, v2
	v_mov_b32_e32 v6, 0
	v_lshlrev_b64 v[5:6], 1, v[5:6]
	v_mov_b32_e32 v8, s11
	v_add_co_u32_e64 v5, s[0:1], s10, v5
	v_addc_co_u32_e64 v6, s[0:1], v8, v6, s[0:1]
	global_load_ushort v8, v[5:6], off
	v_add_u32_e32 v2, 0x100, v2
.LBB18_9:
	s_or_b64 exec, exec, s[2:3]
	v_cmp_gt_i32_e64 s[0:1], s12, v2
	s_and_saveexec_b64 s[2:3], s[0:1]
	s_cbranch_execz .LBB18_11
; %bb.10:
	v_add_u32_e32 v4, s14, v2
	v_mov_b32_e32 v5, 0
	v_lshlrev_b64 v[4:5], 1, v[4:5]
	v_mov_b32_e32 v6, s11
	v_add_co_u32_e64 v4, s[0:1], s10, v4
	v_addc_co_u32_e64 v5, s[0:1], v6, v5, s[0:1]
	global_load_ushort v4, v[4:5], off
	v_add_u32_e32 v2, 0x100, v2
.LBB18_11:
	s_or_b64 exec, exec, s[2:3]
	v_cmp_gt_i32_e64 s[0:1], s12, v2
	v_mov_b32_e32 v5, 0
	v_mov_b32_e32 v9, 0
	s_and_saveexec_b64 s[2:3], s[0:1]
	s_cbranch_execz .LBB18_13
; %bb.12:
	v_add_u32_e32 v9, s14, v2
	v_mov_b32_e32 v10, 0
	v_lshlrev_b64 v[9:10], 1, v[9:10]
	v_mov_b32_e32 v6, s11
	v_add_co_u32_e64 v9, s[0:1], s10, v9
	v_addc_co_u32_e64 v10, s[0:1], v6, v10, s[0:1]
	global_load_ushort v9, v[9:10], off
	v_add_u32_e32 v2, 0x100, v2
.LBB18_13:
	s_or_b64 exec, exec, s[2:3]
	v_cmp_gt_i32_e64 s[0:1], s12, v2
	s_and_saveexec_b64 s[2:3], s[0:1]
	s_cbranch_execz .LBB18_15
; %bb.14:
	v_add_u32_e32 v5, s14, v2
	v_mov_b32_e32 v6, 0
	v_lshlrev_b64 v[5:6], 1, v[5:6]
	v_mov_b32_e32 v10, s11
	v_add_co_u32_e64 v5, s[0:1], s10, v5
	v_addc_co_u32_e64 v6, s[0:1], v10, v6, s[0:1]
	global_load_ushort v5, v[5:6], off
	v_add_u32_e32 v2, 0x100, v2
.LBB18_15:
	s_or_b64 exec, exec, s[2:3]
	v_cmp_gt_i32_e64 s[0:1], s12, v2
	v_mov_b32_e32 v6, 0
	v_mov_b32_e32 v10, 0
	s_and_saveexec_b64 s[2:3], s[0:1]
	s_cbranch_execnz .LBB18_28
; %bb.16:
	s_or_b64 exec, exec, s[2:3]
	v_cmp_gt_i32_e64 s[0:1], s12, v2
	s_and_saveexec_b64 s[2:3], s[0:1]
	s_cbranch_execnz .LBB18_29
.LBB18_17:
	s_or_b64 exec, exec, s[2:3]
	s_and_saveexec_b64 s[0:1], vcc
	s_cbranch_execz .LBB18_19
.LBB18_18:
	v_mov_b32_e32 v2, 0
	v_lshlrev_b64 v[1:2], 1, v[1:2]
	v_mov_b32_e32 v11, s9
	v_add_co_u32_e32 v1, vcc, s8, v1
	v_addc_co_u32_e32 v2, vcc, v11, v2, vcc
	s_waitcnt vmcnt(0)
	v_cmp_nge_f16_e64 s[2:3], v7, -s13
	v_cmp_nge_f16_e32 vcc, s13, v7
	s_or_b64 vcc, s[2:3], vcc
	v_or_b32_e32 v0, 0x100, v0
	v_cndmask_b32_e32 v7, 0, v7, vcc
	global_store_short v[1:2], v7, off
.LBB18_19:
	s_or_b64 exec, exec, s[0:1]
	s_xor_b32 s4, s13, 0x8000
	v_cmp_gt_i32_e32 vcc, s12, v0
	s_and_saveexec_b64 s[2:3], vcc
	s_cbranch_execnz .LBB18_30
; %bb.20:
	s_or_b64 exec, exec, s[2:3]
	v_cmp_gt_i32_e32 vcc, s12, v0
	s_and_saveexec_b64 s[2:3], vcc
	s_cbranch_execnz .LBB18_31
.LBB18_21:
	s_or_b64 exec, exec, s[2:3]
	v_cmp_gt_i32_e32 vcc, s12, v0
	s_and_saveexec_b64 s[2:3], vcc
	s_cbranch_execnz .LBB18_32
.LBB18_22:
	s_or_b64 exec, exec, s[2:3]
	v_cmp_gt_i32_e32 vcc, s12, v0
	s_and_saveexec_b64 s[2:3], vcc
	s_cbranch_execnz .LBB18_33
.LBB18_23:
	s_or_b64 exec, exec, s[2:3]
	v_cmp_gt_i32_e32 vcc, s12, v0
	s_and_saveexec_b64 s[2:3], vcc
	s_cbranch_execnz .LBB18_34
.LBB18_24:
	s_or_b64 exec, exec, s[2:3]
	v_cmp_gt_i32_e32 vcc, s12, v0
	s_and_saveexec_b64 s[2:3], vcc
	s_cbranch_execnz .LBB18_35
.LBB18_25:
	s_or_b64 exec, exec, s[2:3]
	v_cmp_gt_i32_e32 vcc, s12, v0
	s_and_saveexec_b64 s[0:1], vcc
	s_cbranch_execz .LBB18_27
.LBB18_26:
	v_add_u32_e32 v0, s14, v0
	v_mov_b32_e32 v1, 0
	s_waitcnt vmcnt(0)
	v_cmp_nle_f16_e32 vcc, s4, v6
	v_cmp_nge_f16_e64 s[0:1], s13, v6
	v_lshlrev_b64 v[0:1], 1, v[0:1]
	s_or_b64 vcc, vcc, s[0:1]
	v_cndmask_b32_e32 v2, 0, v6, vcc
	v_mov_b32_e32 v3, s9
	v_add_co_u32_e32 v0, vcc, s8, v0
	v_addc_co_u32_e32 v1, vcc, v3, v1, vcc
	global_store_short v[0:1], v2, off
.LBB18_27:
	s_endpgm
.LBB18_28:
	v_add_u32_e32 v10, s14, v2
	v_mov_b32_e32 v11, 0
	v_lshlrev_b64 v[10:11], 1, v[10:11]
	v_mov_b32_e32 v12, s11
	v_add_co_u32_e64 v10, s[0:1], s10, v10
	v_addc_co_u32_e64 v11, s[0:1], v12, v11, s[0:1]
	global_load_ushort v10, v[10:11], off
	v_add_u32_e32 v2, 0x100, v2
	s_or_b64 exec, exec, s[2:3]
	v_cmp_gt_i32_e64 s[0:1], s12, v2
	s_and_saveexec_b64 s[2:3], s[0:1]
	s_cbranch_execz .LBB18_17
.LBB18_29:
	v_add_u32_e32 v11, s14, v2
	v_mov_b32_e32 v12, 0
	v_lshlrev_b64 v[11:12], 1, v[11:12]
	v_mov_b32_e32 v2, s11
	v_add_co_u32_e64 v11, s[0:1], s10, v11
	v_addc_co_u32_e64 v12, s[0:1], v2, v12, s[0:1]
	global_load_ushort v6, v[11:12], off
	s_or_b64 exec, exec, s[2:3]
	s_and_saveexec_b64 s[0:1], vcc
	s_cbranch_execnz .LBB18_18
	s_branch .LBB18_19
.LBB18_30:
	v_add_u32_e32 v1, s14, v0
	v_mov_b32_e32 v2, 0
	s_waitcnt vmcnt(0)
	v_cmp_nle_f16_e32 vcc, s4, v3
	v_cmp_nge_f16_e64 s[0:1], s13, v3
	v_lshlrev_b64 v[1:2], 1, v[1:2]
	s_or_b64 vcc, vcc, s[0:1]
	v_cndmask_b32_e32 v3, 0, v3, vcc
	v_mov_b32_e32 v7, s9
	v_add_co_u32_e32 v1, vcc, s8, v1
	v_addc_co_u32_e32 v2, vcc, v7, v2, vcc
	v_add_u32_e32 v0, 0x100, v0
	global_store_short v[1:2], v3, off
	s_or_b64 exec, exec, s[2:3]
	v_cmp_gt_i32_e32 vcc, s12, v0
	s_and_saveexec_b64 s[2:3], vcc
	s_cbranch_execz .LBB18_21
.LBB18_31:
	v_add_u32_e32 v1, s14, v0
	v_mov_b32_e32 v2, 0
	s_waitcnt vmcnt(0)
	v_cmp_nle_f16_e32 vcc, s4, v8
	v_cmp_nge_f16_e64 s[0:1], s13, v8
	v_lshlrev_b64 v[1:2], 1, v[1:2]
	s_or_b64 vcc, vcc, s[0:1]
	v_cndmask_b32_e32 v3, 0, v8, vcc
	v_mov_b32_e32 v7, s9
	v_add_co_u32_e32 v1, vcc, s8, v1
	v_addc_co_u32_e32 v2, vcc, v7, v2, vcc
	v_add_u32_e32 v0, 0x100, v0
	global_store_short v[1:2], v3, off
	s_or_b64 exec, exec, s[2:3]
	v_cmp_gt_i32_e32 vcc, s12, v0
	s_and_saveexec_b64 s[2:3], vcc
	s_cbranch_execz .LBB18_22
.LBB18_32:
	v_add_u32_e32 v1, s14, v0
	v_mov_b32_e32 v2, 0
	s_waitcnt vmcnt(0)
	v_cmp_nle_f16_e32 vcc, s4, v4
	v_cmp_nge_f16_e64 s[0:1], s13, v4
	v_lshlrev_b64 v[1:2], 1, v[1:2]
	s_or_b64 vcc, vcc, s[0:1]
	v_cndmask_b32_e32 v3, 0, v4, vcc
	v_mov_b32_e32 v4, s9
	v_add_co_u32_e32 v1, vcc, s8, v1
	v_addc_co_u32_e32 v2, vcc, v4, v2, vcc
	v_add_u32_e32 v0, 0x100, v0
	global_store_short v[1:2], v3, off
	s_or_b64 exec, exec, s[2:3]
	v_cmp_gt_i32_e32 vcc, s12, v0
	s_and_saveexec_b64 s[2:3], vcc
	s_cbranch_execz .LBB18_23
.LBB18_33:
	v_add_u32_e32 v1, s14, v0
	v_mov_b32_e32 v2, 0
	s_waitcnt vmcnt(0)
	v_cmp_nle_f16_e32 vcc, s4, v9
	v_cmp_nge_f16_e64 s[0:1], s13, v9
	v_lshlrev_b64 v[1:2], 1, v[1:2]
	s_or_b64 vcc, vcc, s[0:1]
	v_cndmask_b32_e32 v3, 0, v9, vcc
	v_mov_b32_e32 v4, s9
	v_add_co_u32_e32 v1, vcc, s8, v1
	v_addc_co_u32_e32 v2, vcc, v4, v2, vcc
	v_add_u32_e32 v0, 0x100, v0
	global_store_short v[1:2], v3, off
	s_or_b64 exec, exec, s[2:3]
	v_cmp_gt_i32_e32 vcc, s12, v0
	s_and_saveexec_b64 s[2:3], vcc
	s_cbranch_execz .LBB18_24
.LBB18_34:
	v_add_u32_e32 v1, s14, v0
	v_mov_b32_e32 v2, 0
	s_waitcnt vmcnt(0)
	v_cmp_nle_f16_e32 vcc, s4, v5
	v_cmp_nge_f16_e64 s[0:1], s13, v5
	v_lshlrev_b64 v[1:2], 1, v[1:2]
	s_or_b64 vcc, vcc, s[0:1]
	v_cndmask_b32_e32 v3, 0, v5, vcc
	v_mov_b32_e32 v4, s9
	v_add_co_u32_e32 v1, vcc, s8, v1
	v_addc_co_u32_e32 v2, vcc, v4, v2, vcc
	v_add_u32_e32 v0, 0x100, v0
	global_store_short v[1:2], v3, off
	s_or_b64 exec, exec, s[2:3]
	v_cmp_gt_i32_e32 vcc, s12, v0
	s_and_saveexec_b64 s[2:3], vcc
	s_cbranch_execz .LBB18_25
.LBB18_35:
	v_add_u32_e32 v1, s14, v0
	v_mov_b32_e32 v2, 0
	s_waitcnt vmcnt(0)
	v_cmp_nle_f16_e32 vcc, s4, v10
	v_cmp_nge_f16_e64 s[0:1], s13, v10
	v_lshlrev_b64 v[1:2], 1, v[1:2]
	s_or_b64 vcc, vcc, s[0:1]
	v_cndmask_b32_e32 v3, 0, v10, vcc
	v_mov_b32_e32 v4, s9
	v_add_co_u32_e32 v1, vcc, s8, v1
	v_addc_co_u32_e32 v2, vcc, v4, v2, vcc
	v_add_u32_e32 v0, 0x100, v0
	global_store_short v[1:2], v3, off
	s_or_b64 exec, exec, s[2:3]
	v_cmp_gt_i32_e32 vcc, s12, v0
	s_and_saveexec_b64 s[0:1], vcc
	s_cbranch_execnz .LBB18_26
	s_branch .LBB18_27
	.section	.rodata,"a",@progbits
	.p2align	6, 0x0
	.amdhsa_kernel _ZN2at6native29vectorized_elementwise_kernelILi4EZZZNS0_12_GLOBAL__N_117hardshrink_kernelERNS_18TensorIteratorBaseERKN3c106ScalarEENKUlvE_clEvENKUlvE1_clEvEUlNS5_4HalfEE_St5arrayIPcLm2EEEEviT0_T1_
		.amdhsa_group_segment_fixed_size 0
		.amdhsa_private_segment_fixed_size 0
		.amdhsa_kernarg_size 24
		.amdhsa_user_sgpr_count 6
		.amdhsa_user_sgpr_private_segment_buffer 1
		.amdhsa_user_sgpr_dispatch_ptr 0
		.amdhsa_user_sgpr_queue_ptr 0
		.amdhsa_user_sgpr_kernarg_segment_ptr 1
		.amdhsa_user_sgpr_dispatch_id 0
		.amdhsa_user_sgpr_flat_scratch_init 0
		.amdhsa_user_sgpr_private_segment_size 0
		.amdhsa_uses_dynamic_stack 0
		.amdhsa_system_sgpr_private_segment_wavefront_offset 0
		.amdhsa_system_sgpr_workgroup_id_x 1
		.amdhsa_system_sgpr_workgroup_id_y 0
		.amdhsa_system_sgpr_workgroup_id_z 0
		.amdhsa_system_sgpr_workgroup_info 0
		.amdhsa_system_vgpr_workitem_id 0
		.amdhsa_next_free_vgpr 13
		.amdhsa_next_free_sgpr 42
		.amdhsa_reserve_vcc 1
		.amdhsa_reserve_flat_scratch 0
		.amdhsa_float_round_mode_32 0
		.amdhsa_float_round_mode_16_64 0
		.amdhsa_float_denorm_mode_32 3
		.amdhsa_float_denorm_mode_16_64 3
		.amdhsa_dx10_clamp 1
		.amdhsa_ieee_mode 1
		.amdhsa_fp16_overflow 0
		.amdhsa_exception_fp_ieee_invalid_op 0
		.amdhsa_exception_fp_denorm_src 0
		.amdhsa_exception_fp_ieee_div_zero 0
		.amdhsa_exception_fp_ieee_overflow 0
		.amdhsa_exception_fp_ieee_underflow 0
		.amdhsa_exception_fp_ieee_inexact 0
		.amdhsa_exception_int_div_zero 0
	.end_amdhsa_kernel
	.section	.text._ZN2at6native29vectorized_elementwise_kernelILi4EZZZNS0_12_GLOBAL__N_117hardshrink_kernelERNS_18TensorIteratorBaseERKN3c106ScalarEENKUlvE_clEvENKUlvE1_clEvEUlNS5_4HalfEE_St5arrayIPcLm2EEEEviT0_T1_,"axG",@progbits,_ZN2at6native29vectorized_elementwise_kernelILi4EZZZNS0_12_GLOBAL__N_117hardshrink_kernelERNS_18TensorIteratorBaseERKN3c106ScalarEENKUlvE_clEvENKUlvE1_clEvEUlNS5_4HalfEE_St5arrayIPcLm2EEEEviT0_T1_,comdat
.Lfunc_end18:
	.size	_ZN2at6native29vectorized_elementwise_kernelILi4EZZZNS0_12_GLOBAL__N_117hardshrink_kernelERNS_18TensorIteratorBaseERKN3c106ScalarEENKUlvE_clEvENKUlvE1_clEvEUlNS5_4HalfEE_St5arrayIPcLm2EEEEviT0_T1_, .Lfunc_end18-_ZN2at6native29vectorized_elementwise_kernelILi4EZZZNS0_12_GLOBAL__N_117hardshrink_kernelERNS_18TensorIteratorBaseERKN3c106ScalarEENKUlvE_clEvENKUlvE1_clEvEUlNS5_4HalfEE_St5arrayIPcLm2EEEEviT0_T1_
                                        ; -- End function
	.set _ZN2at6native29vectorized_elementwise_kernelILi4EZZZNS0_12_GLOBAL__N_117hardshrink_kernelERNS_18TensorIteratorBaseERKN3c106ScalarEENKUlvE_clEvENKUlvE1_clEvEUlNS5_4HalfEE_St5arrayIPcLm2EEEEviT0_T1_.num_vgpr, 13
	.set _ZN2at6native29vectorized_elementwise_kernelILi4EZZZNS0_12_GLOBAL__N_117hardshrink_kernelERNS_18TensorIteratorBaseERKN3c106ScalarEENKUlvE_clEvENKUlvE1_clEvEUlNS5_4HalfEE_St5arrayIPcLm2EEEEviT0_T1_.num_agpr, 0
	.set _ZN2at6native29vectorized_elementwise_kernelILi4EZZZNS0_12_GLOBAL__N_117hardshrink_kernelERNS_18TensorIteratorBaseERKN3c106ScalarEENKUlvE_clEvENKUlvE1_clEvEUlNS5_4HalfEE_St5arrayIPcLm2EEEEviT0_T1_.numbered_sgpr, 42
	.set _ZN2at6native29vectorized_elementwise_kernelILi4EZZZNS0_12_GLOBAL__N_117hardshrink_kernelERNS_18TensorIteratorBaseERKN3c106ScalarEENKUlvE_clEvENKUlvE1_clEvEUlNS5_4HalfEE_St5arrayIPcLm2EEEEviT0_T1_.num_named_barrier, 0
	.set _ZN2at6native29vectorized_elementwise_kernelILi4EZZZNS0_12_GLOBAL__N_117hardshrink_kernelERNS_18TensorIteratorBaseERKN3c106ScalarEENKUlvE_clEvENKUlvE1_clEvEUlNS5_4HalfEE_St5arrayIPcLm2EEEEviT0_T1_.private_seg_size, 0
	.set _ZN2at6native29vectorized_elementwise_kernelILi4EZZZNS0_12_GLOBAL__N_117hardshrink_kernelERNS_18TensorIteratorBaseERKN3c106ScalarEENKUlvE_clEvENKUlvE1_clEvEUlNS5_4HalfEE_St5arrayIPcLm2EEEEviT0_T1_.uses_vcc, 1
	.set _ZN2at6native29vectorized_elementwise_kernelILi4EZZZNS0_12_GLOBAL__N_117hardshrink_kernelERNS_18TensorIteratorBaseERKN3c106ScalarEENKUlvE_clEvENKUlvE1_clEvEUlNS5_4HalfEE_St5arrayIPcLm2EEEEviT0_T1_.uses_flat_scratch, 0
	.set _ZN2at6native29vectorized_elementwise_kernelILi4EZZZNS0_12_GLOBAL__N_117hardshrink_kernelERNS_18TensorIteratorBaseERKN3c106ScalarEENKUlvE_clEvENKUlvE1_clEvEUlNS5_4HalfEE_St5arrayIPcLm2EEEEviT0_T1_.has_dyn_sized_stack, 0
	.set _ZN2at6native29vectorized_elementwise_kernelILi4EZZZNS0_12_GLOBAL__N_117hardshrink_kernelERNS_18TensorIteratorBaseERKN3c106ScalarEENKUlvE_clEvENKUlvE1_clEvEUlNS5_4HalfEE_St5arrayIPcLm2EEEEviT0_T1_.has_recursion, 0
	.set _ZN2at6native29vectorized_elementwise_kernelILi4EZZZNS0_12_GLOBAL__N_117hardshrink_kernelERNS_18TensorIteratorBaseERKN3c106ScalarEENKUlvE_clEvENKUlvE1_clEvEUlNS5_4HalfEE_St5arrayIPcLm2EEEEviT0_T1_.has_indirect_call, 0
	.section	.AMDGPU.csdata,"",@progbits
; Kernel info:
; codeLenInByte = 1816
; TotalNumSgprs: 46
; NumVgprs: 13
; ScratchSize: 0
; MemoryBound: 0
; FloatMode: 240
; IeeeMode: 1
; LDSByteSize: 0 bytes/workgroup (compile time only)
; SGPRBlocks: 5
; VGPRBlocks: 3
; NumSGPRsForWavesPerEU: 46
; NumVGPRsForWavesPerEU: 13
; Occupancy: 10
; WaveLimiterHint : 1
; COMPUTE_PGM_RSRC2:SCRATCH_EN: 0
; COMPUTE_PGM_RSRC2:USER_SGPR: 6
; COMPUTE_PGM_RSRC2:TRAP_HANDLER: 0
; COMPUTE_PGM_RSRC2:TGID_X_EN: 1
; COMPUTE_PGM_RSRC2:TGID_Y_EN: 0
; COMPUTE_PGM_RSRC2:TGID_Z_EN: 0
; COMPUTE_PGM_RSRC2:TIDIG_COMP_CNT: 0
	.section	.text._ZN2at6native29vectorized_elementwise_kernelILi2EZZZNS0_12_GLOBAL__N_117hardshrink_kernelERNS_18TensorIteratorBaseERKN3c106ScalarEENKUlvE_clEvENKUlvE1_clEvEUlNS5_4HalfEE_St5arrayIPcLm2EEEEviT0_T1_,"axG",@progbits,_ZN2at6native29vectorized_elementwise_kernelILi2EZZZNS0_12_GLOBAL__N_117hardshrink_kernelERNS_18TensorIteratorBaseERKN3c106ScalarEENKUlvE_clEvENKUlvE1_clEvEUlNS5_4HalfEE_St5arrayIPcLm2EEEEviT0_T1_,comdat
	.globl	_ZN2at6native29vectorized_elementwise_kernelILi2EZZZNS0_12_GLOBAL__N_117hardshrink_kernelERNS_18TensorIteratorBaseERKN3c106ScalarEENKUlvE_clEvENKUlvE1_clEvEUlNS5_4HalfEE_St5arrayIPcLm2EEEEviT0_T1_ ; -- Begin function _ZN2at6native29vectorized_elementwise_kernelILi2EZZZNS0_12_GLOBAL__N_117hardshrink_kernelERNS_18TensorIteratorBaseERKN3c106ScalarEENKUlvE_clEvENKUlvE1_clEvEUlNS5_4HalfEE_St5arrayIPcLm2EEEEviT0_T1_
	.p2align	8
	.type	_ZN2at6native29vectorized_elementwise_kernelILi2EZZZNS0_12_GLOBAL__N_117hardshrink_kernelERNS_18TensorIteratorBaseERKN3c106ScalarEENKUlvE_clEvENKUlvE1_clEvEUlNS5_4HalfEE_St5arrayIPcLm2EEEEviT0_T1_,@function
_ZN2at6native29vectorized_elementwise_kernelILi2EZZZNS0_12_GLOBAL__N_117hardshrink_kernelERNS_18TensorIteratorBaseERKN3c106ScalarEENKUlvE_clEvENKUlvE1_clEvEUlNS5_4HalfEE_St5arrayIPcLm2EEEEviT0_T1_: ; @_ZN2at6native29vectorized_elementwise_kernelILi2EZZZNS0_12_GLOBAL__N_117hardshrink_kernelERNS_18TensorIteratorBaseERKN3c106ScalarEENKUlvE_clEvENKUlvE1_clEvEUlNS5_4HalfEE_St5arrayIPcLm2EEEEviT0_T1_
; %bb.0:
	s_load_dwordx2 s[12:13], s[4:5], 0x0
	s_load_dwordx4 s[8:11], s[4:5], 0x8
	s_lshl_b32 s6, s6, 11
	s_mov_b64 s[0:1], -1
	s_waitcnt lgkmcnt(0)
	s_sub_i32 s12, s12, s6
	s_cmpk_gt_i32 s12, 0x7ff
	s_cbranch_scc0 .LBB19_2
; %bb.1:
	s_ashr_i32 s7, s6, 31
	s_lshl_b64 s[14:15], s[6:7], 1
	s_add_u32 s0, s10, s14
	s_addc_u32 s1, s11, s15
	v_lshlrev_b32_e32 v1, 2, v0
	global_load_dword v2, v1, s[0:1]
	global_load_dword v3, v1, s[0:1] offset:1024
	global_load_dword v4, v1, s[0:1] offset:2048
	global_load_dword v5, v1, s[0:1] offset:3072
	s_waitcnt vmcnt(3)
	v_cmp_nge_f16_e64 s[16:17], v2, -s13
	v_cmp_nge_f16_e32 vcc, s13, v2
	v_and_b32_e32 v6, 0xffff, v2
	v_cmp_nge_f16_sdwa s[18:19], v2, -s13 src0_sel:WORD_1 src1_sel:DWORD
	v_cmp_nle_f16_sdwa s[20:21], v2, s13 src0_sel:WORD_1 src1_sel:DWORD
	s_or_b64 vcc, s[16:17], vcc
	v_and_b32_e32 v2, 0xffff0000, v2
	s_waitcnt vmcnt(2)
	v_cmp_nge_f16_e64 s[22:23], v3, -s13
	v_cmp_nge_f16_e64 s[0:1], s13, v3
	v_cndmask_b32_e32 v6, 0, v6, vcc
	s_or_b64 vcc, s[18:19], s[20:21]
	v_and_b32_e32 v7, 0xffff, v3
	v_cmp_nge_f16_sdwa s[24:25], v3, -s13 src0_sel:WORD_1 src1_sel:DWORD
	v_cmp_nle_f16_sdwa s[26:27], v3, s13 src0_sel:WORD_1 src1_sel:DWORD
	v_cndmask_b32_e32 v2, 0, v2, vcc
	s_or_b64 vcc, s[22:23], s[0:1]
	v_and_b32_e32 v3, 0xffff0000, v3
	s_waitcnt vmcnt(1)
	v_cmp_nge_f16_e64 s[28:29], v4, -s13
	v_cmp_nge_f16_e64 s[2:3], s13, v4
	v_cndmask_b32_e32 v7, 0, v7, vcc
	s_or_b64 vcc, s[24:25], s[26:27]
	v_and_b32_e32 v8, 0xffff, v4
	v_cmp_nge_f16_sdwa s[30:31], v4, -s13 src0_sel:WORD_1 src1_sel:DWORD
	v_cmp_nle_f16_sdwa s[34:35], v4, s13 src0_sel:WORD_1 src1_sel:DWORD
	v_cndmask_b32_e32 v3, 0, v3, vcc
	s_or_b64 vcc, s[28:29], s[2:3]
	;; [unrolled: 11-line block ×3, first 2 shown]
	v_cndmask_b32_e32 v9, 0, v9, vcc
	s_or_b64 vcc, s[38:39], s[40:41]
	v_and_b32_e32 v5, 0xffff0000, v5
	s_add_u32 s0, s8, s14
	v_cndmask_b32_e32 v5, 0, v5, vcc
	v_or_b32_e32 v2, v2, v6
	s_addc_u32 s1, s9, s15
	v_or_b32_e32 v3, v3, v7
	v_or_b32_e32 v4, v4, v8
	;; [unrolled: 1-line block ×3, first 2 shown]
	global_store_dword v1, v2, s[0:1]
	global_store_dword v1, v3, s[0:1] offset:1024
	global_store_dword v1, v4, s[0:1] offset:2048
	;; [unrolled: 1-line block ×3, first 2 shown]
	s_mov_b64 s[0:1], 0
.LBB19_2:
	s_andn2_b64 vcc, exec, s[0:1]
	s_cbranch_vccnz .LBB19_27
; %bb.3:
	v_cmp_gt_i32_e32 vcc, s12, v0
	v_mov_b32_e32 v3, 0
	v_or_b32_e32 v1, s6, v0
	v_mov_b32_e32 v7, 0
	v_mov_b32_e32 v2, v0
	s_and_saveexec_b64 s[2:3], vcc
	s_cbranch_execz .LBB19_5
; %bb.4:
	v_mov_b32_e32 v2, 0
	v_lshlrev_b64 v[4:5], 1, v[1:2]
	v_mov_b32_e32 v2, s11
	v_add_co_u32_e64 v4, s[0:1], s10, v4
	v_addc_co_u32_e64 v5, s[0:1], v2, v5, s[0:1]
	global_load_ushort v7, v[4:5], off
	v_or_b32_e32 v2, 0x100, v0
.LBB19_5:
	s_or_b64 exec, exec, s[2:3]
	v_cmp_gt_i32_e64 s[0:1], s12, v2
	s_and_saveexec_b64 s[2:3], s[0:1]
	s_cbranch_execz .LBB19_7
; %bb.6:
	v_add_u32_e32 v3, s6, v2
	v_mov_b32_e32 v4, 0
	v_lshlrev_b64 v[3:4], 1, v[3:4]
	v_mov_b32_e32 v5, s11
	v_add_co_u32_e64 v3, s[0:1], s10, v3
	v_addc_co_u32_e64 v4, s[0:1], v5, v4, s[0:1]
	global_load_ushort v3, v[3:4], off
	v_add_u32_e32 v2, 0x100, v2
.LBB19_7:
	s_or_b64 exec, exec, s[2:3]
	v_cmp_gt_i32_e64 s[0:1], s12, v2
	v_mov_b32_e32 v4, 0
	v_mov_b32_e32 v8, 0
	s_and_saveexec_b64 s[2:3], s[0:1]
	s_cbranch_execz .LBB19_9
; %bb.8:
	v_add_u32_e32 v5, s6, v2
	v_mov_b32_e32 v6, 0
	v_lshlrev_b64 v[5:6], 1, v[5:6]
	v_mov_b32_e32 v8, s11
	v_add_co_u32_e64 v5, s[0:1], s10, v5
	v_addc_co_u32_e64 v6, s[0:1], v8, v6, s[0:1]
	global_load_ushort v8, v[5:6], off
	v_add_u32_e32 v2, 0x100, v2
.LBB19_9:
	s_or_b64 exec, exec, s[2:3]
	v_cmp_gt_i32_e64 s[0:1], s12, v2
	s_and_saveexec_b64 s[2:3], s[0:1]
	s_cbranch_execz .LBB19_11
; %bb.10:
	v_add_u32_e32 v4, s6, v2
	v_mov_b32_e32 v5, 0
	v_lshlrev_b64 v[4:5], 1, v[4:5]
	v_mov_b32_e32 v6, s11
	v_add_co_u32_e64 v4, s[0:1], s10, v4
	v_addc_co_u32_e64 v5, s[0:1], v6, v5, s[0:1]
	global_load_ushort v4, v[4:5], off
	v_add_u32_e32 v2, 0x100, v2
.LBB19_11:
	s_or_b64 exec, exec, s[2:3]
	v_cmp_gt_i32_e64 s[0:1], s12, v2
	v_mov_b32_e32 v5, 0
	v_mov_b32_e32 v9, 0
	s_and_saveexec_b64 s[2:3], s[0:1]
	s_cbranch_execz .LBB19_13
; %bb.12:
	v_add_u32_e32 v9, s6, v2
	v_mov_b32_e32 v10, 0
	v_lshlrev_b64 v[9:10], 1, v[9:10]
	v_mov_b32_e32 v6, s11
	v_add_co_u32_e64 v9, s[0:1], s10, v9
	v_addc_co_u32_e64 v10, s[0:1], v6, v10, s[0:1]
	global_load_ushort v9, v[9:10], off
	v_add_u32_e32 v2, 0x100, v2
.LBB19_13:
	s_or_b64 exec, exec, s[2:3]
	v_cmp_gt_i32_e64 s[0:1], s12, v2
	s_and_saveexec_b64 s[2:3], s[0:1]
	s_cbranch_execz .LBB19_15
; %bb.14:
	v_add_u32_e32 v5, s6, v2
	v_mov_b32_e32 v6, 0
	v_lshlrev_b64 v[5:6], 1, v[5:6]
	v_mov_b32_e32 v10, s11
	v_add_co_u32_e64 v5, s[0:1], s10, v5
	v_addc_co_u32_e64 v6, s[0:1], v10, v6, s[0:1]
	global_load_ushort v5, v[5:6], off
	v_add_u32_e32 v2, 0x100, v2
.LBB19_15:
	s_or_b64 exec, exec, s[2:3]
	v_cmp_gt_i32_e64 s[0:1], s12, v2
	v_mov_b32_e32 v6, 0
	v_mov_b32_e32 v10, 0
	s_and_saveexec_b64 s[2:3], s[0:1]
	s_cbranch_execnz .LBB19_28
; %bb.16:
	s_or_b64 exec, exec, s[2:3]
	v_cmp_gt_i32_e64 s[0:1], s12, v2
	s_and_saveexec_b64 s[2:3], s[0:1]
	s_cbranch_execnz .LBB19_29
.LBB19_17:
	s_or_b64 exec, exec, s[2:3]
	s_and_saveexec_b64 s[0:1], vcc
	s_cbranch_execz .LBB19_19
.LBB19_18:
	v_mov_b32_e32 v2, 0
	v_lshlrev_b64 v[1:2], 1, v[1:2]
	v_mov_b32_e32 v11, s9
	v_add_co_u32_e32 v1, vcc, s8, v1
	v_addc_co_u32_e32 v2, vcc, v11, v2, vcc
	s_waitcnt vmcnt(0)
	v_cmp_nge_f16_e64 s[2:3], v7, -s13
	v_cmp_nge_f16_e32 vcc, s13, v7
	s_or_b64 vcc, s[2:3], vcc
	v_or_b32_e32 v0, 0x100, v0
	v_cndmask_b32_e32 v7, 0, v7, vcc
	global_store_short v[1:2], v7, off
.LBB19_19:
	s_or_b64 exec, exec, s[0:1]
	s_xor_b32 s4, s13, 0x8000
	v_cmp_gt_i32_e32 vcc, s12, v0
	s_and_saveexec_b64 s[2:3], vcc
	s_cbranch_execnz .LBB19_30
; %bb.20:
	s_or_b64 exec, exec, s[2:3]
	v_cmp_gt_i32_e32 vcc, s12, v0
	s_and_saveexec_b64 s[2:3], vcc
	s_cbranch_execnz .LBB19_31
.LBB19_21:
	s_or_b64 exec, exec, s[2:3]
	v_cmp_gt_i32_e32 vcc, s12, v0
	s_and_saveexec_b64 s[2:3], vcc
	s_cbranch_execnz .LBB19_32
.LBB19_22:
	s_or_b64 exec, exec, s[2:3]
	v_cmp_gt_i32_e32 vcc, s12, v0
	s_and_saveexec_b64 s[2:3], vcc
	s_cbranch_execnz .LBB19_33
.LBB19_23:
	s_or_b64 exec, exec, s[2:3]
	v_cmp_gt_i32_e32 vcc, s12, v0
	s_and_saveexec_b64 s[2:3], vcc
	s_cbranch_execnz .LBB19_34
.LBB19_24:
	s_or_b64 exec, exec, s[2:3]
	v_cmp_gt_i32_e32 vcc, s12, v0
	s_and_saveexec_b64 s[2:3], vcc
	s_cbranch_execnz .LBB19_35
.LBB19_25:
	s_or_b64 exec, exec, s[2:3]
	v_cmp_gt_i32_e32 vcc, s12, v0
	s_and_saveexec_b64 s[0:1], vcc
	s_cbranch_execz .LBB19_27
.LBB19_26:
	v_add_u32_e32 v0, s6, v0
	v_mov_b32_e32 v1, 0
	s_waitcnt vmcnt(0)
	v_cmp_nle_f16_e32 vcc, s4, v6
	v_cmp_nge_f16_e64 s[0:1], s13, v6
	v_lshlrev_b64 v[0:1], 1, v[0:1]
	s_or_b64 vcc, vcc, s[0:1]
	v_cndmask_b32_e32 v2, 0, v6, vcc
	v_mov_b32_e32 v3, s9
	v_add_co_u32_e32 v0, vcc, s8, v0
	v_addc_co_u32_e32 v1, vcc, v3, v1, vcc
	global_store_short v[0:1], v2, off
.LBB19_27:
	s_endpgm
.LBB19_28:
	v_add_u32_e32 v10, s6, v2
	v_mov_b32_e32 v11, 0
	v_lshlrev_b64 v[10:11], 1, v[10:11]
	v_mov_b32_e32 v12, s11
	v_add_co_u32_e64 v10, s[0:1], s10, v10
	v_addc_co_u32_e64 v11, s[0:1], v12, v11, s[0:1]
	global_load_ushort v10, v[10:11], off
	v_add_u32_e32 v2, 0x100, v2
	s_or_b64 exec, exec, s[2:3]
	v_cmp_gt_i32_e64 s[0:1], s12, v2
	s_and_saveexec_b64 s[2:3], s[0:1]
	s_cbranch_execz .LBB19_17
.LBB19_29:
	v_add_u32_e32 v11, s6, v2
	v_mov_b32_e32 v12, 0
	v_lshlrev_b64 v[11:12], 1, v[11:12]
	v_mov_b32_e32 v2, s11
	v_add_co_u32_e64 v11, s[0:1], s10, v11
	v_addc_co_u32_e64 v12, s[0:1], v2, v12, s[0:1]
	global_load_ushort v6, v[11:12], off
	s_or_b64 exec, exec, s[2:3]
	s_and_saveexec_b64 s[0:1], vcc
	s_cbranch_execnz .LBB19_18
	s_branch .LBB19_19
.LBB19_30:
	v_add_u32_e32 v1, s6, v0
	v_mov_b32_e32 v2, 0
	s_waitcnt vmcnt(0)
	v_cmp_nle_f16_e32 vcc, s4, v3
	v_cmp_nge_f16_e64 s[0:1], s13, v3
	v_lshlrev_b64 v[1:2], 1, v[1:2]
	s_or_b64 vcc, vcc, s[0:1]
	v_cndmask_b32_e32 v3, 0, v3, vcc
	v_mov_b32_e32 v7, s9
	v_add_co_u32_e32 v1, vcc, s8, v1
	v_addc_co_u32_e32 v2, vcc, v7, v2, vcc
	v_add_u32_e32 v0, 0x100, v0
	global_store_short v[1:2], v3, off
	s_or_b64 exec, exec, s[2:3]
	v_cmp_gt_i32_e32 vcc, s12, v0
	s_and_saveexec_b64 s[2:3], vcc
	s_cbranch_execz .LBB19_21
.LBB19_31:
	v_add_u32_e32 v1, s6, v0
	v_mov_b32_e32 v2, 0
	s_waitcnt vmcnt(0)
	v_cmp_nle_f16_e32 vcc, s4, v8
	v_cmp_nge_f16_e64 s[0:1], s13, v8
	v_lshlrev_b64 v[1:2], 1, v[1:2]
	s_or_b64 vcc, vcc, s[0:1]
	v_cndmask_b32_e32 v3, 0, v8, vcc
	v_mov_b32_e32 v7, s9
	v_add_co_u32_e32 v1, vcc, s8, v1
	v_addc_co_u32_e32 v2, vcc, v7, v2, vcc
	v_add_u32_e32 v0, 0x100, v0
	global_store_short v[1:2], v3, off
	s_or_b64 exec, exec, s[2:3]
	v_cmp_gt_i32_e32 vcc, s12, v0
	s_and_saveexec_b64 s[2:3], vcc
	s_cbranch_execz .LBB19_22
.LBB19_32:
	v_add_u32_e32 v1, s6, v0
	v_mov_b32_e32 v2, 0
	s_waitcnt vmcnt(0)
	v_cmp_nle_f16_e32 vcc, s4, v4
	v_cmp_nge_f16_e64 s[0:1], s13, v4
	v_lshlrev_b64 v[1:2], 1, v[1:2]
	s_or_b64 vcc, vcc, s[0:1]
	v_cndmask_b32_e32 v3, 0, v4, vcc
	v_mov_b32_e32 v4, s9
	v_add_co_u32_e32 v1, vcc, s8, v1
	v_addc_co_u32_e32 v2, vcc, v4, v2, vcc
	v_add_u32_e32 v0, 0x100, v0
	global_store_short v[1:2], v3, off
	s_or_b64 exec, exec, s[2:3]
	v_cmp_gt_i32_e32 vcc, s12, v0
	s_and_saveexec_b64 s[2:3], vcc
	s_cbranch_execz .LBB19_23
.LBB19_33:
	v_add_u32_e32 v1, s6, v0
	v_mov_b32_e32 v2, 0
	s_waitcnt vmcnt(0)
	v_cmp_nle_f16_e32 vcc, s4, v9
	v_cmp_nge_f16_e64 s[0:1], s13, v9
	v_lshlrev_b64 v[1:2], 1, v[1:2]
	s_or_b64 vcc, vcc, s[0:1]
	v_cndmask_b32_e32 v3, 0, v9, vcc
	v_mov_b32_e32 v4, s9
	v_add_co_u32_e32 v1, vcc, s8, v1
	v_addc_co_u32_e32 v2, vcc, v4, v2, vcc
	v_add_u32_e32 v0, 0x100, v0
	global_store_short v[1:2], v3, off
	s_or_b64 exec, exec, s[2:3]
	v_cmp_gt_i32_e32 vcc, s12, v0
	s_and_saveexec_b64 s[2:3], vcc
	s_cbranch_execz .LBB19_24
.LBB19_34:
	v_add_u32_e32 v1, s6, v0
	v_mov_b32_e32 v2, 0
	s_waitcnt vmcnt(0)
	v_cmp_nle_f16_e32 vcc, s4, v5
	v_cmp_nge_f16_e64 s[0:1], s13, v5
	v_lshlrev_b64 v[1:2], 1, v[1:2]
	s_or_b64 vcc, vcc, s[0:1]
	v_cndmask_b32_e32 v3, 0, v5, vcc
	v_mov_b32_e32 v4, s9
	v_add_co_u32_e32 v1, vcc, s8, v1
	v_addc_co_u32_e32 v2, vcc, v4, v2, vcc
	v_add_u32_e32 v0, 0x100, v0
	global_store_short v[1:2], v3, off
	s_or_b64 exec, exec, s[2:3]
	v_cmp_gt_i32_e32 vcc, s12, v0
	s_and_saveexec_b64 s[2:3], vcc
	s_cbranch_execz .LBB19_25
.LBB19_35:
	v_add_u32_e32 v1, s6, v0
	v_mov_b32_e32 v2, 0
	s_waitcnt vmcnt(0)
	v_cmp_nle_f16_e32 vcc, s4, v10
	v_cmp_nge_f16_e64 s[0:1], s13, v10
	v_lshlrev_b64 v[1:2], 1, v[1:2]
	s_or_b64 vcc, vcc, s[0:1]
	v_cndmask_b32_e32 v3, 0, v10, vcc
	v_mov_b32_e32 v4, s9
	v_add_co_u32_e32 v1, vcc, s8, v1
	v_addc_co_u32_e32 v2, vcc, v4, v2, vcc
	v_add_u32_e32 v0, 0x100, v0
	global_store_short v[1:2], v3, off
	s_or_b64 exec, exec, s[2:3]
	v_cmp_gt_i32_e32 vcc, s12, v0
	s_and_saveexec_b64 s[0:1], vcc
	s_cbranch_execnz .LBB19_26
	s_branch .LBB19_27
	.section	.rodata,"a",@progbits
	.p2align	6, 0x0
	.amdhsa_kernel _ZN2at6native29vectorized_elementwise_kernelILi2EZZZNS0_12_GLOBAL__N_117hardshrink_kernelERNS_18TensorIteratorBaseERKN3c106ScalarEENKUlvE_clEvENKUlvE1_clEvEUlNS5_4HalfEE_St5arrayIPcLm2EEEEviT0_T1_
		.amdhsa_group_segment_fixed_size 0
		.amdhsa_private_segment_fixed_size 0
		.amdhsa_kernarg_size 24
		.amdhsa_user_sgpr_count 6
		.amdhsa_user_sgpr_private_segment_buffer 1
		.amdhsa_user_sgpr_dispatch_ptr 0
		.amdhsa_user_sgpr_queue_ptr 0
		.amdhsa_user_sgpr_kernarg_segment_ptr 1
		.amdhsa_user_sgpr_dispatch_id 0
		.amdhsa_user_sgpr_flat_scratch_init 0
		.amdhsa_user_sgpr_private_segment_size 0
		.amdhsa_uses_dynamic_stack 0
		.amdhsa_system_sgpr_private_segment_wavefront_offset 0
		.amdhsa_system_sgpr_workgroup_id_x 1
		.amdhsa_system_sgpr_workgroup_id_y 0
		.amdhsa_system_sgpr_workgroup_id_z 0
		.amdhsa_system_sgpr_workgroup_info 0
		.amdhsa_system_vgpr_workitem_id 0
		.amdhsa_next_free_vgpr 13
		.amdhsa_next_free_sgpr 42
		.amdhsa_reserve_vcc 1
		.amdhsa_reserve_flat_scratch 0
		.amdhsa_float_round_mode_32 0
		.amdhsa_float_round_mode_16_64 0
		.amdhsa_float_denorm_mode_32 3
		.amdhsa_float_denorm_mode_16_64 3
		.amdhsa_dx10_clamp 1
		.amdhsa_ieee_mode 1
		.amdhsa_fp16_overflow 0
		.amdhsa_exception_fp_ieee_invalid_op 0
		.amdhsa_exception_fp_denorm_src 0
		.amdhsa_exception_fp_ieee_div_zero 0
		.amdhsa_exception_fp_ieee_overflow 0
		.amdhsa_exception_fp_ieee_underflow 0
		.amdhsa_exception_fp_ieee_inexact 0
		.amdhsa_exception_int_div_zero 0
	.end_amdhsa_kernel
	.section	.text._ZN2at6native29vectorized_elementwise_kernelILi2EZZZNS0_12_GLOBAL__N_117hardshrink_kernelERNS_18TensorIteratorBaseERKN3c106ScalarEENKUlvE_clEvENKUlvE1_clEvEUlNS5_4HalfEE_St5arrayIPcLm2EEEEviT0_T1_,"axG",@progbits,_ZN2at6native29vectorized_elementwise_kernelILi2EZZZNS0_12_GLOBAL__N_117hardshrink_kernelERNS_18TensorIteratorBaseERKN3c106ScalarEENKUlvE_clEvENKUlvE1_clEvEUlNS5_4HalfEE_St5arrayIPcLm2EEEEviT0_T1_,comdat
.Lfunc_end19:
	.size	_ZN2at6native29vectorized_elementwise_kernelILi2EZZZNS0_12_GLOBAL__N_117hardshrink_kernelERNS_18TensorIteratorBaseERKN3c106ScalarEENKUlvE_clEvENKUlvE1_clEvEUlNS5_4HalfEE_St5arrayIPcLm2EEEEviT0_T1_, .Lfunc_end19-_ZN2at6native29vectorized_elementwise_kernelILi2EZZZNS0_12_GLOBAL__N_117hardshrink_kernelERNS_18TensorIteratorBaseERKN3c106ScalarEENKUlvE_clEvENKUlvE1_clEvEUlNS5_4HalfEE_St5arrayIPcLm2EEEEviT0_T1_
                                        ; -- End function
	.set _ZN2at6native29vectorized_elementwise_kernelILi2EZZZNS0_12_GLOBAL__N_117hardshrink_kernelERNS_18TensorIteratorBaseERKN3c106ScalarEENKUlvE_clEvENKUlvE1_clEvEUlNS5_4HalfEE_St5arrayIPcLm2EEEEviT0_T1_.num_vgpr, 13
	.set _ZN2at6native29vectorized_elementwise_kernelILi2EZZZNS0_12_GLOBAL__N_117hardshrink_kernelERNS_18TensorIteratorBaseERKN3c106ScalarEENKUlvE_clEvENKUlvE1_clEvEUlNS5_4HalfEE_St5arrayIPcLm2EEEEviT0_T1_.num_agpr, 0
	.set _ZN2at6native29vectorized_elementwise_kernelILi2EZZZNS0_12_GLOBAL__N_117hardshrink_kernelERNS_18TensorIteratorBaseERKN3c106ScalarEENKUlvE_clEvENKUlvE1_clEvEUlNS5_4HalfEE_St5arrayIPcLm2EEEEviT0_T1_.numbered_sgpr, 42
	.set _ZN2at6native29vectorized_elementwise_kernelILi2EZZZNS0_12_GLOBAL__N_117hardshrink_kernelERNS_18TensorIteratorBaseERKN3c106ScalarEENKUlvE_clEvENKUlvE1_clEvEUlNS5_4HalfEE_St5arrayIPcLm2EEEEviT0_T1_.num_named_barrier, 0
	.set _ZN2at6native29vectorized_elementwise_kernelILi2EZZZNS0_12_GLOBAL__N_117hardshrink_kernelERNS_18TensorIteratorBaseERKN3c106ScalarEENKUlvE_clEvENKUlvE1_clEvEUlNS5_4HalfEE_St5arrayIPcLm2EEEEviT0_T1_.private_seg_size, 0
	.set _ZN2at6native29vectorized_elementwise_kernelILi2EZZZNS0_12_GLOBAL__N_117hardshrink_kernelERNS_18TensorIteratorBaseERKN3c106ScalarEENKUlvE_clEvENKUlvE1_clEvEUlNS5_4HalfEE_St5arrayIPcLm2EEEEviT0_T1_.uses_vcc, 1
	.set _ZN2at6native29vectorized_elementwise_kernelILi2EZZZNS0_12_GLOBAL__N_117hardshrink_kernelERNS_18TensorIteratorBaseERKN3c106ScalarEENKUlvE_clEvENKUlvE1_clEvEUlNS5_4HalfEE_St5arrayIPcLm2EEEEviT0_T1_.uses_flat_scratch, 0
	.set _ZN2at6native29vectorized_elementwise_kernelILi2EZZZNS0_12_GLOBAL__N_117hardshrink_kernelERNS_18TensorIteratorBaseERKN3c106ScalarEENKUlvE_clEvENKUlvE1_clEvEUlNS5_4HalfEE_St5arrayIPcLm2EEEEviT0_T1_.has_dyn_sized_stack, 0
	.set _ZN2at6native29vectorized_elementwise_kernelILi2EZZZNS0_12_GLOBAL__N_117hardshrink_kernelERNS_18TensorIteratorBaseERKN3c106ScalarEENKUlvE_clEvENKUlvE1_clEvEUlNS5_4HalfEE_St5arrayIPcLm2EEEEviT0_T1_.has_recursion, 0
	.set _ZN2at6native29vectorized_elementwise_kernelILi2EZZZNS0_12_GLOBAL__N_117hardshrink_kernelERNS_18TensorIteratorBaseERKN3c106ScalarEENKUlvE_clEvENKUlvE1_clEvEUlNS5_4HalfEE_St5arrayIPcLm2EEEEviT0_T1_.has_indirect_call, 0
	.section	.AMDGPU.csdata,"",@progbits
; Kernel info:
; codeLenInByte = 1828
; TotalNumSgprs: 46
; NumVgprs: 13
; ScratchSize: 0
; MemoryBound: 0
; FloatMode: 240
; IeeeMode: 1
; LDSByteSize: 0 bytes/workgroup (compile time only)
; SGPRBlocks: 5
; VGPRBlocks: 3
; NumSGPRsForWavesPerEU: 46
; NumVGPRsForWavesPerEU: 13
; Occupancy: 10
; WaveLimiterHint : 1
; COMPUTE_PGM_RSRC2:SCRATCH_EN: 0
; COMPUTE_PGM_RSRC2:USER_SGPR: 6
; COMPUTE_PGM_RSRC2:TRAP_HANDLER: 0
; COMPUTE_PGM_RSRC2:TGID_X_EN: 1
; COMPUTE_PGM_RSRC2:TGID_Y_EN: 0
; COMPUTE_PGM_RSRC2:TGID_Z_EN: 0
; COMPUTE_PGM_RSRC2:TIDIG_COMP_CNT: 0
	.section	.text._ZN2at6native27unrolled_elementwise_kernelIZZZNS0_12_GLOBAL__N_117hardshrink_kernelERNS_18TensorIteratorBaseERKN3c106ScalarEENKUlvE_clEvENKUlvE1_clEvEUlNS5_4HalfEE_St5arrayIPcLm2EELi4E23TrivialOffsetCalculatorILi1EjESH_NS0_6memory15LoadWithoutCastENSI_16StoreWithoutCastEEEviT_T0_T2_T3_T4_T5_,"axG",@progbits,_ZN2at6native27unrolled_elementwise_kernelIZZZNS0_12_GLOBAL__N_117hardshrink_kernelERNS_18TensorIteratorBaseERKN3c106ScalarEENKUlvE_clEvENKUlvE1_clEvEUlNS5_4HalfEE_St5arrayIPcLm2EELi4E23TrivialOffsetCalculatorILi1EjESH_NS0_6memory15LoadWithoutCastENSI_16StoreWithoutCastEEEviT_T0_T2_T3_T4_T5_,comdat
	.globl	_ZN2at6native27unrolled_elementwise_kernelIZZZNS0_12_GLOBAL__N_117hardshrink_kernelERNS_18TensorIteratorBaseERKN3c106ScalarEENKUlvE_clEvENKUlvE1_clEvEUlNS5_4HalfEE_St5arrayIPcLm2EELi4E23TrivialOffsetCalculatorILi1EjESH_NS0_6memory15LoadWithoutCastENSI_16StoreWithoutCastEEEviT_T0_T2_T3_T4_T5_ ; -- Begin function _ZN2at6native27unrolled_elementwise_kernelIZZZNS0_12_GLOBAL__N_117hardshrink_kernelERNS_18TensorIteratorBaseERKN3c106ScalarEENKUlvE_clEvENKUlvE1_clEvEUlNS5_4HalfEE_St5arrayIPcLm2EELi4E23TrivialOffsetCalculatorILi1EjESH_NS0_6memory15LoadWithoutCastENSI_16StoreWithoutCastEEEviT_T0_T2_T3_T4_T5_
	.p2align	8
	.type	_ZN2at6native27unrolled_elementwise_kernelIZZZNS0_12_GLOBAL__N_117hardshrink_kernelERNS_18TensorIteratorBaseERKN3c106ScalarEENKUlvE_clEvENKUlvE1_clEvEUlNS5_4HalfEE_St5arrayIPcLm2EELi4E23TrivialOffsetCalculatorILi1EjESH_NS0_6memory15LoadWithoutCastENSI_16StoreWithoutCastEEEviT_T0_T2_T3_T4_T5_,@function
_ZN2at6native27unrolled_elementwise_kernelIZZZNS0_12_GLOBAL__N_117hardshrink_kernelERNS_18TensorIteratorBaseERKN3c106ScalarEENKUlvE_clEvENKUlvE1_clEvEUlNS5_4HalfEE_St5arrayIPcLm2EELi4E23TrivialOffsetCalculatorILi1EjESH_NS0_6memory15LoadWithoutCastENSI_16StoreWithoutCastEEEviT_T0_T2_T3_T4_T5_: ; @_ZN2at6native27unrolled_elementwise_kernelIZZZNS0_12_GLOBAL__N_117hardshrink_kernelERNS_18TensorIteratorBaseERKN3c106ScalarEENKUlvE_clEvENKUlvE1_clEvEUlNS5_4HalfEE_St5arrayIPcLm2EELi4E23TrivialOffsetCalculatorILi1EjESH_NS0_6memory15LoadWithoutCastENSI_16StoreWithoutCastEEEviT_T0_T2_T3_T4_T5_
; %bb.0:
	s_load_dwordx2 s[2:3], s[4:5], 0x0
	s_load_dwordx4 s[8:11], s[4:5], 0x8
	s_lshl_b32 s6, s6, 10
	v_mov_b32_e32 v3, 0
	v_or_b32_e32 v1, s6, v0
	s_waitcnt lgkmcnt(0)
	s_sub_i32 s2, s2, s6
	v_cmp_gt_i32_e32 vcc, s2, v0
	v_mov_b32_e32 v5, 0
	v_mov_b32_e32 v2, v0
	s_and_saveexec_b64 s[4:5], vcc
	s_cbranch_execz .LBB20_2
; %bb.1:
	v_mov_b32_e32 v2, 0
	v_lshlrev_b64 v[4:5], 1, v[1:2]
	v_mov_b32_e32 v2, s11
	v_add_co_u32_e64 v4, s[0:1], s10, v4
	v_addc_co_u32_e64 v5, s[0:1], v2, v5, s[0:1]
	global_load_ushort v5, v[4:5], off
	v_or_b32_e32 v2, 0x100, v0
.LBB20_2:
	s_or_b64 exec, exec, s[4:5]
	v_cmp_gt_i32_e64 s[0:1], s2, v2
	s_and_saveexec_b64 s[4:5], s[0:1]
	s_cbranch_execz .LBB20_4
; %bb.3:
	v_add_u32_e32 v3, s6, v2
	v_mov_b32_e32 v4, 0
	v_lshlrev_b64 v[3:4], 1, v[3:4]
	v_mov_b32_e32 v6, s11
	v_add_co_u32_e64 v3, s[0:1], s10, v3
	v_addc_co_u32_e64 v4, s[0:1], v6, v4, s[0:1]
	global_load_ushort v3, v[3:4], off
	v_add_u32_e32 v2, 0x100, v2
.LBB20_4:
	s_or_b64 exec, exec, s[4:5]
	v_cmp_gt_i32_e64 s[0:1], s2, v2
	v_mov_b32_e32 v4, 0
	v_mov_b32_e32 v6, 0
	s_and_saveexec_b64 s[4:5], s[0:1]
	s_cbranch_execnz .LBB20_12
; %bb.5:
	s_or_b64 exec, exec, s[4:5]
	v_cmp_gt_i32_e64 s[0:1], s2, v2
	s_and_saveexec_b64 s[4:5], s[0:1]
	s_cbranch_execnz .LBB20_13
.LBB20_6:
	s_or_b64 exec, exec, s[4:5]
	s_and_saveexec_b64 s[0:1], vcc
	s_cbranch_execz .LBB20_8
.LBB20_7:
	v_mov_b32_e32 v2, 0
	v_lshlrev_b64 v[1:2], 1, v[1:2]
	v_mov_b32_e32 v7, s9
	v_add_co_u32_e32 v1, vcc, s8, v1
	v_addc_co_u32_e32 v2, vcc, v7, v2, vcc
	s_waitcnt vmcnt(0)
	v_cmp_nge_f16_e64 s[4:5], v5, -s3
	v_cmp_nge_f16_e32 vcc, s3, v5
	s_or_b64 vcc, s[4:5], vcc
	v_or_b32_e32 v0, 0x100, v0
	v_cndmask_b32_e32 v5, 0, v5, vcc
	global_store_short v[1:2], v5, off
.LBB20_8:
	s_or_b64 exec, exec, s[0:1]
	s_xor_b32 s7, s3, 0x8000
	v_cmp_gt_i32_e32 vcc, s2, v0
	s_and_saveexec_b64 s[4:5], vcc
	s_cbranch_execnz .LBB20_14
; %bb.9:
	s_or_b64 exec, exec, s[4:5]
	v_cmp_gt_i32_e32 vcc, s2, v0
	s_and_saveexec_b64 s[4:5], vcc
	s_cbranch_execnz .LBB20_15
.LBB20_10:
	s_or_b64 exec, exec, s[4:5]
	v_cmp_gt_i32_e32 vcc, s2, v0
	s_and_saveexec_b64 s[0:1], vcc
	s_cbranch_execnz .LBB20_16
.LBB20_11:
	s_endpgm
.LBB20_12:
	v_add_u32_e32 v6, s6, v2
	v_mov_b32_e32 v7, 0
	v_lshlrev_b64 v[6:7], 1, v[6:7]
	v_mov_b32_e32 v8, s11
	v_add_co_u32_e64 v6, s[0:1], s10, v6
	v_addc_co_u32_e64 v7, s[0:1], v8, v7, s[0:1]
	global_load_ushort v6, v[6:7], off
	v_add_u32_e32 v2, 0x100, v2
	s_or_b64 exec, exec, s[4:5]
	v_cmp_gt_i32_e64 s[0:1], s2, v2
	s_and_saveexec_b64 s[4:5], s[0:1]
	s_cbranch_execz .LBB20_6
.LBB20_13:
	v_add_u32_e32 v7, s6, v2
	v_mov_b32_e32 v8, 0
	v_lshlrev_b64 v[7:8], 1, v[7:8]
	v_mov_b32_e32 v2, s11
	v_add_co_u32_e64 v7, s[0:1], s10, v7
	v_addc_co_u32_e64 v8, s[0:1], v2, v8, s[0:1]
	global_load_ushort v4, v[7:8], off
	s_or_b64 exec, exec, s[4:5]
	s_and_saveexec_b64 s[0:1], vcc
	s_cbranch_execnz .LBB20_7
	s_branch .LBB20_8
.LBB20_14:
	s_waitcnt vmcnt(0)
	v_cmp_nle_f16_e32 vcc, s7, v3
	v_cmp_nge_f16_e64 s[0:1], s3, v3
	s_or_b64 vcc, vcc, s[0:1]
	v_cndmask_b32_e32 v2, 0, v3, vcc
	v_add_u32_e32 v3, 0x100, v0
	v_add_u32_e32 v0, s6, v0
	v_mov_b32_e32 v1, 0
	v_lshlrev_b64 v[0:1], 1, v[0:1]
	v_mov_b32_e32 v5, s9
	v_add_co_u32_e32 v0, vcc, s8, v0
	v_addc_co_u32_e32 v1, vcc, v5, v1, vcc
	global_store_short v[0:1], v2, off
	v_mov_b32_e32 v0, v3
	s_or_b64 exec, exec, s[4:5]
	v_cmp_gt_i32_e32 vcc, s2, v0
	s_and_saveexec_b64 s[4:5], vcc
	s_cbranch_execz .LBB20_10
.LBB20_15:
	s_waitcnt vmcnt(0)
	v_add_u32_e32 v3, 0x100, v0
	v_add_u32_e32 v0, s6, v0
	v_mov_b32_e32 v1, 0
	v_cmp_nle_f16_e32 vcc, s7, v6
	v_cmp_nge_f16_e64 s[0:1], s3, v6
	v_lshlrev_b64 v[0:1], 1, v[0:1]
	s_or_b64 vcc, vcc, s[0:1]
	v_cndmask_b32_e32 v2, 0, v6, vcc
	v_mov_b32_e32 v5, s9
	v_add_co_u32_e32 v0, vcc, s8, v0
	v_addc_co_u32_e32 v1, vcc, v5, v1, vcc
	global_store_short v[0:1], v2, off
	v_mov_b32_e32 v0, v3
	s_or_b64 exec, exec, s[4:5]
	v_cmp_gt_i32_e32 vcc, s2, v0
	s_and_saveexec_b64 s[0:1], vcc
	s_cbranch_execz .LBB20_11
.LBB20_16:
	v_add_u32_e32 v0, s6, v0
	v_mov_b32_e32 v1, 0
	s_waitcnt vmcnt(0)
	v_cmp_nle_f16_e32 vcc, s7, v4
	v_cmp_nge_f16_e64 s[0:1], s3, v4
	v_lshlrev_b64 v[0:1], 1, v[0:1]
	s_or_b64 vcc, vcc, s[0:1]
	v_cndmask_b32_e32 v2, 0, v4, vcc
	v_mov_b32_e32 v3, s9
	v_add_co_u32_e32 v0, vcc, s8, v0
	v_addc_co_u32_e32 v1, vcc, v3, v1, vcc
	global_store_short v[0:1], v2, off
	s_endpgm
	.section	.rodata,"a",@progbits
	.p2align	6, 0x0
	.amdhsa_kernel _ZN2at6native27unrolled_elementwise_kernelIZZZNS0_12_GLOBAL__N_117hardshrink_kernelERNS_18TensorIteratorBaseERKN3c106ScalarEENKUlvE_clEvENKUlvE1_clEvEUlNS5_4HalfEE_St5arrayIPcLm2EELi4E23TrivialOffsetCalculatorILi1EjESH_NS0_6memory15LoadWithoutCastENSI_16StoreWithoutCastEEEviT_T0_T2_T3_T4_T5_
		.amdhsa_group_segment_fixed_size 0
		.amdhsa_private_segment_fixed_size 0
		.amdhsa_kernarg_size 28
		.amdhsa_user_sgpr_count 6
		.amdhsa_user_sgpr_private_segment_buffer 1
		.amdhsa_user_sgpr_dispatch_ptr 0
		.amdhsa_user_sgpr_queue_ptr 0
		.amdhsa_user_sgpr_kernarg_segment_ptr 1
		.amdhsa_user_sgpr_dispatch_id 0
		.amdhsa_user_sgpr_flat_scratch_init 0
		.amdhsa_user_sgpr_private_segment_size 0
		.amdhsa_uses_dynamic_stack 0
		.amdhsa_system_sgpr_private_segment_wavefront_offset 0
		.amdhsa_system_sgpr_workgroup_id_x 1
		.amdhsa_system_sgpr_workgroup_id_y 0
		.amdhsa_system_sgpr_workgroup_id_z 0
		.amdhsa_system_sgpr_workgroup_info 0
		.amdhsa_system_vgpr_workitem_id 0
		.amdhsa_next_free_vgpr 9
		.amdhsa_next_free_sgpr 12
		.amdhsa_reserve_vcc 1
		.amdhsa_reserve_flat_scratch 0
		.amdhsa_float_round_mode_32 0
		.amdhsa_float_round_mode_16_64 0
		.amdhsa_float_denorm_mode_32 3
		.amdhsa_float_denorm_mode_16_64 3
		.amdhsa_dx10_clamp 1
		.amdhsa_ieee_mode 1
		.amdhsa_fp16_overflow 0
		.amdhsa_exception_fp_ieee_invalid_op 0
		.amdhsa_exception_fp_denorm_src 0
		.amdhsa_exception_fp_ieee_div_zero 0
		.amdhsa_exception_fp_ieee_overflow 0
		.amdhsa_exception_fp_ieee_underflow 0
		.amdhsa_exception_fp_ieee_inexact 0
		.amdhsa_exception_int_div_zero 0
	.end_amdhsa_kernel
	.section	.text._ZN2at6native27unrolled_elementwise_kernelIZZZNS0_12_GLOBAL__N_117hardshrink_kernelERNS_18TensorIteratorBaseERKN3c106ScalarEENKUlvE_clEvENKUlvE1_clEvEUlNS5_4HalfEE_St5arrayIPcLm2EELi4E23TrivialOffsetCalculatorILi1EjESH_NS0_6memory15LoadWithoutCastENSI_16StoreWithoutCastEEEviT_T0_T2_T3_T4_T5_,"axG",@progbits,_ZN2at6native27unrolled_elementwise_kernelIZZZNS0_12_GLOBAL__N_117hardshrink_kernelERNS_18TensorIteratorBaseERKN3c106ScalarEENKUlvE_clEvENKUlvE1_clEvEUlNS5_4HalfEE_St5arrayIPcLm2EELi4E23TrivialOffsetCalculatorILi1EjESH_NS0_6memory15LoadWithoutCastENSI_16StoreWithoutCastEEEviT_T0_T2_T3_T4_T5_,comdat
.Lfunc_end20:
	.size	_ZN2at6native27unrolled_elementwise_kernelIZZZNS0_12_GLOBAL__N_117hardshrink_kernelERNS_18TensorIteratorBaseERKN3c106ScalarEENKUlvE_clEvENKUlvE1_clEvEUlNS5_4HalfEE_St5arrayIPcLm2EELi4E23TrivialOffsetCalculatorILi1EjESH_NS0_6memory15LoadWithoutCastENSI_16StoreWithoutCastEEEviT_T0_T2_T3_T4_T5_, .Lfunc_end20-_ZN2at6native27unrolled_elementwise_kernelIZZZNS0_12_GLOBAL__N_117hardshrink_kernelERNS_18TensorIteratorBaseERKN3c106ScalarEENKUlvE_clEvENKUlvE1_clEvEUlNS5_4HalfEE_St5arrayIPcLm2EELi4E23TrivialOffsetCalculatorILi1EjESH_NS0_6memory15LoadWithoutCastENSI_16StoreWithoutCastEEEviT_T0_T2_T3_T4_T5_
                                        ; -- End function
	.set _ZN2at6native27unrolled_elementwise_kernelIZZZNS0_12_GLOBAL__N_117hardshrink_kernelERNS_18TensorIteratorBaseERKN3c106ScalarEENKUlvE_clEvENKUlvE1_clEvEUlNS5_4HalfEE_St5arrayIPcLm2EELi4E23TrivialOffsetCalculatorILi1EjESH_NS0_6memory15LoadWithoutCastENSI_16StoreWithoutCastEEEviT_T0_T2_T3_T4_T5_.num_vgpr, 9
	.set _ZN2at6native27unrolled_elementwise_kernelIZZZNS0_12_GLOBAL__N_117hardshrink_kernelERNS_18TensorIteratorBaseERKN3c106ScalarEENKUlvE_clEvENKUlvE1_clEvEUlNS5_4HalfEE_St5arrayIPcLm2EELi4E23TrivialOffsetCalculatorILi1EjESH_NS0_6memory15LoadWithoutCastENSI_16StoreWithoutCastEEEviT_T0_T2_T3_T4_T5_.num_agpr, 0
	.set _ZN2at6native27unrolled_elementwise_kernelIZZZNS0_12_GLOBAL__N_117hardshrink_kernelERNS_18TensorIteratorBaseERKN3c106ScalarEENKUlvE_clEvENKUlvE1_clEvEUlNS5_4HalfEE_St5arrayIPcLm2EELi4E23TrivialOffsetCalculatorILi1EjESH_NS0_6memory15LoadWithoutCastENSI_16StoreWithoutCastEEEviT_T0_T2_T3_T4_T5_.numbered_sgpr, 12
	.set _ZN2at6native27unrolled_elementwise_kernelIZZZNS0_12_GLOBAL__N_117hardshrink_kernelERNS_18TensorIteratorBaseERKN3c106ScalarEENKUlvE_clEvENKUlvE1_clEvEUlNS5_4HalfEE_St5arrayIPcLm2EELi4E23TrivialOffsetCalculatorILi1EjESH_NS0_6memory15LoadWithoutCastENSI_16StoreWithoutCastEEEviT_T0_T2_T3_T4_T5_.num_named_barrier, 0
	.set _ZN2at6native27unrolled_elementwise_kernelIZZZNS0_12_GLOBAL__N_117hardshrink_kernelERNS_18TensorIteratorBaseERKN3c106ScalarEENKUlvE_clEvENKUlvE1_clEvEUlNS5_4HalfEE_St5arrayIPcLm2EELi4E23TrivialOffsetCalculatorILi1EjESH_NS0_6memory15LoadWithoutCastENSI_16StoreWithoutCastEEEviT_T0_T2_T3_T4_T5_.private_seg_size, 0
	.set _ZN2at6native27unrolled_elementwise_kernelIZZZNS0_12_GLOBAL__N_117hardshrink_kernelERNS_18TensorIteratorBaseERKN3c106ScalarEENKUlvE_clEvENKUlvE1_clEvEUlNS5_4HalfEE_St5arrayIPcLm2EELi4E23TrivialOffsetCalculatorILi1EjESH_NS0_6memory15LoadWithoutCastENSI_16StoreWithoutCastEEEviT_T0_T2_T3_T4_T5_.uses_vcc, 1
	.set _ZN2at6native27unrolled_elementwise_kernelIZZZNS0_12_GLOBAL__N_117hardshrink_kernelERNS_18TensorIteratorBaseERKN3c106ScalarEENKUlvE_clEvENKUlvE1_clEvEUlNS5_4HalfEE_St5arrayIPcLm2EELi4E23TrivialOffsetCalculatorILi1EjESH_NS0_6memory15LoadWithoutCastENSI_16StoreWithoutCastEEEviT_T0_T2_T3_T4_T5_.uses_flat_scratch, 0
	.set _ZN2at6native27unrolled_elementwise_kernelIZZZNS0_12_GLOBAL__N_117hardshrink_kernelERNS_18TensorIteratorBaseERKN3c106ScalarEENKUlvE_clEvENKUlvE1_clEvEUlNS5_4HalfEE_St5arrayIPcLm2EELi4E23TrivialOffsetCalculatorILi1EjESH_NS0_6memory15LoadWithoutCastENSI_16StoreWithoutCastEEEviT_T0_T2_T3_T4_T5_.has_dyn_sized_stack, 0
	.set _ZN2at6native27unrolled_elementwise_kernelIZZZNS0_12_GLOBAL__N_117hardshrink_kernelERNS_18TensorIteratorBaseERKN3c106ScalarEENKUlvE_clEvENKUlvE1_clEvEUlNS5_4HalfEE_St5arrayIPcLm2EELi4E23TrivialOffsetCalculatorILi1EjESH_NS0_6memory15LoadWithoutCastENSI_16StoreWithoutCastEEEviT_T0_T2_T3_T4_T5_.has_recursion, 0
	.set _ZN2at6native27unrolled_elementwise_kernelIZZZNS0_12_GLOBAL__N_117hardshrink_kernelERNS_18TensorIteratorBaseERKN3c106ScalarEENKUlvE_clEvENKUlvE1_clEvEUlNS5_4HalfEE_St5arrayIPcLm2EELi4E23TrivialOffsetCalculatorILi1EjESH_NS0_6memory15LoadWithoutCastENSI_16StoreWithoutCastEEEviT_T0_T2_T3_T4_T5_.has_indirect_call, 0
	.section	.AMDGPU.csdata,"",@progbits
; Kernel info:
; codeLenInByte = 732
; TotalNumSgprs: 16
; NumVgprs: 9
; ScratchSize: 0
; MemoryBound: 0
; FloatMode: 240
; IeeeMode: 1
; LDSByteSize: 0 bytes/workgroup (compile time only)
; SGPRBlocks: 1
; VGPRBlocks: 2
; NumSGPRsForWavesPerEU: 16
; NumVGPRsForWavesPerEU: 9
; Occupancy: 10
; WaveLimiterHint : 0
; COMPUTE_PGM_RSRC2:SCRATCH_EN: 0
; COMPUTE_PGM_RSRC2:USER_SGPR: 6
; COMPUTE_PGM_RSRC2:TRAP_HANDLER: 0
; COMPUTE_PGM_RSRC2:TGID_X_EN: 1
; COMPUTE_PGM_RSRC2:TGID_Y_EN: 0
; COMPUTE_PGM_RSRC2:TGID_Z_EN: 0
; COMPUTE_PGM_RSRC2:TIDIG_COMP_CNT: 0
	.section	.text._ZN2at6native32elementwise_kernel_manual_unrollILi128ELi8EZNS0_22gpu_kernel_impl_nocastIZZZNS0_12_GLOBAL__N_117hardshrink_kernelERNS_18TensorIteratorBaseERKN3c106ScalarEENKUlvE_clEvENKUlvE1_clEvEUlNS6_4HalfEE_EEvS5_RKT_EUlibE_EEviT1_,"axG",@progbits,_ZN2at6native32elementwise_kernel_manual_unrollILi128ELi8EZNS0_22gpu_kernel_impl_nocastIZZZNS0_12_GLOBAL__N_117hardshrink_kernelERNS_18TensorIteratorBaseERKN3c106ScalarEENKUlvE_clEvENKUlvE1_clEvEUlNS6_4HalfEE_EEvS5_RKT_EUlibE_EEviT1_,comdat
	.globl	_ZN2at6native32elementwise_kernel_manual_unrollILi128ELi8EZNS0_22gpu_kernel_impl_nocastIZZZNS0_12_GLOBAL__N_117hardshrink_kernelERNS_18TensorIteratorBaseERKN3c106ScalarEENKUlvE_clEvENKUlvE1_clEvEUlNS6_4HalfEE_EEvS5_RKT_EUlibE_EEviT1_ ; -- Begin function _ZN2at6native32elementwise_kernel_manual_unrollILi128ELi8EZNS0_22gpu_kernel_impl_nocastIZZZNS0_12_GLOBAL__N_117hardshrink_kernelERNS_18TensorIteratorBaseERKN3c106ScalarEENKUlvE_clEvENKUlvE1_clEvEUlNS6_4HalfEE_EEvS5_RKT_EUlibE_EEviT1_
	.p2align	8
	.type	_ZN2at6native32elementwise_kernel_manual_unrollILi128ELi8EZNS0_22gpu_kernel_impl_nocastIZZZNS0_12_GLOBAL__N_117hardshrink_kernelERNS_18TensorIteratorBaseERKN3c106ScalarEENKUlvE_clEvENKUlvE1_clEvEUlNS6_4HalfEE_EEvS5_RKT_EUlibE_EEviT1_,@function
_ZN2at6native32elementwise_kernel_manual_unrollILi128ELi8EZNS0_22gpu_kernel_impl_nocastIZZZNS0_12_GLOBAL__N_117hardshrink_kernelERNS_18TensorIteratorBaseERKN3c106ScalarEENKUlvE_clEvENKUlvE1_clEvEUlNS6_4HalfEE_EEvS5_RKT_EUlibE_EEviT1_: ; @_ZN2at6native32elementwise_kernel_manual_unrollILi128ELi8EZNS0_22gpu_kernel_impl_nocastIZZZNS0_12_GLOBAL__N_117hardshrink_kernelERNS_18TensorIteratorBaseERKN3c106ScalarEENKUlvE_clEvENKUlvE1_clEvEUlNS6_4HalfEE_EEvS5_RKT_EUlibE_EEviT1_
; %bb.0:
	s_load_dword s56, s[4:5], 0x0
	s_load_dword s33, s[4:5], 0x8
	s_add_u32 s34, s4, 8
	s_addc_u32 s35, s5, 0
	v_lshl_or_b32 v19, s6, 10, v0
	v_or_b32_e32 v25, 0x380, v19
	s_waitcnt lgkmcnt(0)
	s_add_i32 s54, s33, -1
	s_cmp_gt_u32 s54, 1
	v_cmp_le_i32_e32 vcc, s56, v25
	s_cselect_b64 s[36:37], -1, 0
	s_and_saveexec_b64 s[0:1], vcc
	s_xor_b64 s[38:39], exec, s[0:1]
	s_cbranch_execz .LBB21_7
; %bb.1:
	s_load_dwordx4 s[24:27], s[34:35], 0x4
	s_load_dwordx2 s[40:41], s[34:35], 0x14
	s_load_dwordx4 s[20:23], s[34:35], 0xc4
	s_load_dwordx4 s[16:19], s[34:35], 0x148
	s_load_dword s55, s[34:35], 0x158
	s_cmp_lg_u32 s33, 0
	s_cselect_b64 s[46:47], -1, 0
	s_add_u32 s44, s34, 0xc4
	s_addc_u32 s45, s35, 0
	s_min_u32 s57, s54, 15
	s_cmp_gt_u32 s33, 1
	s_cselect_b64 s[42:43], -1, 0
	v_cmp_gt_i32_e32 vcc, s56, v19
	s_and_saveexec_b64 s[48:49], vcc
	s_cbranch_execz .LBB21_14
; %bb.2:
	s_andn2_b64 vcc, exec, s[36:37]
	s_cbranch_vccnz .LBB21_21
; %bb.3:
	s_andn2_b64 vcc, exec, s[46:47]
	s_cbranch_vccnz .LBB21_129
; %bb.4:
	s_add_i32 s59, s57, 1
	s_cmp_eq_u32 s54, 2
	s_cbranch_scc1 .LBB21_131
; %bb.5:
	s_and_b32 s58, s59, 28
	v_mov_b32_e32 v2, 0
	s_mov_b32 s60, 0
	s_mov_b64 s[50:51], s[34:35]
	s_mov_b64 s[52:53], s[44:45]
	v_mov_b32_e32 v0, 0
	v_mov_b32_e32 v1, v19
.LBB21_6:                               ; =>This Inner Loop Header: Depth=1
	s_load_dwordx8 s[8:15], s[50:51], 0x4
	s_load_dwordx4 s[28:31], s[50:51], 0x24
	s_load_dwordx8 s[0:7], s[52:53], 0x0
	s_add_u32 s50, s50, 48
	s_addc_u32 s51, s51, 0
	s_waitcnt lgkmcnt(0)
	v_mul_hi_u32 v3, s9, v1
	s_add_i32 s60, s60, 4
	s_add_u32 s52, s52, 32
	s_addc_u32 s53, s53, 0
	v_add_u32_e32 v3, v1, v3
	v_lshrrev_b32_e32 v3, s10, v3
	v_mul_lo_u32 v4, v3, s8
	v_mul_hi_u32 v5, s12, v3
	s_cmp_lg_u32 s58, s60
	v_sub_u32_e32 v1, v1, v4
	v_add_u32_e32 v4, v3, v5
	v_mul_lo_u32 v5, v1, s0
	v_mul_lo_u32 v6, v1, s1
	v_lshrrev_b32_e32 v1, s13, v4
	v_mul_lo_u32 v4, v1, s11
	v_mul_hi_u32 v7, s15, v1
	v_sub_u32_e32 v3, v3, v4
	v_add_u32_e32 v4, v1, v7
	v_lshrrev_b32_e32 v4, s28, v4
	v_mul_hi_u32 v8, s30, v4
	v_mul_lo_u32 v9, v4, s14
	v_mul_lo_u32 v7, v3, s2
	;; [unrolled: 1-line block ×3, first 2 shown]
	v_sub_u32_e32 v9, v1, v9
	v_add_u32_e32 v1, v4, v8
	v_lshrrev_b32_e32 v1, s31, v1
	v_mul_lo_u32 v8, v1, s29
	v_mul_lo_u32 v10, v9, s4
	;; [unrolled: 1-line block ×3, first 2 shown]
	v_add3_u32 v0, v5, v0, v7
	v_sub_u32_e32 v4, v4, v8
	v_mul_lo_u32 v8, v4, s6
	v_mul_lo_u32 v4, v4, s7
	v_add3_u32 v2, v6, v2, v3
	v_add3_u32 v0, v10, v0, v8
	;; [unrolled: 1-line block ×3, first 2 shown]
	s_cbranch_scc1 .LBB21_6
	s_branch .LBB21_132
.LBB21_7:
	s_andn2_saveexec_b64 s[0:1], s[38:39]
	s_cbranch_execz .LBB21_221
.LBB21_8:
	v_cndmask_b32_e64 v0, 0, 1, s[36:37]
	v_cmp_ne_u32_e64 s[0:1], 1, v0
	s_andn2_b64 vcc, exec, s[36:37]
	s_cbranch_vccnz .LBB21_20
; %bb.9:
	s_cmp_lg_u32 s33, 0
	s_waitcnt lgkmcnt(0)
	s_mov_b32 s26, 0
	s_cbranch_scc0 .LBB21_23
; %bb.10:
	s_min_u32 s27, s54, 15
	s_add_i32 s27, s27, 1
	s_cmp_eq_u32 s54, 2
	s_cbranch_scc1 .LBB21_24
; %bb.11:
	s_and_b32 s26, s27, 28
	s_add_u32 s2, s34, 0xc4
	s_addc_u32 s3, s35, 0
	v_mov_b32_e32 v2, 0
	s_mov_b32 s28, 0
	s_mov_b64 s[24:25], s[34:35]
	v_mov_b32_e32 v0, 0
	v_mov_b32_e32 v1, v19
.LBB21_12:                              ; =>This Inner Loop Header: Depth=1
	s_load_dwordx8 s[12:19], s[24:25], 0x4
	s_load_dwordx4 s[20:23], s[24:25], 0x24
	s_load_dwordx8 s[4:11], s[2:3], 0x0
	s_add_u32 s24, s24, 48
	s_addc_u32 s25, s25, 0
	s_waitcnt lgkmcnt(0)
	v_mul_hi_u32 v3, s13, v1
	s_add_i32 s28, s28, 4
	s_add_u32 s2, s2, 32
	s_addc_u32 s3, s3, 0
	v_add_u32_e32 v3, v1, v3
	v_lshrrev_b32_e32 v3, s14, v3
	v_mul_lo_u32 v4, v3, s12
	v_mul_hi_u32 v5, s16, v3
	s_cmp_lg_u32 s26, s28
	v_sub_u32_e32 v1, v1, v4
	v_add_u32_e32 v4, v3, v5
	v_mul_lo_u32 v5, v1, s4
	v_mul_lo_u32 v6, v1, s5
	v_lshrrev_b32_e32 v1, s17, v4
	v_mul_lo_u32 v4, v1, s15
	v_mul_hi_u32 v7, s19, v1
	v_sub_u32_e32 v3, v3, v4
	v_add_u32_e32 v4, v1, v7
	v_lshrrev_b32_e32 v4, s20, v4
	v_mul_hi_u32 v8, s22, v4
	v_mul_lo_u32 v9, v4, s18
	v_mul_lo_u32 v7, v3, s6
	v_mul_lo_u32 v3, v3, s7
	v_sub_u32_e32 v9, v1, v9
	v_add_u32_e32 v1, v4, v8
	v_lshrrev_b32_e32 v1, s23, v1
	v_mul_lo_u32 v8, v1, s21
	v_mul_lo_u32 v10, v9, s8
	v_mul_lo_u32 v9, v9, s9
	v_add3_u32 v0, v5, v0, v7
	v_sub_u32_e32 v4, v4, v8
	v_mul_lo_u32 v8, v4, s10
	v_mul_lo_u32 v4, v4, s11
	v_add3_u32 v2, v6, v2, v3
	v_add3_u32 v0, v10, v0, v8
	;; [unrolled: 1-line block ×3, first 2 shown]
	s_cbranch_scc1 .LBB21_12
; %bb.13:
	s_and_b32 s6, s27, 3
	s_cmp_eq_u32 s6, 0
	s_cbranch_scc0 .LBB21_25
	s_branch .LBB21_27
.LBB21_14:
	s_or_b64 exec, exec, s[48:49]
	v_cmp_gt_i32_e32 vcc, s56, v19
	s_and_saveexec_b64 s[48:49], vcc
	s_cbranch_execz .LBB21_139
.LBB21_15:
	s_andn2_b64 vcc, exec, s[36:37]
	s_cbranch_vccnz .LBB21_22
; %bb.16:
	s_andn2_b64 vcc, exec, s[46:47]
	s_cbranch_vccnz .LBB21_130
; %bb.17:
	s_add_i32 s59, s57, 1
	s_cmp_eq_u32 s54, 2
	s_cbranch_scc1 .LBB21_147
; %bb.18:
	s_and_b32 s58, s59, 28
	v_mov_b32_e32 v2, 0
	s_mov_b32 s60, 0
	s_mov_b64 s[50:51], s[34:35]
	s_mov_b64 s[52:53], s[44:45]
	v_mov_b32_e32 v0, 0
	v_mov_b32_e32 v1, v19
.LBB21_19:                              ; =>This Inner Loop Header: Depth=1
	s_load_dwordx8 s[8:15], s[50:51], 0x4
	s_load_dwordx4 s[28:31], s[50:51], 0x24
	s_load_dwordx8 s[0:7], s[52:53], 0x0
	s_add_u32 s50, s50, 48
	s_addc_u32 s51, s51, 0
	s_waitcnt lgkmcnt(0)
	v_mul_hi_u32 v3, s9, v1
	s_add_i32 s60, s60, 4
	s_add_u32 s52, s52, 32
	s_addc_u32 s53, s53, 0
	v_add_u32_e32 v3, v1, v3
	v_lshrrev_b32_e32 v3, s10, v3
	v_mul_lo_u32 v4, v3, s8
	v_mul_hi_u32 v5, s12, v3
	s_cmp_eq_u32 s58, s60
	v_sub_u32_e32 v1, v1, v4
	v_add_u32_e32 v4, v3, v5
	v_mul_lo_u32 v5, v1, s0
	v_mul_lo_u32 v6, v1, s1
	v_lshrrev_b32_e32 v1, s13, v4
	v_mul_lo_u32 v4, v1, s11
	v_mul_hi_u32 v7, s15, v1
	v_sub_u32_e32 v3, v3, v4
	v_add_u32_e32 v4, v1, v7
	v_lshrrev_b32_e32 v4, s28, v4
	v_mul_hi_u32 v8, s30, v4
	v_mul_lo_u32 v9, v4, s14
	v_mul_lo_u32 v7, v3, s2
	;; [unrolled: 1-line block ×3, first 2 shown]
	v_sub_u32_e32 v9, v1, v9
	v_add_u32_e32 v1, v4, v8
	v_lshrrev_b32_e32 v1, s31, v1
	v_mul_lo_u32 v8, v1, s29
	v_mul_lo_u32 v10, v9, s4
	;; [unrolled: 1-line block ×3, first 2 shown]
	v_add3_u32 v0, v5, v0, v7
	v_sub_u32_e32 v4, v4, v8
	v_mul_lo_u32 v8, v4, s6
	v_mul_lo_u32 v4, v4, s7
	v_add3_u32 v2, v6, v2, v3
	v_add3_u32 v0, v10, v0, v8
	;; [unrolled: 1-line block ×3, first 2 shown]
	s_cbranch_scc0 .LBB21_19
	s_branch .LBB21_148
.LBB21_20:
                                        ; implicit-def: $vgpr0
                                        ; implicit-def: $vgpr2
	s_branch .LBB21_28
.LBB21_21:
                                        ; implicit-def: $vgpr0
                                        ; implicit-def: $vgpr2
	s_branch .LBB21_136
.LBB21_22:
                                        ; implicit-def: $vgpr0
                                        ; implicit-def: $vgpr2
	s_branch .LBB21_152
.LBB21_23:
	v_mov_b32_e32 v0, 0
	v_mov_b32_e32 v2, 0
	s_branch .LBB21_27
.LBB21_24:
	v_mov_b32_e32 v0, 0
	v_mov_b32_e32 v2, 0
	;; [unrolled: 1-line block ×3, first 2 shown]
	s_and_b32 s6, s27, 3
	s_cmp_eq_u32 s6, 0
	s_cbranch_scc1 .LBB21_27
.LBB21_25:
	s_lshl_b32 s2, s26, 3
	s_add_u32 s2, s34, s2
	s_addc_u32 s3, s35, 0
	s_add_u32 s2, s2, 0xc4
	s_addc_u32 s3, s3, 0
	s_mul_i32 s4, s26, 12
	s_add_u32 s4, s34, s4
	s_addc_u32 s5, s35, 0
.LBB21_26:                              ; =>This Inner Loop Header: Depth=1
	s_load_dwordx2 s[8:9], s[4:5], 0x4
	s_load_dword s7, s[4:5], 0xc
	s_load_dwordx2 s[10:11], s[2:3], 0x0
	s_add_u32 s4, s4, 12
	s_addc_u32 s5, s5, 0
	s_waitcnt lgkmcnt(0)
	v_mul_hi_u32 v4, s9, v1
	s_add_u32 s2, s2, 8
	s_addc_u32 s3, s3, 0
	s_add_i32 s6, s6, -1
	v_add_u32_e32 v4, v1, v4
	v_lshrrev_b32_e32 v4, s7, v4
	v_mul_lo_u32 v5, v4, s8
	s_cmp_lg_u32 s6, 0
	v_sub_u32_e32 v5, v1, v5
	v_mad_u64_u32 v[0:1], s[8:9], v5, s10, v[0:1]
	v_mad_u64_u32 v[2:3], s[8:9], v5, s11, v[2:3]
	v_mov_b32_e32 v1, v4
	s_cbranch_scc1 .LBB21_26
.LBB21_27:
	s_cbranch_execnz .LBB21_30
.LBB21_28:
	s_load_dwordx4 s[4:7], s[34:35], 0x4
	s_load_dwordx2 s[2:3], s[34:35], 0xc4
	s_cmp_lt_u32 s33, 2
	s_waitcnt lgkmcnt(0)
	v_mul_hi_u32 v0, s5, v19
	v_add_u32_e32 v0, v19, v0
	v_lshrrev_b32_e32 v1, s6, v0
	v_mul_lo_u32 v0, v1, s4
	v_sub_u32_e32 v2, v19, v0
	v_mul_lo_u32 v0, v2, s2
	v_mul_lo_u32 v2, v2, s3
	s_cbranch_scc1 .LBB21_30
; %bb.29:
	s_load_dwordx4 s[4:7], s[34:35], 0x10
	s_load_dwordx2 s[2:3], s[34:35], 0xcc
	s_waitcnt lgkmcnt(0)
	v_mul_hi_u32 v3, s5, v1
	v_add_u32_e32 v3, v1, v3
	v_lshrrev_b32_e32 v3, s6, v3
	v_mul_lo_u32 v3, v3, s4
	v_sub_u32_e32 v3, v1, v3
	v_mad_u64_u32 v[0:1], s[4:5], v3, s2, v[0:1]
	v_mad_u64_u32 v[2:3], s[2:3], v3, s3, v[2:3]
.LBB21_30:
	s_and_b64 vcc, exec, s[0:1]
	v_add_u32_e32 v1, 0x80, v19
	s_cbranch_vccnz .LBB21_36
; %bb.31:
	s_cmp_lg_u32 s33, 0
	s_waitcnt lgkmcnt(0)
	s_mov_b32 s26, 0
	s_cbranch_scc0 .LBB21_37
; %bb.32:
	s_min_u32 s27, s54, 15
	s_add_i32 s27, s27, 1
	s_cmp_eq_u32 s54, 2
	s_cbranch_scc1 .LBB21_38
; %bb.33:
	s_and_b32 s26, s27, 28
	s_add_u32 s2, s34, 0xc4
	s_addc_u32 s3, s35, 0
	v_mov_b32_e32 v5, 0
	s_mov_b32 s28, 0
	s_mov_b64 s[24:25], s[34:35]
	v_mov_b32_e32 v3, 0
	v_mov_b32_e32 v4, v1
.LBB21_34:                              ; =>This Inner Loop Header: Depth=1
	s_load_dwordx8 s[12:19], s[24:25], 0x4
	s_load_dwordx4 s[20:23], s[24:25], 0x24
	s_load_dwordx8 s[4:11], s[2:3], 0x0
	s_add_u32 s24, s24, 48
	s_addc_u32 s25, s25, 0
	s_waitcnt lgkmcnt(0)
	v_mul_hi_u32 v6, s13, v4
	s_add_i32 s28, s28, 4
	s_add_u32 s2, s2, 32
	s_addc_u32 s3, s3, 0
	v_add_u32_e32 v6, v4, v6
	v_lshrrev_b32_e32 v6, s14, v6
	v_mul_lo_u32 v7, v6, s12
	v_mul_hi_u32 v8, s16, v6
	s_cmp_lg_u32 s26, s28
	v_sub_u32_e32 v4, v4, v7
	v_add_u32_e32 v7, v6, v8
	v_mul_lo_u32 v8, v4, s4
	v_mul_lo_u32 v9, v4, s5
	v_lshrrev_b32_e32 v4, s17, v7
	v_mul_lo_u32 v7, v4, s15
	v_mul_hi_u32 v10, s19, v4
	v_sub_u32_e32 v6, v6, v7
	v_add_u32_e32 v7, v4, v10
	v_lshrrev_b32_e32 v7, s20, v7
	v_mul_hi_u32 v11, s22, v7
	v_mul_lo_u32 v12, v7, s18
	v_mul_lo_u32 v10, v6, s6
	;; [unrolled: 1-line block ×3, first 2 shown]
	v_sub_u32_e32 v12, v4, v12
	v_add_u32_e32 v4, v7, v11
	v_lshrrev_b32_e32 v4, s23, v4
	v_mul_lo_u32 v11, v4, s21
	v_mul_lo_u32 v13, v12, s8
	;; [unrolled: 1-line block ×3, first 2 shown]
	v_add3_u32 v3, v8, v3, v10
	v_sub_u32_e32 v7, v7, v11
	v_mul_lo_u32 v11, v7, s10
	v_mul_lo_u32 v7, v7, s11
	v_add3_u32 v5, v9, v5, v6
	v_add3_u32 v3, v13, v3, v11
	;; [unrolled: 1-line block ×3, first 2 shown]
	s_cbranch_scc1 .LBB21_34
; %bb.35:
	s_and_b32 s6, s27, 3
	s_cmp_eq_u32 s6, 0
	s_cbranch_scc0 .LBB21_39
	s_branch .LBB21_41
.LBB21_36:
                                        ; implicit-def: $vgpr3
                                        ; implicit-def: $vgpr5
	s_branch .LBB21_42
.LBB21_37:
	v_mov_b32_e32 v3, 0
	v_mov_b32_e32 v5, 0
	s_branch .LBB21_41
.LBB21_38:
	v_mov_b32_e32 v3, 0
	v_mov_b32_e32 v5, 0
	;; [unrolled: 1-line block ×3, first 2 shown]
	s_and_b32 s6, s27, 3
	s_cmp_eq_u32 s6, 0
	s_cbranch_scc1 .LBB21_41
.LBB21_39:
	s_lshl_b32 s2, s26, 3
	s_add_u32 s2, s34, s2
	s_addc_u32 s3, s35, 0
	s_add_u32 s2, s2, 0xc4
	s_addc_u32 s3, s3, 0
	s_mul_i32 s4, s26, 12
	s_add_u32 s4, s34, s4
	s_addc_u32 s5, s35, 0
.LBB21_40:                              ; =>This Inner Loop Header: Depth=1
	s_load_dwordx2 s[8:9], s[4:5], 0x4
	s_load_dword s7, s[4:5], 0xc
	s_load_dwordx2 s[10:11], s[2:3], 0x0
	s_add_u32 s4, s4, 12
	s_addc_u32 s5, s5, 0
	s_waitcnt lgkmcnt(0)
	v_mul_hi_u32 v7, s9, v4
	s_add_u32 s2, s2, 8
	s_addc_u32 s3, s3, 0
	s_add_i32 s6, s6, -1
	v_add_u32_e32 v7, v4, v7
	v_lshrrev_b32_e32 v7, s7, v7
	v_mul_lo_u32 v8, v7, s8
	s_cmp_lg_u32 s6, 0
	v_sub_u32_e32 v8, v4, v8
	v_mad_u64_u32 v[3:4], s[8:9], v8, s10, v[3:4]
	v_mad_u64_u32 v[5:6], s[8:9], v8, s11, v[5:6]
	v_mov_b32_e32 v4, v7
	s_cbranch_scc1 .LBB21_40
.LBB21_41:
	s_cbranch_execnz .LBB21_44
.LBB21_42:
	s_load_dwordx4 s[4:7], s[34:35], 0x4
	s_load_dwordx2 s[2:3], s[34:35], 0xc4
	s_cmp_lt_u32 s33, 2
	s_waitcnt lgkmcnt(0)
	v_mul_hi_u32 v3, s5, v1
	v_add_u32_e32 v3, v1, v3
	v_lshrrev_b32_e32 v4, s6, v3
	v_mul_lo_u32 v3, v4, s4
	v_sub_u32_e32 v1, v1, v3
	v_mul_lo_u32 v3, v1, s2
	v_mul_lo_u32 v5, v1, s3
	s_cbranch_scc1 .LBB21_44
; %bb.43:
	s_load_dwordx4 s[4:7], s[34:35], 0x10
	s_load_dwordx2 s[2:3], s[34:35], 0xcc
	s_waitcnt lgkmcnt(0)
	v_mul_hi_u32 v1, s5, v4
	v_add_u32_e32 v1, v4, v1
	v_lshrrev_b32_e32 v1, s6, v1
	v_mul_lo_u32 v1, v1, s4
	v_sub_u32_e32 v1, v4, v1
	v_mad_u64_u32 v[3:4], s[4:5], v1, s2, v[3:4]
	v_mad_u64_u32 v[5:6], s[2:3], v1, s3, v[5:6]
.LBB21_44:
	s_and_b64 vcc, exec, s[0:1]
	v_add_u32_e32 v1, 0x100, v19
	s_cbranch_vccnz .LBB21_50
; %bb.45:
	s_cmp_lg_u32 s33, 0
	s_waitcnt lgkmcnt(0)
	s_mov_b32 s26, 0
	s_cbranch_scc0 .LBB21_51
; %bb.46:
	s_min_u32 s27, s54, 15
	s_add_i32 s27, s27, 1
	s_cmp_eq_u32 s54, 2
	s_cbranch_scc1 .LBB21_52
; %bb.47:
	s_and_b32 s26, s27, 28
	s_add_u32 s2, s34, 0xc4
	s_addc_u32 s3, s35, 0
	v_mov_b32_e32 v8, 0
	s_mov_b32 s28, 0
	s_mov_b64 s[24:25], s[34:35]
	v_mov_b32_e32 v6, 0
	v_mov_b32_e32 v4, v1
.LBB21_48:                              ; =>This Inner Loop Header: Depth=1
	s_load_dwordx8 s[12:19], s[24:25], 0x4
	s_load_dwordx4 s[20:23], s[24:25], 0x24
	s_load_dwordx8 s[4:11], s[2:3], 0x0
	s_add_u32 s24, s24, 48
	s_addc_u32 s25, s25, 0
	s_waitcnt lgkmcnt(0)
	v_mul_hi_u32 v7, s13, v4
	s_add_i32 s28, s28, 4
	s_add_u32 s2, s2, 32
	s_addc_u32 s3, s3, 0
	v_add_u32_e32 v7, v4, v7
	v_lshrrev_b32_e32 v7, s14, v7
	v_mul_lo_u32 v9, v7, s12
	v_mul_hi_u32 v10, s16, v7
	s_cmp_lg_u32 s26, s28
	v_sub_u32_e32 v4, v4, v9
	v_add_u32_e32 v9, v7, v10
	v_mul_lo_u32 v10, v4, s4
	v_mul_lo_u32 v11, v4, s5
	v_lshrrev_b32_e32 v4, s17, v9
	v_mul_lo_u32 v9, v4, s15
	v_mul_hi_u32 v12, s19, v4
	v_sub_u32_e32 v7, v7, v9
	v_add_u32_e32 v9, v4, v12
	v_lshrrev_b32_e32 v9, s20, v9
	v_mul_hi_u32 v13, s22, v9
	v_mul_lo_u32 v14, v9, s18
	v_mul_lo_u32 v12, v7, s6
	;; [unrolled: 1-line block ×3, first 2 shown]
	v_sub_u32_e32 v14, v4, v14
	v_add_u32_e32 v4, v9, v13
	v_lshrrev_b32_e32 v4, s23, v4
	v_mul_lo_u32 v13, v4, s21
	v_mul_lo_u32 v15, v14, s8
	;; [unrolled: 1-line block ×3, first 2 shown]
	v_add3_u32 v6, v10, v6, v12
	v_sub_u32_e32 v9, v9, v13
	v_mul_lo_u32 v13, v9, s10
	v_mul_lo_u32 v9, v9, s11
	v_add3_u32 v7, v11, v8, v7
	v_add3_u32 v6, v15, v6, v13
	;; [unrolled: 1-line block ×3, first 2 shown]
	s_cbranch_scc1 .LBB21_48
; %bb.49:
	s_and_b32 s6, s27, 3
	s_cmp_eq_u32 s6, 0
	s_cbranch_scc0 .LBB21_53
	s_branch .LBB21_55
.LBB21_50:
                                        ; implicit-def: $vgpr6
                                        ; implicit-def: $vgpr8
	s_branch .LBB21_56
.LBB21_51:
	v_mov_b32_e32 v6, 0
	v_mov_b32_e32 v8, 0
	s_branch .LBB21_55
.LBB21_52:
	v_mov_b32_e32 v6, 0
	v_mov_b32_e32 v8, 0
	;; [unrolled: 1-line block ×3, first 2 shown]
	s_and_b32 s6, s27, 3
	s_cmp_eq_u32 s6, 0
	s_cbranch_scc1 .LBB21_55
.LBB21_53:
	s_lshl_b32 s2, s26, 3
	s_add_u32 s2, s34, s2
	s_addc_u32 s3, s35, 0
	s_add_u32 s2, s2, 0xc4
	s_addc_u32 s3, s3, 0
	s_mul_i32 s4, s26, 12
	s_add_u32 s4, s34, s4
	s_addc_u32 s5, s35, 0
.LBB21_54:                              ; =>This Inner Loop Header: Depth=1
	s_load_dwordx2 s[8:9], s[4:5], 0x4
	s_load_dword s7, s[4:5], 0xc
	s_load_dwordx2 s[10:11], s[2:3], 0x0
	s_add_u32 s4, s4, 12
	s_addc_u32 s5, s5, 0
	s_waitcnt lgkmcnt(0)
	v_mul_hi_u32 v7, s9, v4
	s_add_u32 s2, s2, 8
	s_addc_u32 s3, s3, 0
	s_add_i32 s6, s6, -1
	v_add_u32_e32 v7, v4, v7
	v_lshrrev_b32_e32 v10, s7, v7
	v_mul_lo_u32 v7, v10, s8
	s_cmp_lg_u32 s6, 0
	v_sub_u32_e32 v4, v4, v7
	v_mad_u64_u32 v[6:7], s[8:9], v4, s10, v[6:7]
	v_mad_u64_u32 v[8:9], s[8:9], v4, s11, v[8:9]
	v_mov_b32_e32 v4, v10
	s_cbranch_scc1 .LBB21_54
.LBB21_55:
	s_cbranch_execnz .LBB21_58
.LBB21_56:
	s_load_dwordx4 s[4:7], s[34:35], 0x4
	s_load_dwordx2 s[2:3], s[34:35], 0xc4
	s_cmp_lt_u32 s33, 2
	s_waitcnt lgkmcnt(0)
	v_mul_hi_u32 v4, s5, v1
	v_add_u32_e32 v4, v1, v4
	v_lshrrev_b32_e32 v4, s6, v4
	v_mul_lo_u32 v6, v4, s4
	v_sub_u32_e32 v1, v1, v6
	v_mul_lo_u32 v6, v1, s2
	v_mul_lo_u32 v8, v1, s3
	s_cbranch_scc1 .LBB21_58
; %bb.57:
	s_load_dwordx4 s[4:7], s[34:35], 0x10
	s_load_dwordx2 s[2:3], s[34:35], 0xcc
	s_waitcnt lgkmcnt(0)
	v_mul_hi_u32 v1, s5, v4
	v_add_u32_e32 v1, v4, v1
	v_lshrrev_b32_e32 v1, s6, v1
	v_mul_lo_u32 v1, v1, s4
	v_sub_u32_e32 v1, v4, v1
	v_mad_u64_u32 v[6:7], s[4:5], v1, s2, v[6:7]
	v_mad_u64_u32 v[8:9], s[2:3], v1, s3, v[8:9]
.LBB21_58:
	s_and_b64 vcc, exec, s[0:1]
	v_add_u32_e32 v1, 0x180, v19
	s_cbranch_vccnz .LBB21_64
; %bb.59:
	s_cmp_lg_u32 s33, 0
	s_waitcnt lgkmcnt(0)
	s_mov_b32 s26, 0
	s_cbranch_scc0 .LBB21_65
; %bb.60:
	s_min_u32 s27, s54, 15
	s_add_i32 s27, s27, 1
	s_cmp_eq_u32 s54, 2
	s_cbranch_scc1 .LBB21_66
; %bb.61:
	s_and_b32 s26, s27, 28
	s_add_u32 s2, s34, 0xc4
	s_addc_u32 s3, s35, 0
	v_mov_b32_e32 v11, 0
	s_mov_b32 s28, 0
	s_mov_b64 s[24:25], s[34:35]
	v_mov_b32_e32 v9, 0
	v_mov_b32_e32 v4, v1
.LBB21_62:                              ; =>This Inner Loop Header: Depth=1
	s_load_dwordx8 s[12:19], s[24:25], 0x4
	s_load_dwordx4 s[20:23], s[24:25], 0x24
	s_load_dwordx8 s[4:11], s[2:3], 0x0
	s_add_u32 s24, s24, 48
	s_addc_u32 s25, s25, 0
	s_waitcnt lgkmcnt(0)
	v_mul_hi_u32 v7, s13, v4
	s_add_i32 s28, s28, 4
	s_add_u32 s2, s2, 32
	s_addc_u32 s3, s3, 0
	v_add_u32_e32 v7, v4, v7
	v_lshrrev_b32_e32 v7, s14, v7
	v_mul_lo_u32 v10, v7, s12
	v_mul_hi_u32 v12, s16, v7
	s_cmp_lg_u32 s26, s28
	v_sub_u32_e32 v4, v4, v10
	v_add_u32_e32 v10, v7, v12
	v_mul_lo_u32 v12, v4, s4
	v_mul_lo_u32 v13, v4, s5
	v_lshrrev_b32_e32 v4, s17, v10
	v_mul_lo_u32 v10, v4, s15
	v_mul_hi_u32 v14, s19, v4
	v_sub_u32_e32 v7, v7, v10
	v_add_u32_e32 v10, v4, v14
	v_lshrrev_b32_e32 v10, s20, v10
	v_mul_hi_u32 v15, s22, v10
	v_mul_lo_u32 v16, v10, s18
	v_mul_lo_u32 v14, v7, s6
	;; [unrolled: 1-line block ×3, first 2 shown]
	v_sub_u32_e32 v16, v4, v16
	v_add_u32_e32 v4, v10, v15
	v_lshrrev_b32_e32 v4, s23, v4
	v_mul_lo_u32 v15, v4, s21
	v_mul_lo_u32 v17, v16, s8
	;; [unrolled: 1-line block ×3, first 2 shown]
	v_add3_u32 v9, v12, v9, v14
	v_sub_u32_e32 v10, v10, v15
	v_mul_lo_u32 v15, v10, s10
	v_mul_lo_u32 v10, v10, s11
	v_add3_u32 v7, v13, v11, v7
	v_add3_u32 v9, v17, v9, v15
	;; [unrolled: 1-line block ×3, first 2 shown]
	s_cbranch_scc1 .LBB21_62
; %bb.63:
	s_and_b32 s6, s27, 3
	s_cmp_eq_u32 s6, 0
	s_cbranch_scc0 .LBB21_67
	s_branch .LBB21_69
.LBB21_64:
                                        ; implicit-def: $vgpr9
                                        ; implicit-def: $vgpr11
	s_branch .LBB21_70
.LBB21_65:
	v_mov_b32_e32 v9, 0
	v_mov_b32_e32 v11, 0
	s_branch .LBB21_69
.LBB21_66:
	v_mov_b32_e32 v9, 0
	v_mov_b32_e32 v11, 0
	;; [unrolled: 1-line block ×3, first 2 shown]
	s_and_b32 s6, s27, 3
	s_cmp_eq_u32 s6, 0
	s_cbranch_scc1 .LBB21_69
.LBB21_67:
	s_lshl_b32 s2, s26, 3
	s_add_u32 s2, s34, s2
	s_addc_u32 s3, s35, 0
	s_add_u32 s2, s2, 0xc4
	s_addc_u32 s3, s3, 0
	s_mul_i32 s4, s26, 12
	s_add_u32 s4, s34, s4
	s_addc_u32 s5, s35, 0
.LBB21_68:                              ; =>This Inner Loop Header: Depth=1
	s_load_dwordx2 s[8:9], s[4:5], 0x4
	s_load_dword s7, s[4:5], 0xc
	s_load_dwordx2 s[10:11], s[2:3], 0x0
	s_add_u32 s4, s4, 12
	s_addc_u32 s5, s5, 0
	s_waitcnt lgkmcnt(0)
	v_mul_hi_u32 v7, s9, v4
	s_add_u32 s2, s2, 8
	s_addc_u32 s3, s3, 0
	s_add_i32 s6, s6, -1
	v_add_u32_e32 v7, v4, v7
	v_lshrrev_b32_e32 v7, s7, v7
	v_mul_lo_u32 v10, v7, s8
	s_cmp_lg_u32 s6, 0
	v_sub_u32_e32 v4, v4, v10
	v_mad_u64_u32 v[9:10], s[8:9], v4, s10, v[9:10]
	v_mad_u64_u32 v[11:12], s[8:9], v4, s11, v[11:12]
	v_mov_b32_e32 v4, v7
	s_cbranch_scc1 .LBB21_68
.LBB21_69:
	s_cbranch_execnz .LBB21_72
.LBB21_70:
	s_load_dwordx4 s[4:7], s[34:35], 0x4
	s_load_dwordx2 s[2:3], s[34:35], 0xc4
	s_cmp_lt_u32 s33, 2
	s_waitcnt lgkmcnt(0)
	v_mul_hi_u32 v4, s5, v1
	v_add_u32_e32 v4, v1, v4
	v_lshrrev_b32_e32 v4, s6, v4
	v_mul_lo_u32 v7, v4, s4
	v_sub_u32_e32 v1, v1, v7
	v_mul_lo_u32 v9, v1, s2
	v_mul_lo_u32 v11, v1, s3
	s_cbranch_scc1 .LBB21_72
; %bb.71:
	s_load_dwordx4 s[4:7], s[34:35], 0x10
	s_load_dwordx2 s[2:3], s[34:35], 0xcc
	s_waitcnt lgkmcnt(0)
	v_mul_hi_u32 v1, s5, v4
	v_add_u32_e32 v1, v4, v1
	v_lshrrev_b32_e32 v1, s6, v1
	v_mul_lo_u32 v1, v1, s4
	v_sub_u32_e32 v1, v4, v1
	v_mad_u64_u32 v[9:10], s[4:5], v1, s2, v[9:10]
	v_mad_u64_u32 v[11:12], s[2:3], v1, s3, v[11:12]
.LBB21_72:
	s_and_b64 vcc, exec, s[0:1]
	v_add_u32_e32 v1, 0x200, v19
	s_cbranch_vccnz .LBB21_78
; %bb.73:
	s_cmp_lg_u32 s33, 0
	s_waitcnt lgkmcnt(0)
	s_mov_b32 s26, 0
	s_cbranch_scc0 .LBB21_79
; %bb.74:
	s_min_u32 s27, s54, 15
	s_add_i32 s27, s27, 1
	s_cmp_eq_u32 s54, 2
	s_cbranch_scc1 .LBB21_80
; %bb.75:
	s_and_b32 s26, s27, 28
	s_add_u32 s2, s34, 0xc4
	s_addc_u32 s3, s35, 0
	v_mov_b32_e32 v14, 0
	s_mov_b32 s28, 0
	s_mov_b64 s[24:25], s[34:35]
	v_mov_b32_e32 v12, 0
	v_mov_b32_e32 v4, v1
.LBB21_76:                              ; =>This Inner Loop Header: Depth=1
	s_load_dwordx8 s[12:19], s[24:25], 0x4
	s_load_dwordx4 s[20:23], s[24:25], 0x24
	s_load_dwordx8 s[4:11], s[2:3], 0x0
	s_add_u32 s24, s24, 48
	s_addc_u32 s25, s25, 0
	s_waitcnt lgkmcnt(0)
	v_mul_hi_u32 v7, s13, v4
	s_add_i32 s28, s28, 4
	s_add_u32 s2, s2, 32
	s_addc_u32 s3, s3, 0
	v_add_u32_e32 v7, v4, v7
	v_lshrrev_b32_e32 v7, s14, v7
	v_mul_lo_u32 v10, v7, s12
	v_mul_hi_u32 v13, s16, v7
	s_cmp_lg_u32 s26, s28
	v_sub_u32_e32 v4, v4, v10
	v_add_u32_e32 v10, v7, v13
	v_mul_lo_u32 v13, v4, s4
	v_mul_lo_u32 v15, v4, s5
	v_lshrrev_b32_e32 v4, s17, v10
	v_mul_lo_u32 v10, v4, s15
	v_mul_hi_u32 v16, s19, v4
	v_sub_u32_e32 v7, v7, v10
	v_add_u32_e32 v10, v4, v16
	v_lshrrev_b32_e32 v10, s20, v10
	v_mul_hi_u32 v17, s22, v10
	v_mul_lo_u32 v18, v10, s18
	v_mul_lo_u32 v16, v7, s6
	;; [unrolled: 1-line block ×3, first 2 shown]
	v_sub_u32_e32 v18, v4, v18
	v_add_u32_e32 v4, v10, v17
	v_lshrrev_b32_e32 v4, s23, v4
	v_mul_lo_u32 v17, v4, s21
	v_mul_lo_u32 v20, v18, s8
	;; [unrolled: 1-line block ×3, first 2 shown]
	v_add3_u32 v12, v13, v12, v16
	v_sub_u32_e32 v10, v10, v17
	v_mul_lo_u32 v17, v10, s10
	v_mul_lo_u32 v10, v10, s11
	v_add3_u32 v7, v15, v14, v7
	v_add3_u32 v12, v20, v12, v17
	;; [unrolled: 1-line block ×3, first 2 shown]
	s_cbranch_scc1 .LBB21_76
; %bb.77:
	s_and_b32 s6, s27, 3
	s_cmp_eq_u32 s6, 0
	s_cbranch_scc0 .LBB21_81
	s_branch .LBB21_83
.LBB21_78:
                                        ; implicit-def: $vgpr12
                                        ; implicit-def: $vgpr14
	s_branch .LBB21_84
.LBB21_79:
	v_mov_b32_e32 v12, 0
	v_mov_b32_e32 v14, 0
	s_branch .LBB21_83
.LBB21_80:
	v_mov_b32_e32 v12, 0
	v_mov_b32_e32 v14, 0
	;; [unrolled: 1-line block ×3, first 2 shown]
	s_and_b32 s6, s27, 3
	s_cmp_eq_u32 s6, 0
	s_cbranch_scc1 .LBB21_83
.LBB21_81:
	s_lshl_b32 s2, s26, 3
	s_add_u32 s2, s34, s2
	s_addc_u32 s3, s35, 0
	s_add_u32 s2, s2, 0xc4
	s_addc_u32 s3, s3, 0
	s_mul_i32 s4, s26, 12
	s_add_u32 s4, s34, s4
	s_addc_u32 s5, s35, 0
.LBB21_82:                              ; =>This Inner Loop Header: Depth=1
	s_load_dwordx2 s[8:9], s[4:5], 0x4
	s_load_dword s7, s[4:5], 0xc
	s_load_dwordx2 s[10:11], s[2:3], 0x0
	s_add_u32 s4, s4, 12
	s_addc_u32 s5, s5, 0
	s_waitcnt lgkmcnt(0)
	v_mul_hi_u32 v7, s9, v4
	s_add_u32 s2, s2, 8
	s_addc_u32 s3, s3, 0
	s_add_i32 s6, s6, -1
	v_add_u32_e32 v7, v4, v7
	v_lshrrev_b32_e32 v7, s7, v7
	v_mul_lo_u32 v10, v7, s8
	s_cmp_lg_u32 s6, 0
	v_sub_u32_e32 v4, v4, v10
	v_mad_u64_u32 v[12:13], s[8:9], v4, s10, v[12:13]
	v_mad_u64_u32 v[14:15], s[8:9], v4, s11, v[14:15]
	v_mov_b32_e32 v4, v7
	s_cbranch_scc1 .LBB21_82
.LBB21_83:
	s_cbranch_execnz .LBB21_86
.LBB21_84:
	s_load_dwordx4 s[4:7], s[34:35], 0x4
	s_load_dwordx2 s[2:3], s[34:35], 0xc4
	s_cmp_lt_u32 s33, 2
	s_waitcnt lgkmcnt(0)
	v_mul_hi_u32 v4, s5, v1
	v_add_u32_e32 v4, v1, v4
	v_lshrrev_b32_e32 v4, s6, v4
	v_mul_lo_u32 v7, v4, s4
	v_sub_u32_e32 v1, v1, v7
	v_mul_lo_u32 v12, v1, s2
	v_mul_lo_u32 v14, v1, s3
	s_cbranch_scc1 .LBB21_86
; %bb.85:
	s_load_dwordx4 s[4:7], s[34:35], 0x10
	s_load_dwordx2 s[2:3], s[34:35], 0xcc
	s_waitcnt lgkmcnt(0)
	v_mul_hi_u32 v1, s5, v4
	v_add_u32_e32 v1, v4, v1
	v_lshrrev_b32_e32 v1, s6, v1
	v_mul_lo_u32 v1, v1, s4
	v_sub_u32_e32 v1, v4, v1
	v_mad_u64_u32 v[12:13], s[4:5], v1, s2, v[12:13]
	v_mad_u64_u32 v[14:15], s[2:3], v1, s3, v[14:15]
.LBB21_86:
	s_and_b64 vcc, exec, s[0:1]
	v_add_u32_e32 v1, 0x280, v19
	s_cbranch_vccnz .LBB21_92
; %bb.87:
	s_cmp_lg_u32 s33, 0
	s_waitcnt lgkmcnt(0)
	s_mov_b32 s26, 0
	s_cbranch_scc0 .LBB21_93
; %bb.88:
	s_min_u32 s27, s54, 15
	s_add_i32 s27, s27, 1
	s_cmp_eq_u32 s54, 2
	s_cbranch_scc1 .LBB21_94
; %bb.89:
	s_and_b32 s26, s27, 28
	s_add_u32 s2, s34, 0xc4
	s_addc_u32 s3, s35, 0
	v_mov_b32_e32 v17, 0
	s_mov_b32 s28, 0
	s_mov_b64 s[24:25], s[34:35]
	v_mov_b32_e32 v15, 0
	v_mov_b32_e32 v4, v1
.LBB21_90:                              ; =>This Inner Loop Header: Depth=1
	s_load_dwordx8 s[12:19], s[24:25], 0x4
	s_load_dwordx4 s[20:23], s[24:25], 0x24
	s_load_dwordx8 s[4:11], s[2:3], 0x0
	s_add_u32 s24, s24, 48
	s_addc_u32 s25, s25, 0
	s_waitcnt lgkmcnt(0)
	v_mul_hi_u32 v7, s13, v4
	s_add_i32 s28, s28, 4
	s_add_u32 s2, s2, 32
	s_addc_u32 s3, s3, 0
	v_add_u32_e32 v7, v4, v7
	v_lshrrev_b32_e32 v7, s14, v7
	v_mul_lo_u32 v10, v7, s12
	v_mul_hi_u32 v13, s16, v7
	s_cmp_lg_u32 s26, s28
	v_sub_u32_e32 v4, v4, v10
	v_add_u32_e32 v10, v7, v13
	v_mul_lo_u32 v13, v4, s4
	v_mul_lo_u32 v16, v4, s5
	v_lshrrev_b32_e32 v4, s17, v10
	v_mul_lo_u32 v10, v4, s15
	v_mul_hi_u32 v18, s19, v4
	v_sub_u32_e32 v7, v7, v10
	v_add_u32_e32 v10, v4, v18
	v_lshrrev_b32_e32 v10, s20, v10
	v_mul_hi_u32 v20, s22, v10
	v_mul_lo_u32 v21, v10, s18
	v_mul_lo_u32 v18, v7, s6
	;; [unrolled: 1-line block ×3, first 2 shown]
	v_sub_u32_e32 v21, v4, v21
	v_add_u32_e32 v4, v10, v20
	v_lshrrev_b32_e32 v4, s23, v4
	v_mul_lo_u32 v20, v4, s21
	v_mul_lo_u32 v22, v21, s8
	;; [unrolled: 1-line block ×3, first 2 shown]
	v_add3_u32 v13, v13, v15, v18
	v_sub_u32_e32 v10, v10, v20
	v_mul_lo_u32 v20, v10, s10
	v_mul_lo_u32 v10, v10, s11
	v_add3_u32 v7, v16, v17, v7
	v_add3_u32 v15, v22, v13, v20
	;; [unrolled: 1-line block ×3, first 2 shown]
	s_cbranch_scc1 .LBB21_90
; %bb.91:
	s_and_b32 s6, s27, 3
	s_cmp_eq_u32 s6, 0
	s_cbranch_scc0 .LBB21_95
	s_branch .LBB21_97
.LBB21_92:
                                        ; implicit-def: $vgpr15
                                        ; implicit-def: $vgpr17
	s_branch .LBB21_98
.LBB21_93:
	v_mov_b32_e32 v15, 0
	v_mov_b32_e32 v17, 0
	s_branch .LBB21_97
.LBB21_94:
	v_mov_b32_e32 v15, 0
	v_mov_b32_e32 v17, 0
	;; [unrolled: 1-line block ×3, first 2 shown]
	s_and_b32 s6, s27, 3
	s_cmp_eq_u32 s6, 0
	s_cbranch_scc1 .LBB21_97
.LBB21_95:
	s_lshl_b32 s2, s26, 3
	s_add_u32 s2, s34, s2
	s_addc_u32 s3, s35, 0
	s_add_u32 s2, s2, 0xc4
	s_addc_u32 s3, s3, 0
	s_mul_i32 s4, s26, 12
	s_add_u32 s4, s34, s4
	s_addc_u32 s5, s35, 0
.LBB21_96:                              ; =>This Inner Loop Header: Depth=1
	s_load_dwordx2 s[8:9], s[4:5], 0x4
	s_load_dword s7, s[4:5], 0xc
	s_load_dwordx2 s[10:11], s[2:3], 0x0
	s_add_u32 s4, s4, 12
	s_addc_u32 s5, s5, 0
	s_waitcnt lgkmcnt(0)
	v_mul_hi_u32 v7, s9, v4
	s_add_u32 s2, s2, 8
	s_addc_u32 s3, s3, 0
	s_add_i32 s6, s6, -1
	v_add_u32_e32 v7, v4, v7
	v_lshrrev_b32_e32 v7, s7, v7
	v_mul_lo_u32 v10, v7, s8
	s_cmp_lg_u32 s6, 0
	v_sub_u32_e32 v4, v4, v10
	v_mad_u64_u32 v[15:16], s[8:9], v4, s10, v[15:16]
	v_mad_u64_u32 v[17:18], s[8:9], v4, s11, v[17:18]
	v_mov_b32_e32 v4, v7
	s_cbranch_scc1 .LBB21_96
.LBB21_97:
	s_cbranch_execnz .LBB21_100
.LBB21_98:
	s_load_dwordx4 s[4:7], s[34:35], 0x4
	s_load_dwordx2 s[2:3], s[34:35], 0xc4
	s_cmp_lt_u32 s33, 2
	s_waitcnt lgkmcnt(0)
	v_mul_hi_u32 v4, s5, v1
	v_add_u32_e32 v4, v1, v4
	v_lshrrev_b32_e32 v4, s6, v4
	v_mul_lo_u32 v7, v4, s4
	v_sub_u32_e32 v1, v1, v7
	v_mul_lo_u32 v15, v1, s2
	v_mul_lo_u32 v17, v1, s3
	s_cbranch_scc1 .LBB21_100
; %bb.99:
	s_load_dwordx4 s[4:7], s[34:35], 0x10
	s_load_dwordx2 s[2:3], s[34:35], 0xcc
	s_waitcnt lgkmcnt(0)
	v_mul_hi_u32 v1, s5, v4
	v_add_u32_e32 v1, v4, v1
	v_lshrrev_b32_e32 v1, s6, v1
	v_mul_lo_u32 v1, v1, s4
	v_sub_u32_e32 v1, v4, v1
	v_mad_u64_u32 v[15:16], s[4:5], v1, s2, v[15:16]
	v_mad_u64_u32 v[17:18], s[2:3], v1, s3, v[17:18]
.LBB21_100:
	s_and_b64 vcc, exec, s[0:1]
	v_add_u32_e32 v1, 0x300, v19
	s_cbranch_vccnz .LBB21_106
; %bb.101:
	s_cmp_lg_u32 s33, 0
	s_waitcnt lgkmcnt(0)
	s_mov_b32 s26, 0
	s_cbranch_scc0 .LBB21_107
; %bb.102:
	s_min_u32 s27, s54, 15
	s_add_i32 s27, s27, 1
	s_cmp_eq_u32 s54, 2
	s_cbranch_scc1 .LBB21_108
; %bb.103:
	s_and_b32 s26, s27, 28
	s_add_u32 s2, s34, 0xc4
	s_addc_u32 s3, s35, 0
	v_mov_b32_e32 v20, 0
	s_mov_b32 s28, 0
	s_mov_b64 s[24:25], s[34:35]
	v_mov_b32_e32 v18, 0
	v_mov_b32_e32 v4, v1
.LBB21_104:                             ; =>This Inner Loop Header: Depth=1
	s_load_dwordx8 s[12:19], s[24:25], 0x4
	s_load_dwordx4 s[20:23], s[24:25], 0x24
	s_load_dwordx8 s[4:11], s[2:3], 0x0
	s_add_u32 s24, s24, 48
	s_addc_u32 s25, s25, 0
	s_waitcnt lgkmcnt(0)
	v_mul_hi_u32 v7, s13, v4
	s_add_i32 s28, s28, 4
	s_add_u32 s2, s2, 32
	s_addc_u32 s3, s3, 0
	v_add_u32_e32 v7, v4, v7
	v_lshrrev_b32_e32 v7, s14, v7
	v_mul_lo_u32 v10, v7, s12
	v_mul_hi_u32 v13, s16, v7
	s_cmp_lg_u32 s26, s28
	v_sub_u32_e32 v4, v4, v10
	v_add_u32_e32 v10, v7, v13
	v_mul_lo_u32 v13, v4, s4
	v_mul_lo_u32 v16, v4, s5
	v_lshrrev_b32_e32 v4, s17, v10
	v_mul_lo_u32 v10, v4, s15
	v_mul_hi_u32 v19, s19, v4
	v_sub_u32_e32 v7, v7, v10
	v_add_u32_e32 v10, v4, v19
	v_lshrrev_b32_e32 v10, s20, v10
	v_mul_hi_u32 v21, s22, v10
	v_mul_lo_u32 v22, v10, s18
	v_mul_lo_u32 v19, v7, s6
	;; [unrolled: 1-line block ×3, first 2 shown]
	v_sub_u32_e32 v22, v4, v22
	v_add_u32_e32 v4, v10, v21
	v_lshrrev_b32_e32 v4, s23, v4
	v_mul_lo_u32 v21, v4, s21
	v_mul_lo_u32 v23, v22, s8
	v_mul_lo_u32 v22, v22, s9
	v_add3_u32 v13, v13, v18, v19
	v_sub_u32_e32 v10, v10, v21
	v_mul_lo_u32 v21, v10, s10
	v_mul_lo_u32 v10, v10, s11
	v_add3_u32 v7, v16, v20, v7
	v_add3_u32 v18, v23, v13, v21
	;; [unrolled: 1-line block ×3, first 2 shown]
	s_cbranch_scc1 .LBB21_104
; %bb.105:
	s_and_b32 s6, s27, 3
	s_cmp_eq_u32 s6, 0
	s_cbranch_scc0 .LBB21_109
	s_branch .LBB21_111
.LBB21_106:
                                        ; implicit-def: $vgpr18
                                        ; implicit-def: $vgpr20
	s_branch .LBB21_112
.LBB21_107:
	v_mov_b32_e32 v18, 0
	v_mov_b32_e32 v20, 0
	s_branch .LBB21_111
.LBB21_108:
	v_mov_b32_e32 v18, 0
	v_mov_b32_e32 v20, 0
	;; [unrolled: 1-line block ×3, first 2 shown]
	s_and_b32 s6, s27, 3
	s_cmp_eq_u32 s6, 0
	s_cbranch_scc1 .LBB21_111
.LBB21_109:
	s_lshl_b32 s2, s26, 3
	s_add_u32 s2, s34, s2
	s_addc_u32 s3, s35, 0
	s_add_u32 s2, s2, 0xc4
	s_addc_u32 s3, s3, 0
	s_mul_i32 s4, s26, 12
	s_add_u32 s4, s34, s4
	s_addc_u32 s5, s35, 0
.LBB21_110:                             ; =>This Inner Loop Header: Depth=1
	s_load_dwordx2 s[8:9], s[4:5], 0x4
	s_load_dword s7, s[4:5], 0xc
	s_load_dwordx2 s[10:11], s[2:3], 0x0
	s_add_u32 s4, s4, 12
	s_addc_u32 s5, s5, 0
	s_waitcnt lgkmcnt(0)
	v_mul_hi_u32 v7, s9, v4
	s_add_u32 s2, s2, 8
	s_addc_u32 s3, s3, 0
	s_add_i32 s6, s6, -1
	v_add_u32_e32 v7, v4, v7
	v_lshrrev_b32_e32 v7, s7, v7
	v_mul_lo_u32 v10, v7, s8
	s_cmp_lg_u32 s6, 0
	v_sub_u32_e32 v4, v4, v10
	v_mad_u64_u32 v[18:19], s[8:9], v4, s10, v[18:19]
	v_mad_u64_u32 v[20:21], s[8:9], v4, s11, v[20:21]
	v_mov_b32_e32 v4, v7
	s_cbranch_scc1 .LBB21_110
.LBB21_111:
	s_cbranch_execnz .LBB21_114
.LBB21_112:
	s_load_dwordx4 s[4:7], s[34:35], 0x4
	s_load_dwordx2 s[2:3], s[34:35], 0xc4
	s_cmp_lt_u32 s33, 2
	s_waitcnt lgkmcnt(0)
	v_mul_hi_u32 v4, s5, v1
	v_add_u32_e32 v4, v1, v4
	v_lshrrev_b32_e32 v4, s6, v4
	v_mul_lo_u32 v7, v4, s4
	v_sub_u32_e32 v1, v1, v7
	v_mul_lo_u32 v18, v1, s2
	v_mul_lo_u32 v20, v1, s3
	s_cbranch_scc1 .LBB21_114
; %bb.113:
	s_load_dwordx4 s[4:7], s[34:35], 0x10
	s_load_dwordx2 s[2:3], s[34:35], 0xcc
	s_waitcnt lgkmcnt(0)
	v_mul_hi_u32 v1, s5, v4
	v_add_u32_e32 v1, v4, v1
	v_lshrrev_b32_e32 v1, s6, v1
	v_mul_lo_u32 v1, v1, s4
	v_sub_u32_e32 v1, v4, v1
	v_mad_u64_u32 v[18:19], s[4:5], v1, s2, v[18:19]
	v_mad_u64_u32 v[20:21], s[2:3], v1, s3, v[20:21]
.LBB21_114:
	s_and_b64 vcc, exec, s[0:1]
	s_cbranch_vccnz .LBB21_120
; %bb.115:
	s_cmp_lg_u32 s33, 0
	s_waitcnt lgkmcnt(0)
	s_mov_b32 s24, 0
	s_cbranch_scc0 .LBB21_121
; %bb.116:
	s_min_u32 s25, s54, 15
	s_add_i32 s25, s25, 1
	s_cmp_eq_u32 s54, 2
	s_cbranch_scc1 .LBB21_122
; %bb.117:
	s_and_b32 s24, s25, 28
	s_add_u32 s20, s34, 0xc4
	s_addc_u32 s21, s35, 0
	v_mov_b32_e32 v23, 0
	s_mov_b32 s26, 0
	s_mov_b64 s[22:23], s[34:35]
	v_mov_b32_e32 v21, 0
	v_mov_b32_e32 v1, v25
.LBB21_118:                             ; =>This Inner Loop Header: Depth=1
	s_load_dwordx8 s[8:15], s[22:23], 0x4
	s_load_dwordx4 s[16:19], s[22:23], 0x24
	s_load_dwordx8 s[0:7], s[20:21], 0x0
	s_add_u32 s22, s22, 48
	s_addc_u32 s23, s23, 0
	s_waitcnt lgkmcnt(0)
	v_mul_hi_u32 v4, s9, v1
	s_add_i32 s26, s26, 4
	s_add_u32 s20, s20, 32
	s_addc_u32 s21, s21, 0
	v_add_u32_e32 v4, v1, v4
	v_lshrrev_b32_e32 v4, s10, v4
	v_mul_lo_u32 v7, v4, s8
	v_mul_hi_u32 v10, s12, v4
	s_cmp_lg_u32 s24, s26
	v_sub_u32_e32 v1, v1, v7
	v_add_u32_e32 v7, v4, v10
	v_mul_lo_u32 v10, v1, s0
	v_mul_lo_u32 v13, v1, s1
	v_lshrrev_b32_e32 v1, s13, v7
	v_mul_lo_u32 v7, v1, s11
	v_mul_hi_u32 v16, s15, v1
	v_sub_u32_e32 v4, v4, v7
	v_add_u32_e32 v7, v1, v16
	v_lshrrev_b32_e32 v7, s16, v7
	v_mul_hi_u32 v19, s18, v7
	v_mul_lo_u32 v22, v7, s14
	v_mul_lo_u32 v16, v4, s2
	;; [unrolled: 1-line block ×3, first 2 shown]
	v_sub_u32_e32 v22, v1, v22
	v_add_u32_e32 v1, v7, v19
	v_lshrrev_b32_e32 v1, s19, v1
	v_mul_lo_u32 v19, v1, s17
	v_mul_lo_u32 v24, v22, s4
	;; [unrolled: 1-line block ×3, first 2 shown]
	v_add3_u32 v10, v10, v21, v16
	v_sub_u32_e32 v7, v7, v19
	v_mul_lo_u32 v19, v7, s6
	v_mul_lo_u32 v7, v7, s7
	v_add3_u32 v4, v13, v23, v4
	v_add3_u32 v21, v24, v10, v19
	v_add3_u32 v23, v22, v4, v7
	s_cbranch_scc1 .LBB21_118
; %bb.119:
	s_and_b32 s4, s25, 3
	s_cmp_eq_u32 s4, 0
	s_cbranch_scc0 .LBB21_123
	s_branch .LBB21_125
.LBB21_120:
                                        ; implicit-def: $vgpr21
                                        ; implicit-def: $vgpr23
	s_branch .LBB21_126
.LBB21_121:
	v_mov_b32_e32 v21, 0
	v_mov_b32_e32 v23, 0
	s_branch .LBB21_125
.LBB21_122:
	v_mov_b32_e32 v21, 0
	v_mov_b32_e32 v23, 0
	;; [unrolled: 1-line block ×3, first 2 shown]
	s_and_b32 s4, s25, 3
	s_cmp_eq_u32 s4, 0
	s_cbranch_scc1 .LBB21_125
.LBB21_123:
	s_lshl_b32 s0, s24, 3
	s_add_u32 s0, s34, s0
	s_addc_u32 s1, s35, 0
	s_add_u32 s0, s0, 0xc4
	s_addc_u32 s1, s1, 0
	s_mul_i32 s2, s24, 12
	s_add_u32 s2, s34, s2
	s_addc_u32 s3, s35, 0
.LBB21_124:                             ; =>This Inner Loop Header: Depth=1
	s_load_dwordx2 s[6:7], s[2:3], 0x4
	s_load_dword s5, s[2:3], 0xc
	s_load_dwordx2 s[8:9], s[0:1], 0x0
	s_add_u32 s2, s2, 12
	s_addc_u32 s3, s3, 0
	s_waitcnt lgkmcnt(0)
	v_mul_hi_u32 v4, s7, v1
	s_add_u32 s0, s0, 8
	s_addc_u32 s1, s1, 0
	s_add_i32 s4, s4, -1
	v_add_u32_e32 v4, v1, v4
	v_lshrrev_b32_e32 v4, s5, v4
	v_mul_lo_u32 v7, v4, s6
	s_cmp_lg_u32 s4, 0
	v_sub_u32_e32 v1, v1, v7
	v_mad_u64_u32 v[21:22], s[6:7], v1, s8, v[21:22]
	v_mad_u64_u32 v[23:24], s[6:7], v1, s9, v[23:24]
	v_mov_b32_e32 v1, v4
	s_cbranch_scc1 .LBB21_124
.LBB21_125:
	s_cbranch_execnz .LBB21_128
.LBB21_126:
	s_load_dwordx4 s[0:3], s[34:35], 0x4
	s_load_dwordx2 s[4:5], s[34:35], 0xc4
	s_cmp_lt_u32 s33, 2
	s_waitcnt lgkmcnt(0)
	v_mul_hi_u32 v1, s1, v25
	v_add_u32_e32 v1, v25, v1
	v_lshrrev_b32_e32 v1, s2, v1
	v_mul_lo_u32 v4, v1, s0
	v_sub_u32_e32 v4, v25, v4
	v_mul_lo_u32 v21, v4, s4
	v_mul_lo_u32 v23, v4, s5
	s_cbranch_scc1 .LBB21_128
; %bb.127:
	s_load_dwordx4 s[0:3], s[34:35], 0x10
	s_load_dwordx2 s[4:5], s[34:35], 0xcc
	s_waitcnt lgkmcnt(0)
	v_mul_hi_u32 v4, s1, v1
	v_add_u32_e32 v4, v1, v4
	v_lshrrev_b32_e32 v4, s2, v4
	v_mul_lo_u32 v4, v4, s0
	v_sub_u32_e32 v1, v1, v4
	v_mad_u64_u32 v[21:22], s[0:1], v1, s4, v[21:22]
	v_mad_u64_u32 v[23:24], s[0:1], v1, s5, v[23:24]
.LBB21_128:
	s_waitcnt lgkmcnt(0)
	s_load_dwordx4 s[16:19], s[34:35], 0x148
	s_load_dword s12, s[34:35], 0x158
	s_waitcnt lgkmcnt(0)
	global_load_ushort v1, v2, s[18:19]
	global_load_ushort v4, v5, s[18:19]
	;; [unrolled: 1-line block ×8, first 2 shown]
	s_waitcnt vmcnt(7)
	v_cmp_nge_f16_e64 s[14:15], v1, -s12
	v_cmp_nge_f16_e32 vcc, s12, v1
	s_waitcnt vmcnt(6)
	v_cmp_nge_f16_e64 s[18:19], v4, -s12
	v_cmp_nge_f16_e64 s[0:1], s12, v4
	s_or_b64 vcc, s[14:15], vcc
	s_waitcnt vmcnt(5)
	v_cmp_nge_f16_e64 s[20:21], v7, -s12
	v_cmp_nge_f16_e64 s[2:3], s12, v7
	v_cndmask_b32_e32 v1, 0, v1, vcc
	s_or_b64 vcc, s[18:19], s[0:1]
	s_waitcnt vmcnt(4)
	v_cmp_nge_f16_e64 s[22:23], v10, -s12
	v_cmp_nge_f16_e64 s[4:5], s12, v10
	v_cndmask_b32_e32 v2, 0, v4, vcc
	s_or_b64 vcc, s[20:21], s[2:3]
	;; [unrolled: 5-line block ×6, first 2 shown]
	v_cndmask_b32_e32 v10, 0, v19, vcc
	s_or_b64 vcc, s[30:31], s[12:13]
	v_cndmask_b32_e32 v11, 0, v22, vcc
	global_store_short v0, v1, s[16:17]
	global_store_short v3, v2, s[16:17]
	;; [unrolled: 1-line block ×8, first 2 shown]
	s_endpgm
.LBB21_129:
	v_mov_b32_e32 v0, 0
	v_mov_b32_e32 v2, 0
	s_branch .LBB21_135
.LBB21_130:
	v_mov_b32_e32 v0, 0
	v_mov_b32_e32 v2, 0
	s_branch .LBB21_151
.LBB21_131:
	s_mov_b32 s58, 0
	v_mov_b32_e32 v0, 0
	v_mov_b32_e32 v2, 0
	;; [unrolled: 1-line block ×3, first 2 shown]
.LBB21_132:
	s_and_b32 s4, s59, 3
	s_cmp_eq_u32 s4, 0
	s_cbranch_scc1 .LBB21_135
; %bb.133:
	s_lshl_b32 s0, s58, 3
	s_add_u32 s0, s34, s0
	s_addc_u32 s1, s35, 0
	s_add_u32 s0, s0, 0xc4
	s_addc_u32 s1, s1, 0
	s_mul_i32 s2, s58, 12
	s_add_u32 s2, s34, s2
	s_addc_u32 s3, s35, 0
.LBB21_134:                             ; =>This Inner Loop Header: Depth=1
	s_load_dwordx2 s[6:7], s[2:3], 0x4
	s_load_dword s5, s[2:3], 0xc
	s_load_dwordx2 s[8:9], s[0:1], 0x0
	s_add_u32 s2, s2, 12
	s_addc_u32 s3, s3, 0
	s_waitcnt lgkmcnt(0)
	v_mul_hi_u32 v3, s7, v1
	s_add_u32 s0, s0, 8
	s_addc_u32 s1, s1, 0
	s_add_i32 s4, s4, -1
	v_add_u32_e32 v3, v1, v3
	v_lshrrev_b32_e32 v4, s5, v3
	v_mul_lo_u32 v3, v4, s6
	s_cmp_lg_u32 s4, 0
	v_sub_u32_e32 v3, v1, v3
	v_mad_u64_u32 v[0:1], s[6:7], v3, s8, v[0:1]
	v_mad_u64_u32 v[2:3], s[6:7], v3, s9, v[2:3]
	v_mov_b32_e32 v1, v4
	s_cbranch_scc1 .LBB21_134
.LBB21_135:
	s_cbranch_execnz .LBB21_138
.LBB21_136:
	s_waitcnt lgkmcnt(0)
	v_mul_hi_u32 v0, s25, v19
	s_andn2_b64 vcc, exec, s[42:43]
	v_add_u32_e32 v0, v19, v0
	v_lshrrev_b32_e32 v1, s26, v0
	v_mul_lo_u32 v0, v1, s24
	v_sub_u32_e32 v2, v19, v0
	v_mul_lo_u32 v0, v2, s20
	v_mul_lo_u32 v2, v2, s21
	s_cbranch_vccnz .LBB21_138
; %bb.137:
	v_mul_hi_u32 v3, s40, v1
	v_add_u32_e32 v3, v1, v3
	v_lshrrev_b32_e32 v3, s41, v3
	v_mul_lo_u32 v3, v3, s27
	v_sub_u32_e32 v3, v1, v3
	v_mad_u64_u32 v[0:1], s[0:1], v3, s22, v[0:1]
	v_mad_u64_u32 v[2:3], s[0:1], v3, s23, v[2:3]
.LBB21_138:
	s_waitcnt lgkmcnt(0)
	global_load_ushort v1, v2, s[18:19]
	v_add_u32_e32 v19, 0x80, v19
	s_waitcnt vmcnt(0)
	v_cmp_nge_f16_e64 s[0:1], v1, -s55
	v_cmp_nge_f16_e32 vcc, s55, v1
	s_or_b64 vcc, s[0:1], vcc
	v_cndmask_b32_e32 v1, 0, v1, vcc
	global_store_short v0, v1, s[16:17]
	s_or_b64 exec, exec, s[48:49]
	v_cmp_gt_i32_e32 vcc, s56, v19
	s_and_saveexec_b64 s[48:49], vcc
	s_cbranch_execnz .LBB21_15
.LBB21_139:
	s_or_b64 exec, exec, s[48:49]
	v_cmp_gt_i32_e32 vcc, s56, v19
	s_and_saveexec_b64 s[48:49], vcc
	s_cbranch_execz .LBB21_155
.LBB21_140:
	s_andn2_b64 vcc, exec, s[36:37]
	s_cbranch_vccnz .LBB21_145
; %bb.141:
	s_andn2_b64 vcc, exec, s[46:47]
	s_cbranch_vccnz .LBB21_146
; %bb.142:
	s_add_i32 s59, s57, 1
	s_cmp_eq_u32 s54, 2
	s_cbranch_scc1 .LBB21_163
; %bb.143:
	s_and_b32 s58, s59, 28
	v_mov_b32_e32 v2, 0
	s_mov_b32 s60, 0
	s_mov_b64 s[50:51], s[34:35]
	s_mov_b64 s[52:53], s[44:45]
	v_mov_b32_e32 v0, 0
	v_mov_b32_e32 v1, v19
.LBB21_144:                             ; =>This Inner Loop Header: Depth=1
	s_load_dwordx8 s[8:15], s[50:51], 0x4
	s_load_dwordx4 s[28:31], s[50:51], 0x24
	s_load_dwordx8 s[0:7], s[52:53], 0x0
	s_add_u32 s50, s50, 48
	s_addc_u32 s51, s51, 0
	s_waitcnt lgkmcnt(0)
	v_mul_hi_u32 v3, s9, v1
	s_add_i32 s60, s60, 4
	s_add_u32 s52, s52, 32
	s_addc_u32 s53, s53, 0
	v_add_u32_e32 v3, v1, v3
	v_lshrrev_b32_e32 v3, s10, v3
	v_mul_lo_u32 v4, v3, s8
	v_mul_hi_u32 v5, s12, v3
	s_cmp_eq_u32 s58, s60
	v_sub_u32_e32 v1, v1, v4
	v_add_u32_e32 v4, v3, v5
	v_mul_lo_u32 v5, v1, s0
	v_mul_lo_u32 v6, v1, s1
	v_lshrrev_b32_e32 v1, s13, v4
	v_mul_lo_u32 v4, v1, s11
	v_mul_hi_u32 v7, s15, v1
	v_sub_u32_e32 v3, v3, v4
	v_add_u32_e32 v4, v1, v7
	v_lshrrev_b32_e32 v4, s28, v4
	v_mul_hi_u32 v8, s30, v4
	v_mul_lo_u32 v9, v4, s14
	v_mul_lo_u32 v7, v3, s2
	v_mul_lo_u32 v3, v3, s3
	v_sub_u32_e32 v9, v1, v9
	v_add_u32_e32 v1, v4, v8
	v_lshrrev_b32_e32 v1, s31, v1
	v_mul_lo_u32 v8, v1, s29
	v_mul_lo_u32 v10, v9, s4
	;; [unrolled: 1-line block ×3, first 2 shown]
	v_add3_u32 v0, v5, v0, v7
	v_sub_u32_e32 v4, v4, v8
	v_mul_lo_u32 v8, v4, s6
	v_mul_lo_u32 v4, v4, s7
	v_add3_u32 v2, v6, v2, v3
	v_add3_u32 v0, v10, v0, v8
	;; [unrolled: 1-line block ×3, first 2 shown]
	s_cbranch_scc0 .LBB21_144
	s_branch .LBB21_164
.LBB21_145:
                                        ; implicit-def: $vgpr0
                                        ; implicit-def: $vgpr2
	s_branch .LBB21_168
.LBB21_146:
	v_mov_b32_e32 v0, 0
	v_mov_b32_e32 v2, 0
	s_branch .LBB21_167
.LBB21_147:
	s_mov_b32 s58, 0
	v_mov_b32_e32 v0, 0
	v_mov_b32_e32 v2, 0
	;; [unrolled: 1-line block ×3, first 2 shown]
.LBB21_148:
	s_and_b32 s4, s59, 3
	s_cmp_eq_u32 s4, 0
	s_cbranch_scc1 .LBB21_151
; %bb.149:
	s_lshl_b32 s0, s58, 3
	s_add_u32 s0, s34, s0
	s_addc_u32 s1, s35, 0
	s_add_u32 s0, s0, 0xc4
	s_addc_u32 s1, s1, 0
	s_mul_i32 s2, s58, 12
	s_add_u32 s2, s34, s2
	s_addc_u32 s3, s35, 0
.LBB21_150:                             ; =>This Inner Loop Header: Depth=1
	s_load_dwordx2 s[6:7], s[2:3], 0x4
	s_load_dword s5, s[2:3], 0xc
	s_load_dwordx2 s[8:9], s[0:1], 0x0
	s_add_u32 s2, s2, 12
	s_addc_u32 s3, s3, 0
	s_waitcnt lgkmcnt(0)
	v_mul_hi_u32 v3, s7, v1
	s_add_u32 s0, s0, 8
	s_addc_u32 s1, s1, 0
	s_add_i32 s4, s4, -1
	v_add_u32_e32 v3, v1, v3
	v_lshrrev_b32_e32 v4, s5, v3
	v_mul_lo_u32 v3, v4, s6
	s_cmp_lg_u32 s4, 0
	v_sub_u32_e32 v3, v1, v3
	v_mad_u64_u32 v[0:1], s[6:7], v3, s8, v[0:1]
	v_mad_u64_u32 v[2:3], s[6:7], v3, s9, v[2:3]
	v_mov_b32_e32 v1, v4
	s_cbranch_scc1 .LBB21_150
.LBB21_151:
	s_cbranch_execnz .LBB21_154
.LBB21_152:
	s_waitcnt lgkmcnt(0)
	v_mul_hi_u32 v0, s25, v19
	s_andn2_b64 vcc, exec, s[42:43]
	v_add_u32_e32 v0, v19, v0
	v_lshrrev_b32_e32 v1, s26, v0
	v_mul_lo_u32 v0, v1, s24
	v_sub_u32_e32 v2, v19, v0
	v_mul_lo_u32 v0, v2, s20
	v_mul_lo_u32 v2, v2, s21
	s_cbranch_vccnz .LBB21_154
; %bb.153:
	v_mul_hi_u32 v3, s40, v1
	v_add_u32_e32 v3, v1, v3
	v_lshrrev_b32_e32 v3, s41, v3
	v_mul_lo_u32 v3, v3, s27
	v_sub_u32_e32 v3, v1, v3
	v_mad_u64_u32 v[0:1], s[0:1], v3, s22, v[0:1]
	v_mad_u64_u32 v[2:3], s[0:1], v3, s23, v[2:3]
.LBB21_154:
	s_waitcnt lgkmcnt(0)
	global_load_ushort v1, v2, s[18:19]
	v_add_u32_e32 v19, 0x80, v19
	s_waitcnt vmcnt(0)
	v_cmp_nge_f16_e64 s[0:1], v1, -s55
	v_cmp_nge_f16_e32 vcc, s55, v1
	s_or_b64 vcc, s[0:1], vcc
	v_cndmask_b32_e32 v1, 0, v1, vcc
	global_store_short v0, v1, s[16:17]
	s_or_b64 exec, exec, s[48:49]
	v_cmp_gt_i32_e32 vcc, s56, v19
	s_and_saveexec_b64 s[48:49], vcc
	s_cbranch_execnz .LBB21_140
.LBB21_155:
	s_or_b64 exec, exec, s[48:49]
	v_cmp_gt_i32_e32 vcc, s56, v19
	s_and_saveexec_b64 s[48:49], vcc
	s_cbranch_execz .LBB21_171
.LBB21_156:
	s_andn2_b64 vcc, exec, s[36:37]
	s_cbranch_vccnz .LBB21_161
; %bb.157:
	s_andn2_b64 vcc, exec, s[46:47]
	s_cbranch_vccnz .LBB21_162
; %bb.158:
	s_add_i32 s59, s57, 1
	s_cmp_eq_u32 s54, 2
	s_cbranch_scc1 .LBB21_179
; %bb.159:
	s_and_b32 s58, s59, 28
	v_mov_b32_e32 v2, 0
	s_mov_b32 s60, 0
	s_mov_b64 s[50:51], s[34:35]
	s_mov_b64 s[52:53], s[44:45]
	v_mov_b32_e32 v0, 0
	v_mov_b32_e32 v1, v19
.LBB21_160:                             ; =>This Inner Loop Header: Depth=1
	s_load_dwordx8 s[8:15], s[50:51], 0x4
	s_load_dwordx4 s[28:31], s[50:51], 0x24
	s_load_dwordx8 s[0:7], s[52:53], 0x0
	s_add_u32 s50, s50, 48
	s_addc_u32 s51, s51, 0
	s_waitcnt lgkmcnt(0)
	v_mul_hi_u32 v3, s9, v1
	s_add_i32 s60, s60, 4
	s_add_u32 s52, s52, 32
	s_addc_u32 s53, s53, 0
	v_add_u32_e32 v3, v1, v3
	v_lshrrev_b32_e32 v3, s10, v3
	v_mul_lo_u32 v4, v3, s8
	v_mul_hi_u32 v5, s12, v3
	s_cmp_eq_u32 s58, s60
	v_sub_u32_e32 v1, v1, v4
	v_add_u32_e32 v4, v3, v5
	v_mul_lo_u32 v5, v1, s0
	v_mul_lo_u32 v6, v1, s1
	v_lshrrev_b32_e32 v1, s13, v4
	v_mul_lo_u32 v4, v1, s11
	v_mul_hi_u32 v7, s15, v1
	v_sub_u32_e32 v3, v3, v4
	v_add_u32_e32 v4, v1, v7
	v_lshrrev_b32_e32 v4, s28, v4
	v_mul_hi_u32 v8, s30, v4
	v_mul_lo_u32 v9, v4, s14
	v_mul_lo_u32 v7, v3, s2
	;; [unrolled: 1-line block ×3, first 2 shown]
	v_sub_u32_e32 v9, v1, v9
	v_add_u32_e32 v1, v4, v8
	v_lshrrev_b32_e32 v1, s31, v1
	v_mul_lo_u32 v8, v1, s29
	v_mul_lo_u32 v10, v9, s4
	;; [unrolled: 1-line block ×3, first 2 shown]
	v_add3_u32 v0, v5, v0, v7
	v_sub_u32_e32 v4, v4, v8
	v_mul_lo_u32 v8, v4, s6
	v_mul_lo_u32 v4, v4, s7
	v_add3_u32 v2, v6, v2, v3
	v_add3_u32 v0, v10, v0, v8
	;; [unrolled: 1-line block ×3, first 2 shown]
	s_cbranch_scc0 .LBB21_160
	s_branch .LBB21_180
.LBB21_161:
                                        ; implicit-def: $vgpr0
                                        ; implicit-def: $vgpr2
	s_branch .LBB21_184
.LBB21_162:
	v_mov_b32_e32 v0, 0
	v_mov_b32_e32 v2, 0
	s_branch .LBB21_183
.LBB21_163:
	s_mov_b32 s58, 0
	v_mov_b32_e32 v0, 0
	v_mov_b32_e32 v2, 0
	;; [unrolled: 1-line block ×3, first 2 shown]
.LBB21_164:
	s_and_b32 s4, s59, 3
	s_cmp_eq_u32 s4, 0
	s_cbranch_scc1 .LBB21_167
; %bb.165:
	s_lshl_b32 s0, s58, 3
	s_add_u32 s0, s34, s0
	s_addc_u32 s1, s35, 0
	s_add_u32 s0, s0, 0xc4
	s_addc_u32 s1, s1, 0
	s_mul_i32 s2, s58, 12
	s_add_u32 s2, s34, s2
	s_addc_u32 s3, s35, 0
.LBB21_166:                             ; =>This Inner Loop Header: Depth=1
	s_load_dwordx2 s[6:7], s[2:3], 0x4
	s_load_dword s5, s[2:3], 0xc
	s_load_dwordx2 s[8:9], s[0:1], 0x0
	s_add_u32 s2, s2, 12
	s_addc_u32 s3, s3, 0
	s_waitcnt lgkmcnt(0)
	v_mul_hi_u32 v3, s7, v1
	s_add_u32 s0, s0, 8
	s_addc_u32 s1, s1, 0
	s_add_i32 s4, s4, -1
	v_add_u32_e32 v3, v1, v3
	v_lshrrev_b32_e32 v4, s5, v3
	v_mul_lo_u32 v3, v4, s6
	s_cmp_lg_u32 s4, 0
	v_sub_u32_e32 v3, v1, v3
	v_mad_u64_u32 v[0:1], s[6:7], v3, s8, v[0:1]
	v_mad_u64_u32 v[2:3], s[6:7], v3, s9, v[2:3]
	v_mov_b32_e32 v1, v4
	s_cbranch_scc1 .LBB21_166
.LBB21_167:
	s_cbranch_execnz .LBB21_170
.LBB21_168:
	s_waitcnt lgkmcnt(0)
	v_mul_hi_u32 v0, s25, v19
	s_andn2_b64 vcc, exec, s[42:43]
	v_add_u32_e32 v0, v19, v0
	v_lshrrev_b32_e32 v1, s26, v0
	v_mul_lo_u32 v0, v1, s24
	v_sub_u32_e32 v2, v19, v0
	v_mul_lo_u32 v0, v2, s20
	v_mul_lo_u32 v2, v2, s21
	s_cbranch_vccnz .LBB21_170
; %bb.169:
	v_mul_hi_u32 v3, s40, v1
	v_add_u32_e32 v3, v1, v3
	v_lshrrev_b32_e32 v3, s41, v3
	v_mul_lo_u32 v3, v3, s27
	v_sub_u32_e32 v3, v1, v3
	v_mad_u64_u32 v[0:1], s[0:1], v3, s22, v[0:1]
	v_mad_u64_u32 v[2:3], s[0:1], v3, s23, v[2:3]
.LBB21_170:
	s_waitcnt lgkmcnt(0)
	global_load_ushort v1, v2, s[18:19]
	v_add_u32_e32 v19, 0x80, v19
	s_waitcnt vmcnt(0)
	v_cmp_nge_f16_e64 s[0:1], v1, -s55
	v_cmp_nge_f16_e32 vcc, s55, v1
	s_or_b64 vcc, s[0:1], vcc
	v_cndmask_b32_e32 v1, 0, v1, vcc
	global_store_short v0, v1, s[16:17]
	s_or_b64 exec, exec, s[48:49]
	v_cmp_gt_i32_e32 vcc, s56, v19
	s_and_saveexec_b64 s[48:49], vcc
	s_cbranch_execnz .LBB21_156
.LBB21_171:
	s_or_b64 exec, exec, s[48:49]
	v_cmp_gt_i32_e32 vcc, s56, v19
	s_and_saveexec_b64 s[48:49], vcc
	s_cbranch_execz .LBB21_187
.LBB21_172:
	s_andn2_b64 vcc, exec, s[36:37]
	s_cbranch_vccnz .LBB21_177
; %bb.173:
	s_andn2_b64 vcc, exec, s[46:47]
	s_cbranch_vccnz .LBB21_178
; %bb.174:
	s_add_i32 s59, s57, 1
	s_cmp_eq_u32 s54, 2
	s_cbranch_scc1 .LBB21_195
; %bb.175:
	s_and_b32 s58, s59, 28
	v_mov_b32_e32 v2, 0
	s_mov_b32 s60, 0
	s_mov_b64 s[50:51], s[34:35]
	s_mov_b64 s[52:53], s[44:45]
	v_mov_b32_e32 v0, 0
	v_mov_b32_e32 v1, v19
.LBB21_176:                             ; =>This Inner Loop Header: Depth=1
	s_load_dwordx8 s[8:15], s[50:51], 0x4
	s_load_dwordx4 s[28:31], s[50:51], 0x24
	s_load_dwordx8 s[0:7], s[52:53], 0x0
	s_add_u32 s50, s50, 48
	s_addc_u32 s51, s51, 0
	s_waitcnt lgkmcnt(0)
	v_mul_hi_u32 v3, s9, v1
	s_add_i32 s60, s60, 4
	s_add_u32 s52, s52, 32
	s_addc_u32 s53, s53, 0
	v_add_u32_e32 v3, v1, v3
	v_lshrrev_b32_e32 v3, s10, v3
	v_mul_lo_u32 v4, v3, s8
	v_mul_hi_u32 v5, s12, v3
	s_cmp_eq_u32 s58, s60
	v_sub_u32_e32 v1, v1, v4
	v_add_u32_e32 v4, v3, v5
	v_mul_lo_u32 v5, v1, s0
	v_mul_lo_u32 v6, v1, s1
	v_lshrrev_b32_e32 v1, s13, v4
	v_mul_lo_u32 v4, v1, s11
	v_mul_hi_u32 v7, s15, v1
	v_sub_u32_e32 v3, v3, v4
	v_add_u32_e32 v4, v1, v7
	v_lshrrev_b32_e32 v4, s28, v4
	v_mul_hi_u32 v8, s30, v4
	v_mul_lo_u32 v9, v4, s14
	v_mul_lo_u32 v7, v3, s2
	;; [unrolled: 1-line block ×3, first 2 shown]
	v_sub_u32_e32 v9, v1, v9
	v_add_u32_e32 v1, v4, v8
	v_lshrrev_b32_e32 v1, s31, v1
	v_mul_lo_u32 v8, v1, s29
	v_mul_lo_u32 v10, v9, s4
	;; [unrolled: 1-line block ×3, first 2 shown]
	v_add3_u32 v0, v5, v0, v7
	v_sub_u32_e32 v4, v4, v8
	v_mul_lo_u32 v8, v4, s6
	v_mul_lo_u32 v4, v4, s7
	v_add3_u32 v2, v6, v2, v3
	v_add3_u32 v0, v10, v0, v8
	;; [unrolled: 1-line block ×3, first 2 shown]
	s_cbranch_scc0 .LBB21_176
	s_branch .LBB21_196
.LBB21_177:
                                        ; implicit-def: $vgpr0
                                        ; implicit-def: $vgpr2
	s_branch .LBB21_200
.LBB21_178:
	v_mov_b32_e32 v0, 0
	v_mov_b32_e32 v2, 0
	s_branch .LBB21_199
.LBB21_179:
	s_mov_b32 s58, 0
	v_mov_b32_e32 v0, 0
	v_mov_b32_e32 v2, 0
	;; [unrolled: 1-line block ×3, first 2 shown]
.LBB21_180:
	s_and_b32 s4, s59, 3
	s_cmp_eq_u32 s4, 0
	s_cbranch_scc1 .LBB21_183
; %bb.181:
	s_lshl_b32 s0, s58, 3
	s_add_u32 s0, s34, s0
	s_addc_u32 s1, s35, 0
	s_add_u32 s0, s0, 0xc4
	s_addc_u32 s1, s1, 0
	s_mul_i32 s2, s58, 12
	s_add_u32 s2, s34, s2
	s_addc_u32 s3, s35, 0
.LBB21_182:                             ; =>This Inner Loop Header: Depth=1
	s_load_dwordx2 s[6:7], s[2:3], 0x4
	s_load_dword s5, s[2:3], 0xc
	s_load_dwordx2 s[8:9], s[0:1], 0x0
	s_add_u32 s2, s2, 12
	s_addc_u32 s3, s3, 0
	s_waitcnt lgkmcnt(0)
	v_mul_hi_u32 v3, s7, v1
	s_add_u32 s0, s0, 8
	s_addc_u32 s1, s1, 0
	s_add_i32 s4, s4, -1
	v_add_u32_e32 v3, v1, v3
	v_lshrrev_b32_e32 v4, s5, v3
	v_mul_lo_u32 v3, v4, s6
	s_cmp_lg_u32 s4, 0
	v_sub_u32_e32 v3, v1, v3
	v_mad_u64_u32 v[0:1], s[6:7], v3, s8, v[0:1]
	v_mad_u64_u32 v[2:3], s[6:7], v3, s9, v[2:3]
	v_mov_b32_e32 v1, v4
	s_cbranch_scc1 .LBB21_182
.LBB21_183:
	s_cbranch_execnz .LBB21_186
.LBB21_184:
	s_waitcnt lgkmcnt(0)
	v_mul_hi_u32 v0, s25, v19
	s_andn2_b64 vcc, exec, s[42:43]
	v_add_u32_e32 v0, v19, v0
	v_lshrrev_b32_e32 v1, s26, v0
	v_mul_lo_u32 v0, v1, s24
	v_sub_u32_e32 v2, v19, v0
	v_mul_lo_u32 v0, v2, s20
	v_mul_lo_u32 v2, v2, s21
	s_cbranch_vccnz .LBB21_186
; %bb.185:
	v_mul_hi_u32 v3, s40, v1
	v_add_u32_e32 v3, v1, v3
	v_lshrrev_b32_e32 v3, s41, v3
	v_mul_lo_u32 v3, v3, s27
	v_sub_u32_e32 v3, v1, v3
	v_mad_u64_u32 v[0:1], s[0:1], v3, s22, v[0:1]
	v_mad_u64_u32 v[2:3], s[0:1], v3, s23, v[2:3]
.LBB21_186:
	s_waitcnt lgkmcnt(0)
	global_load_ushort v1, v2, s[18:19]
	v_add_u32_e32 v19, 0x80, v19
	s_waitcnt vmcnt(0)
	v_cmp_nge_f16_e64 s[0:1], v1, -s55
	v_cmp_nge_f16_e32 vcc, s55, v1
	s_or_b64 vcc, s[0:1], vcc
	v_cndmask_b32_e32 v1, 0, v1, vcc
	global_store_short v0, v1, s[16:17]
	s_or_b64 exec, exec, s[48:49]
	v_cmp_gt_i32_e32 vcc, s56, v19
	s_and_saveexec_b64 s[48:49], vcc
	s_cbranch_execnz .LBB21_172
.LBB21_187:
	s_or_b64 exec, exec, s[48:49]
	v_cmp_gt_i32_e32 vcc, s56, v19
	s_and_saveexec_b64 s[48:49], vcc
	s_cbranch_execz .LBB21_203
.LBB21_188:
	s_andn2_b64 vcc, exec, s[36:37]
	s_cbranch_vccnz .LBB21_193
; %bb.189:
	s_andn2_b64 vcc, exec, s[46:47]
	s_cbranch_vccnz .LBB21_194
; %bb.190:
	s_add_i32 s59, s57, 1
	s_cmp_eq_u32 s54, 2
	s_cbranch_scc1 .LBB21_211
; %bb.191:
	s_and_b32 s58, s59, 28
	v_mov_b32_e32 v2, 0
	s_mov_b32 s60, 0
	s_mov_b64 s[50:51], s[34:35]
	s_mov_b64 s[52:53], s[44:45]
	v_mov_b32_e32 v0, 0
	v_mov_b32_e32 v1, v19
.LBB21_192:                             ; =>This Inner Loop Header: Depth=1
	s_load_dwordx8 s[8:15], s[50:51], 0x4
	s_load_dwordx4 s[28:31], s[50:51], 0x24
	s_load_dwordx8 s[0:7], s[52:53], 0x0
	s_add_u32 s50, s50, 48
	s_addc_u32 s51, s51, 0
	s_waitcnt lgkmcnt(0)
	v_mul_hi_u32 v3, s9, v1
	s_add_i32 s60, s60, 4
	s_add_u32 s52, s52, 32
	s_addc_u32 s53, s53, 0
	v_add_u32_e32 v3, v1, v3
	v_lshrrev_b32_e32 v3, s10, v3
	v_mul_lo_u32 v4, v3, s8
	v_mul_hi_u32 v5, s12, v3
	s_cmp_eq_u32 s58, s60
	v_sub_u32_e32 v1, v1, v4
	v_add_u32_e32 v4, v3, v5
	v_mul_lo_u32 v5, v1, s0
	v_mul_lo_u32 v6, v1, s1
	v_lshrrev_b32_e32 v1, s13, v4
	v_mul_lo_u32 v4, v1, s11
	v_mul_hi_u32 v7, s15, v1
	v_sub_u32_e32 v3, v3, v4
	v_add_u32_e32 v4, v1, v7
	v_lshrrev_b32_e32 v4, s28, v4
	v_mul_hi_u32 v8, s30, v4
	v_mul_lo_u32 v9, v4, s14
	v_mul_lo_u32 v7, v3, s2
	v_mul_lo_u32 v3, v3, s3
	v_sub_u32_e32 v9, v1, v9
	v_add_u32_e32 v1, v4, v8
	v_lshrrev_b32_e32 v1, s31, v1
	v_mul_lo_u32 v8, v1, s29
	v_mul_lo_u32 v10, v9, s4
	;; [unrolled: 1-line block ×3, first 2 shown]
	v_add3_u32 v0, v5, v0, v7
	v_sub_u32_e32 v4, v4, v8
	v_mul_lo_u32 v8, v4, s6
	v_mul_lo_u32 v4, v4, s7
	v_add3_u32 v2, v6, v2, v3
	v_add3_u32 v0, v10, v0, v8
	;; [unrolled: 1-line block ×3, first 2 shown]
	s_cbranch_scc0 .LBB21_192
	s_branch .LBB21_212
.LBB21_193:
                                        ; implicit-def: $vgpr0
                                        ; implicit-def: $vgpr2
	s_branch .LBB21_216
.LBB21_194:
	v_mov_b32_e32 v0, 0
	v_mov_b32_e32 v2, 0
	s_branch .LBB21_215
.LBB21_195:
	s_mov_b32 s58, 0
	v_mov_b32_e32 v0, 0
	v_mov_b32_e32 v2, 0
	;; [unrolled: 1-line block ×3, first 2 shown]
.LBB21_196:
	s_and_b32 s4, s59, 3
	s_cmp_eq_u32 s4, 0
	s_cbranch_scc1 .LBB21_199
; %bb.197:
	s_lshl_b32 s0, s58, 3
	s_add_u32 s0, s34, s0
	s_addc_u32 s1, s35, 0
	s_add_u32 s0, s0, 0xc4
	s_addc_u32 s1, s1, 0
	s_mul_i32 s2, s58, 12
	s_add_u32 s2, s34, s2
	s_addc_u32 s3, s35, 0
.LBB21_198:                             ; =>This Inner Loop Header: Depth=1
	s_load_dwordx2 s[6:7], s[2:3], 0x4
	s_load_dword s5, s[2:3], 0xc
	s_load_dwordx2 s[8:9], s[0:1], 0x0
	s_add_u32 s2, s2, 12
	s_addc_u32 s3, s3, 0
	s_waitcnt lgkmcnt(0)
	v_mul_hi_u32 v3, s7, v1
	s_add_u32 s0, s0, 8
	s_addc_u32 s1, s1, 0
	s_add_i32 s4, s4, -1
	v_add_u32_e32 v3, v1, v3
	v_lshrrev_b32_e32 v4, s5, v3
	v_mul_lo_u32 v3, v4, s6
	s_cmp_lg_u32 s4, 0
	v_sub_u32_e32 v3, v1, v3
	v_mad_u64_u32 v[0:1], s[6:7], v3, s8, v[0:1]
	v_mad_u64_u32 v[2:3], s[6:7], v3, s9, v[2:3]
	v_mov_b32_e32 v1, v4
	s_cbranch_scc1 .LBB21_198
.LBB21_199:
	s_cbranch_execnz .LBB21_202
.LBB21_200:
	s_waitcnt lgkmcnt(0)
	v_mul_hi_u32 v0, s25, v19
	s_andn2_b64 vcc, exec, s[42:43]
	v_add_u32_e32 v0, v19, v0
	v_lshrrev_b32_e32 v1, s26, v0
	v_mul_lo_u32 v0, v1, s24
	v_sub_u32_e32 v2, v19, v0
	v_mul_lo_u32 v0, v2, s20
	v_mul_lo_u32 v2, v2, s21
	s_cbranch_vccnz .LBB21_202
; %bb.201:
	v_mul_hi_u32 v3, s40, v1
	v_add_u32_e32 v3, v1, v3
	v_lshrrev_b32_e32 v3, s41, v3
	v_mul_lo_u32 v3, v3, s27
	v_sub_u32_e32 v3, v1, v3
	v_mad_u64_u32 v[0:1], s[0:1], v3, s22, v[0:1]
	v_mad_u64_u32 v[2:3], s[0:1], v3, s23, v[2:3]
.LBB21_202:
	s_waitcnt lgkmcnt(0)
	global_load_ushort v1, v2, s[18:19]
	v_add_u32_e32 v19, 0x80, v19
	s_waitcnt vmcnt(0)
	v_cmp_nge_f16_e64 s[0:1], v1, -s55
	v_cmp_nge_f16_e32 vcc, s55, v1
	s_or_b64 vcc, s[0:1], vcc
	v_cndmask_b32_e32 v1, 0, v1, vcc
	global_store_short v0, v1, s[16:17]
	s_or_b64 exec, exec, s[48:49]
	v_cmp_gt_i32_e32 vcc, s56, v19
	s_and_saveexec_b64 s[48:49], vcc
	s_cbranch_execnz .LBB21_188
.LBB21_203:
	s_or_b64 exec, exec, s[48:49]
	v_cmp_gt_i32_e32 vcc, s56, v19
	s_and_saveexec_b64 s[48:49], vcc
	s_cbranch_execz .LBB21_219
.LBB21_204:
	s_andn2_b64 vcc, exec, s[36:37]
	s_cbranch_vccnz .LBB21_209
; %bb.205:
	s_andn2_b64 vcc, exec, s[46:47]
	s_cbranch_vccnz .LBB21_210
; %bb.206:
	s_add_i32 s59, s57, 1
	s_cmp_eq_u32 s54, 2
	s_cbranch_scc1 .LBB21_222
; %bb.207:
	s_and_b32 s58, s59, 28
	v_mov_b32_e32 v2, 0
	s_mov_b32 s60, 0
	s_mov_b64 s[50:51], s[34:35]
	s_mov_b64 s[52:53], s[44:45]
	v_mov_b32_e32 v0, 0
	v_mov_b32_e32 v1, v19
.LBB21_208:                             ; =>This Inner Loop Header: Depth=1
	s_load_dwordx8 s[8:15], s[50:51], 0x4
	s_load_dwordx4 s[28:31], s[50:51], 0x24
	s_load_dwordx8 s[0:7], s[52:53], 0x0
	s_add_u32 s50, s50, 48
	s_addc_u32 s51, s51, 0
	s_waitcnt lgkmcnt(0)
	v_mul_hi_u32 v3, s9, v1
	s_add_i32 s60, s60, 4
	s_add_u32 s52, s52, 32
	s_addc_u32 s53, s53, 0
	v_add_u32_e32 v3, v1, v3
	v_lshrrev_b32_e32 v3, s10, v3
	v_mul_lo_u32 v4, v3, s8
	v_mul_hi_u32 v5, s12, v3
	s_cmp_eq_u32 s58, s60
	v_sub_u32_e32 v1, v1, v4
	v_add_u32_e32 v4, v3, v5
	v_mul_lo_u32 v5, v1, s0
	v_mul_lo_u32 v6, v1, s1
	v_lshrrev_b32_e32 v1, s13, v4
	v_mul_lo_u32 v4, v1, s11
	v_mul_hi_u32 v7, s15, v1
	v_sub_u32_e32 v3, v3, v4
	v_add_u32_e32 v4, v1, v7
	v_lshrrev_b32_e32 v4, s28, v4
	v_mul_hi_u32 v8, s30, v4
	v_mul_lo_u32 v9, v4, s14
	v_mul_lo_u32 v7, v3, s2
	;; [unrolled: 1-line block ×3, first 2 shown]
	v_sub_u32_e32 v9, v1, v9
	v_add_u32_e32 v1, v4, v8
	v_lshrrev_b32_e32 v1, s31, v1
	v_mul_lo_u32 v8, v1, s29
	v_mul_lo_u32 v10, v9, s4
	;; [unrolled: 1-line block ×3, first 2 shown]
	v_add3_u32 v0, v5, v0, v7
	v_sub_u32_e32 v4, v4, v8
	v_mul_lo_u32 v8, v4, s6
	v_mul_lo_u32 v4, v4, s7
	v_add3_u32 v2, v6, v2, v3
	v_add3_u32 v0, v10, v0, v8
	;; [unrolled: 1-line block ×3, first 2 shown]
	s_cbranch_scc0 .LBB21_208
	s_branch .LBB21_223
.LBB21_209:
                                        ; implicit-def: $vgpr0
                                        ; implicit-def: $vgpr2
	s_branch .LBB21_227
.LBB21_210:
	v_mov_b32_e32 v0, 0
	v_mov_b32_e32 v2, 0
	s_branch .LBB21_226
.LBB21_211:
	s_mov_b32 s58, 0
	v_mov_b32_e32 v0, 0
	v_mov_b32_e32 v2, 0
	;; [unrolled: 1-line block ×3, first 2 shown]
.LBB21_212:
	s_and_b32 s4, s59, 3
	s_cmp_eq_u32 s4, 0
	s_cbranch_scc1 .LBB21_215
; %bb.213:
	s_lshl_b32 s0, s58, 3
	s_add_u32 s0, s34, s0
	s_addc_u32 s1, s35, 0
	s_add_u32 s0, s0, 0xc4
	s_addc_u32 s1, s1, 0
	s_mul_i32 s2, s58, 12
	s_add_u32 s2, s34, s2
	s_addc_u32 s3, s35, 0
.LBB21_214:                             ; =>This Inner Loop Header: Depth=1
	s_load_dwordx2 s[6:7], s[2:3], 0x4
	s_load_dword s5, s[2:3], 0xc
	s_load_dwordx2 s[8:9], s[0:1], 0x0
	s_add_u32 s2, s2, 12
	s_addc_u32 s3, s3, 0
	s_waitcnt lgkmcnt(0)
	v_mul_hi_u32 v3, s7, v1
	s_add_u32 s0, s0, 8
	s_addc_u32 s1, s1, 0
	s_add_i32 s4, s4, -1
	v_add_u32_e32 v3, v1, v3
	v_lshrrev_b32_e32 v4, s5, v3
	v_mul_lo_u32 v3, v4, s6
	s_cmp_lg_u32 s4, 0
	v_sub_u32_e32 v3, v1, v3
	v_mad_u64_u32 v[0:1], s[6:7], v3, s8, v[0:1]
	v_mad_u64_u32 v[2:3], s[6:7], v3, s9, v[2:3]
	v_mov_b32_e32 v1, v4
	s_cbranch_scc1 .LBB21_214
.LBB21_215:
	s_cbranch_execnz .LBB21_218
.LBB21_216:
	s_waitcnt lgkmcnt(0)
	v_mul_hi_u32 v0, s25, v19
	s_andn2_b64 vcc, exec, s[42:43]
	v_add_u32_e32 v0, v19, v0
	v_lshrrev_b32_e32 v1, s26, v0
	v_mul_lo_u32 v0, v1, s24
	v_sub_u32_e32 v2, v19, v0
	v_mul_lo_u32 v0, v2, s20
	v_mul_lo_u32 v2, v2, s21
	s_cbranch_vccnz .LBB21_218
; %bb.217:
	v_mul_hi_u32 v3, s40, v1
	v_add_u32_e32 v3, v1, v3
	v_lshrrev_b32_e32 v3, s41, v3
	v_mul_lo_u32 v3, v3, s27
	v_sub_u32_e32 v3, v1, v3
	v_mad_u64_u32 v[0:1], s[0:1], v3, s22, v[0:1]
	v_mad_u64_u32 v[2:3], s[0:1], v3, s23, v[2:3]
.LBB21_218:
	s_waitcnt lgkmcnt(0)
	global_load_ushort v1, v2, s[18:19]
	v_add_u32_e32 v19, 0x80, v19
	s_waitcnt vmcnt(0)
	v_cmp_nge_f16_e64 s[0:1], v1, -s55
	v_cmp_nge_f16_e32 vcc, s55, v1
	s_or_b64 vcc, s[0:1], vcc
	v_cndmask_b32_e32 v1, 0, v1, vcc
	global_store_short v0, v1, s[16:17]
	s_or_b64 exec, exec, s[48:49]
	v_cmp_gt_i32_e32 vcc, s56, v19
	s_and_saveexec_b64 s[48:49], vcc
	s_cbranch_execnz .LBB21_204
.LBB21_219:
	s_or_b64 exec, exec, s[48:49]
	v_cmp_gt_i32_e32 vcc, s56, v19
	s_and_saveexec_b64 s[48:49], vcc
	s_cbranch_execnz .LBB21_230
.LBB21_220:
	s_or_b64 exec, exec, s[48:49]
                                        ; implicit-def: $vgpr25
                                        ; implicit-def: $vgpr19
	s_andn2_saveexec_b64 s[0:1], s[38:39]
	s_cbranch_execnz .LBB21_8
.LBB21_221:
	s_endpgm
.LBB21_222:
	s_mov_b32 s58, 0
	v_mov_b32_e32 v0, 0
	v_mov_b32_e32 v2, 0
	;; [unrolled: 1-line block ×3, first 2 shown]
.LBB21_223:
	s_and_b32 s4, s59, 3
	s_cmp_eq_u32 s4, 0
	s_cbranch_scc1 .LBB21_226
; %bb.224:
	s_lshl_b32 s0, s58, 3
	s_add_u32 s0, s34, s0
	s_addc_u32 s1, s35, 0
	s_add_u32 s0, s0, 0xc4
	s_addc_u32 s1, s1, 0
	s_mul_i32 s2, s58, 12
	s_add_u32 s2, s34, s2
	s_addc_u32 s3, s35, 0
.LBB21_225:                             ; =>This Inner Loop Header: Depth=1
	s_load_dwordx2 s[6:7], s[2:3], 0x4
	s_load_dword s5, s[2:3], 0xc
	s_load_dwordx2 s[8:9], s[0:1], 0x0
	s_add_u32 s2, s2, 12
	s_addc_u32 s3, s3, 0
	s_waitcnt lgkmcnt(0)
	v_mul_hi_u32 v3, s7, v1
	s_add_u32 s0, s0, 8
	s_addc_u32 s1, s1, 0
	s_add_i32 s4, s4, -1
	v_add_u32_e32 v3, v1, v3
	v_lshrrev_b32_e32 v4, s5, v3
	v_mul_lo_u32 v3, v4, s6
	s_cmp_lg_u32 s4, 0
	v_sub_u32_e32 v3, v1, v3
	v_mad_u64_u32 v[0:1], s[6:7], v3, s8, v[0:1]
	v_mad_u64_u32 v[2:3], s[6:7], v3, s9, v[2:3]
	v_mov_b32_e32 v1, v4
	s_cbranch_scc1 .LBB21_225
.LBB21_226:
	s_cbranch_execnz .LBB21_229
.LBB21_227:
	s_waitcnt lgkmcnt(0)
	v_mul_hi_u32 v0, s25, v19
	s_andn2_b64 vcc, exec, s[42:43]
	v_add_u32_e32 v0, v19, v0
	v_lshrrev_b32_e32 v1, s26, v0
	v_mul_lo_u32 v0, v1, s24
	v_sub_u32_e32 v2, v19, v0
	v_mul_lo_u32 v0, v2, s20
	v_mul_lo_u32 v2, v2, s21
	s_cbranch_vccnz .LBB21_229
; %bb.228:
	v_mul_hi_u32 v3, s40, v1
	v_add_u32_e32 v3, v1, v3
	v_lshrrev_b32_e32 v3, s41, v3
	v_mul_lo_u32 v3, v3, s27
	v_sub_u32_e32 v3, v1, v3
	v_mad_u64_u32 v[0:1], s[0:1], v3, s22, v[0:1]
	v_mad_u64_u32 v[2:3], s[0:1], v3, s23, v[2:3]
.LBB21_229:
	s_waitcnt lgkmcnt(0)
	global_load_ushort v1, v2, s[18:19]
	v_add_u32_e32 v19, 0x80, v19
	s_waitcnt vmcnt(0)
	v_cmp_nge_f16_e64 s[0:1], v1, -s55
	v_cmp_nge_f16_e32 vcc, s55, v1
	s_or_b64 vcc, s[0:1], vcc
	v_cndmask_b32_e32 v1, 0, v1, vcc
	global_store_short v0, v1, s[16:17]
	s_or_b64 exec, exec, s[48:49]
	v_cmp_gt_i32_e32 vcc, s56, v19
	s_and_saveexec_b64 s[48:49], vcc
	s_cbranch_execz .LBB21_220
.LBB21_230:
	s_andn2_b64 vcc, exec, s[36:37]
	s_cbranch_vccnz .LBB21_235
; %bb.231:
	s_andn2_b64 vcc, exec, s[46:47]
	s_cbranch_vccnz .LBB21_236
; %bb.232:
	s_add_i32 s57, s57, 1
	s_cmp_eq_u32 s54, 2
	s_cbranch_scc1 .LBB21_237
; %bb.233:
	s_and_b32 s50, s57, 28
	v_mov_b32_e32 v2, 0
	s_mov_b32 s51, 0
	s_mov_b64 s[46:47], s[34:35]
	v_mov_b32_e32 v0, 0
	v_mov_b32_e32 v1, v19
.LBB21_234:                             ; =>This Inner Loop Header: Depth=1
	s_load_dwordx8 s[8:15], s[46:47], 0x4
	s_load_dwordx4 s[28:31], s[46:47], 0x24
	s_load_dwordx8 s[0:7], s[44:45], 0x0
	s_add_u32 s46, s46, 48
	s_addc_u32 s47, s47, 0
	s_waitcnt lgkmcnt(0)
	v_mul_hi_u32 v3, s9, v1
	s_add_i32 s51, s51, 4
	s_add_u32 s44, s44, 32
	s_addc_u32 s45, s45, 0
	v_add_u32_e32 v3, v1, v3
	v_lshrrev_b32_e32 v3, s10, v3
	v_mul_lo_u32 v4, v3, s8
	v_mul_hi_u32 v5, s12, v3
	s_cmp_eq_u32 s50, s51
	v_sub_u32_e32 v1, v1, v4
	v_add_u32_e32 v4, v3, v5
	v_mul_lo_u32 v5, v1, s0
	v_mul_lo_u32 v6, v1, s1
	v_lshrrev_b32_e32 v1, s13, v4
	v_mul_lo_u32 v4, v1, s11
	v_mul_hi_u32 v7, s15, v1
	v_sub_u32_e32 v3, v3, v4
	v_add_u32_e32 v4, v1, v7
	v_lshrrev_b32_e32 v4, s28, v4
	v_mul_hi_u32 v8, s30, v4
	v_mul_lo_u32 v9, v4, s14
	v_mul_lo_u32 v7, v3, s2
	;; [unrolled: 1-line block ×3, first 2 shown]
	v_sub_u32_e32 v9, v1, v9
	v_add_u32_e32 v1, v4, v8
	v_lshrrev_b32_e32 v1, s31, v1
	v_mul_lo_u32 v8, v1, s29
	v_mul_lo_u32 v10, v9, s4
	;; [unrolled: 1-line block ×3, first 2 shown]
	v_add3_u32 v0, v5, v0, v7
	v_sub_u32_e32 v4, v4, v8
	v_mul_lo_u32 v8, v4, s6
	v_mul_lo_u32 v4, v4, s7
	v_add3_u32 v2, v6, v2, v3
	v_add3_u32 v0, v10, v0, v8
	;; [unrolled: 1-line block ×3, first 2 shown]
	s_cbranch_scc0 .LBB21_234
	s_branch .LBB21_238
.LBB21_235:
                                        ; implicit-def: $vgpr0
                                        ; implicit-def: $vgpr2
	s_branch .LBB21_242
.LBB21_236:
	v_mov_b32_e32 v0, 0
	v_mov_b32_e32 v2, 0
	s_branch .LBB21_241
.LBB21_237:
	s_mov_b32 s50, 0
	v_mov_b32_e32 v0, 0
	v_mov_b32_e32 v2, 0
	;; [unrolled: 1-line block ×3, first 2 shown]
.LBB21_238:
	s_and_b32 s4, s57, 3
	s_cmp_eq_u32 s4, 0
	s_cbranch_scc1 .LBB21_241
; %bb.239:
	s_lshl_b32 s0, s50, 3
	s_add_u32 s0, s34, s0
	s_addc_u32 s1, s35, 0
	s_add_u32 s0, s0, 0xc4
	s_addc_u32 s1, s1, 0
	s_mul_i32 s2, s50, 12
	s_add_u32 s2, s34, s2
	s_addc_u32 s3, s35, 0
.LBB21_240:                             ; =>This Inner Loop Header: Depth=1
	s_load_dwordx2 s[6:7], s[2:3], 0x4
	s_load_dword s5, s[2:3], 0xc
	s_load_dwordx2 s[8:9], s[0:1], 0x0
	s_add_u32 s2, s2, 12
	s_addc_u32 s3, s3, 0
	s_waitcnt lgkmcnt(0)
	v_mul_hi_u32 v3, s7, v1
	s_add_u32 s0, s0, 8
	s_addc_u32 s1, s1, 0
	s_add_i32 s4, s4, -1
	v_add_u32_e32 v3, v1, v3
	v_lshrrev_b32_e32 v4, s5, v3
	v_mul_lo_u32 v3, v4, s6
	s_cmp_lg_u32 s4, 0
	v_sub_u32_e32 v3, v1, v3
	v_mad_u64_u32 v[0:1], s[6:7], v3, s8, v[0:1]
	v_mad_u64_u32 v[2:3], s[6:7], v3, s9, v[2:3]
	v_mov_b32_e32 v1, v4
	s_cbranch_scc1 .LBB21_240
.LBB21_241:
	s_cbranch_execnz .LBB21_244
.LBB21_242:
	s_waitcnt lgkmcnt(0)
	v_mul_hi_u32 v0, s25, v19
	s_andn2_b64 vcc, exec, s[42:43]
	v_add_u32_e32 v0, v19, v0
	v_lshrrev_b32_e32 v1, s26, v0
	v_mul_lo_u32 v0, v1, s24
	v_sub_u32_e32 v2, v19, v0
	v_mul_lo_u32 v0, v2, s20
	v_mul_lo_u32 v2, v2, s21
	s_cbranch_vccnz .LBB21_244
; %bb.243:
	v_mul_hi_u32 v3, s40, v1
	v_add_u32_e32 v3, v1, v3
	v_lshrrev_b32_e32 v3, s41, v3
	v_mul_lo_u32 v3, v3, s27
	v_sub_u32_e32 v3, v1, v3
	v_mad_u64_u32 v[0:1], s[0:1], v3, s22, v[0:1]
	v_mad_u64_u32 v[2:3], s[0:1], v3, s23, v[2:3]
.LBB21_244:
	s_waitcnt lgkmcnt(0)
	global_load_ushort v1, v2, s[18:19]
	s_waitcnt vmcnt(0)
	v_cmp_nge_f16_e64 s[0:1], v1, -s55
	v_cmp_nge_f16_e32 vcc, s55, v1
	s_or_b64 vcc, s[0:1], vcc
	v_cndmask_b32_e32 v1, 0, v1, vcc
	global_store_short v0, v1, s[16:17]
	s_or_b64 exec, exec, s[48:49]
                                        ; implicit-def: $vgpr25
                                        ; implicit-def: $vgpr19
	s_andn2_saveexec_b64 s[0:1], s[38:39]
	s_cbranch_execz .LBB21_221
	s_branch .LBB21_8
	.section	.rodata,"a",@progbits
	.p2align	6, 0x0
	.amdhsa_kernel _ZN2at6native32elementwise_kernel_manual_unrollILi128ELi8EZNS0_22gpu_kernel_impl_nocastIZZZNS0_12_GLOBAL__N_117hardshrink_kernelERNS_18TensorIteratorBaseERKN3c106ScalarEENKUlvE_clEvENKUlvE1_clEvEUlNS6_4HalfEE_EEvS5_RKT_EUlibE_EEviT1_
		.amdhsa_group_segment_fixed_size 0
		.amdhsa_private_segment_fixed_size 0
		.amdhsa_kernarg_size 360
		.amdhsa_user_sgpr_count 6
		.amdhsa_user_sgpr_private_segment_buffer 1
		.amdhsa_user_sgpr_dispatch_ptr 0
		.amdhsa_user_sgpr_queue_ptr 0
		.amdhsa_user_sgpr_kernarg_segment_ptr 1
		.amdhsa_user_sgpr_dispatch_id 0
		.amdhsa_user_sgpr_flat_scratch_init 0
		.amdhsa_user_sgpr_private_segment_size 0
		.amdhsa_uses_dynamic_stack 0
		.amdhsa_system_sgpr_private_segment_wavefront_offset 0
		.amdhsa_system_sgpr_workgroup_id_x 1
		.amdhsa_system_sgpr_workgroup_id_y 0
		.amdhsa_system_sgpr_workgroup_id_z 0
		.amdhsa_system_sgpr_workgroup_info 0
		.amdhsa_system_vgpr_workitem_id 0
		.amdhsa_next_free_vgpr 26
		.amdhsa_next_free_sgpr 61
		.amdhsa_reserve_vcc 1
		.amdhsa_reserve_flat_scratch 0
		.amdhsa_float_round_mode_32 0
		.amdhsa_float_round_mode_16_64 0
		.amdhsa_float_denorm_mode_32 3
		.amdhsa_float_denorm_mode_16_64 3
		.amdhsa_dx10_clamp 1
		.amdhsa_ieee_mode 1
		.amdhsa_fp16_overflow 0
		.amdhsa_exception_fp_ieee_invalid_op 0
		.amdhsa_exception_fp_denorm_src 0
		.amdhsa_exception_fp_ieee_div_zero 0
		.amdhsa_exception_fp_ieee_overflow 0
		.amdhsa_exception_fp_ieee_underflow 0
		.amdhsa_exception_fp_ieee_inexact 0
		.amdhsa_exception_int_div_zero 0
	.end_amdhsa_kernel
	.section	.text._ZN2at6native32elementwise_kernel_manual_unrollILi128ELi8EZNS0_22gpu_kernel_impl_nocastIZZZNS0_12_GLOBAL__N_117hardshrink_kernelERNS_18TensorIteratorBaseERKN3c106ScalarEENKUlvE_clEvENKUlvE1_clEvEUlNS6_4HalfEE_EEvS5_RKT_EUlibE_EEviT1_,"axG",@progbits,_ZN2at6native32elementwise_kernel_manual_unrollILi128ELi8EZNS0_22gpu_kernel_impl_nocastIZZZNS0_12_GLOBAL__N_117hardshrink_kernelERNS_18TensorIteratorBaseERKN3c106ScalarEENKUlvE_clEvENKUlvE1_clEvEUlNS6_4HalfEE_EEvS5_RKT_EUlibE_EEviT1_,comdat
.Lfunc_end21:
	.size	_ZN2at6native32elementwise_kernel_manual_unrollILi128ELi8EZNS0_22gpu_kernel_impl_nocastIZZZNS0_12_GLOBAL__N_117hardshrink_kernelERNS_18TensorIteratorBaseERKN3c106ScalarEENKUlvE_clEvENKUlvE1_clEvEUlNS6_4HalfEE_EEvS5_RKT_EUlibE_EEviT1_, .Lfunc_end21-_ZN2at6native32elementwise_kernel_manual_unrollILi128ELi8EZNS0_22gpu_kernel_impl_nocastIZZZNS0_12_GLOBAL__N_117hardshrink_kernelERNS_18TensorIteratorBaseERKN3c106ScalarEENKUlvE_clEvENKUlvE1_clEvEUlNS6_4HalfEE_EEvS5_RKT_EUlibE_EEviT1_
                                        ; -- End function
	.set _ZN2at6native32elementwise_kernel_manual_unrollILi128ELi8EZNS0_22gpu_kernel_impl_nocastIZZZNS0_12_GLOBAL__N_117hardshrink_kernelERNS_18TensorIteratorBaseERKN3c106ScalarEENKUlvE_clEvENKUlvE1_clEvEUlNS6_4HalfEE_EEvS5_RKT_EUlibE_EEviT1_.num_vgpr, 26
	.set _ZN2at6native32elementwise_kernel_manual_unrollILi128ELi8EZNS0_22gpu_kernel_impl_nocastIZZZNS0_12_GLOBAL__N_117hardshrink_kernelERNS_18TensorIteratorBaseERKN3c106ScalarEENKUlvE_clEvENKUlvE1_clEvEUlNS6_4HalfEE_EEvS5_RKT_EUlibE_EEviT1_.num_agpr, 0
	.set _ZN2at6native32elementwise_kernel_manual_unrollILi128ELi8EZNS0_22gpu_kernel_impl_nocastIZZZNS0_12_GLOBAL__N_117hardshrink_kernelERNS_18TensorIteratorBaseERKN3c106ScalarEENKUlvE_clEvENKUlvE1_clEvEUlNS6_4HalfEE_EEvS5_RKT_EUlibE_EEviT1_.numbered_sgpr, 61
	.set _ZN2at6native32elementwise_kernel_manual_unrollILi128ELi8EZNS0_22gpu_kernel_impl_nocastIZZZNS0_12_GLOBAL__N_117hardshrink_kernelERNS_18TensorIteratorBaseERKN3c106ScalarEENKUlvE_clEvENKUlvE1_clEvEUlNS6_4HalfEE_EEvS5_RKT_EUlibE_EEviT1_.num_named_barrier, 0
	.set _ZN2at6native32elementwise_kernel_manual_unrollILi128ELi8EZNS0_22gpu_kernel_impl_nocastIZZZNS0_12_GLOBAL__N_117hardshrink_kernelERNS_18TensorIteratorBaseERKN3c106ScalarEENKUlvE_clEvENKUlvE1_clEvEUlNS6_4HalfEE_EEvS5_RKT_EUlibE_EEviT1_.private_seg_size, 0
	.set _ZN2at6native32elementwise_kernel_manual_unrollILi128ELi8EZNS0_22gpu_kernel_impl_nocastIZZZNS0_12_GLOBAL__N_117hardshrink_kernelERNS_18TensorIteratorBaseERKN3c106ScalarEENKUlvE_clEvENKUlvE1_clEvEUlNS6_4HalfEE_EEvS5_RKT_EUlibE_EEviT1_.uses_vcc, 1
	.set _ZN2at6native32elementwise_kernel_manual_unrollILi128ELi8EZNS0_22gpu_kernel_impl_nocastIZZZNS0_12_GLOBAL__N_117hardshrink_kernelERNS_18TensorIteratorBaseERKN3c106ScalarEENKUlvE_clEvENKUlvE1_clEvEUlNS6_4HalfEE_EEvS5_RKT_EUlibE_EEviT1_.uses_flat_scratch, 0
	.set _ZN2at6native32elementwise_kernel_manual_unrollILi128ELi8EZNS0_22gpu_kernel_impl_nocastIZZZNS0_12_GLOBAL__N_117hardshrink_kernelERNS_18TensorIteratorBaseERKN3c106ScalarEENKUlvE_clEvENKUlvE1_clEvEUlNS6_4HalfEE_EEvS5_RKT_EUlibE_EEviT1_.has_dyn_sized_stack, 0
	.set _ZN2at6native32elementwise_kernel_manual_unrollILi128ELi8EZNS0_22gpu_kernel_impl_nocastIZZZNS0_12_GLOBAL__N_117hardshrink_kernelERNS_18TensorIteratorBaseERKN3c106ScalarEENKUlvE_clEvENKUlvE1_clEvEUlNS6_4HalfEE_EEvS5_RKT_EUlibE_EEviT1_.has_recursion, 0
	.set _ZN2at6native32elementwise_kernel_manual_unrollILi128ELi8EZNS0_22gpu_kernel_impl_nocastIZZZNS0_12_GLOBAL__N_117hardshrink_kernelERNS_18TensorIteratorBaseERKN3c106ScalarEENKUlvE_clEvENKUlvE1_clEvEUlNS6_4HalfEE_EEvS5_RKT_EUlibE_EEviT1_.has_indirect_call, 0
	.section	.AMDGPU.csdata,"",@progbits
; Kernel info:
; codeLenInByte = 11568
; TotalNumSgprs: 65
; NumVgprs: 26
; ScratchSize: 0
; MemoryBound: 0
; FloatMode: 240
; IeeeMode: 1
; LDSByteSize: 0 bytes/workgroup (compile time only)
; SGPRBlocks: 8
; VGPRBlocks: 6
; NumSGPRsForWavesPerEU: 65
; NumVGPRsForWavesPerEU: 26
; Occupancy: 9
; WaveLimiterHint : 1
; COMPUTE_PGM_RSRC2:SCRATCH_EN: 0
; COMPUTE_PGM_RSRC2:USER_SGPR: 6
; COMPUTE_PGM_RSRC2:TRAP_HANDLER: 0
; COMPUTE_PGM_RSRC2:TGID_X_EN: 1
; COMPUTE_PGM_RSRC2:TGID_Y_EN: 0
; COMPUTE_PGM_RSRC2:TGID_Z_EN: 0
; COMPUTE_PGM_RSRC2:TIDIG_COMP_CNT: 0
	.section	.text._ZN2at6native32elementwise_kernel_manual_unrollILi128ELi4EZNS0_15gpu_kernel_implIZZZNS0_12_GLOBAL__N_117hardshrink_kernelERNS_18TensorIteratorBaseERKN3c106ScalarEENKUlvE_clEvENKUlvE1_clEvEUlNS6_4HalfEE_EEvS5_RKT_EUlibE_EEviT1_,"axG",@progbits,_ZN2at6native32elementwise_kernel_manual_unrollILi128ELi4EZNS0_15gpu_kernel_implIZZZNS0_12_GLOBAL__N_117hardshrink_kernelERNS_18TensorIteratorBaseERKN3c106ScalarEENKUlvE_clEvENKUlvE1_clEvEUlNS6_4HalfEE_EEvS5_RKT_EUlibE_EEviT1_,comdat
	.globl	_ZN2at6native32elementwise_kernel_manual_unrollILi128ELi4EZNS0_15gpu_kernel_implIZZZNS0_12_GLOBAL__N_117hardshrink_kernelERNS_18TensorIteratorBaseERKN3c106ScalarEENKUlvE_clEvENKUlvE1_clEvEUlNS6_4HalfEE_EEvS5_RKT_EUlibE_EEviT1_ ; -- Begin function _ZN2at6native32elementwise_kernel_manual_unrollILi128ELi4EZNS0_15gpu_kernel_implIZZZNS0_12_GLOBAL__N_117hardshrink_kernelERNS_18TensorIteratorBaseERKN3c106ScalarEENKUlvE_clEvENKUlvE1_clEvEUlNS6_4HalfEE_EEvS5_RKT_EUlibE_EEviT1_
	.p2align	8
	.type	_ZN2at6native32elementwise_kernel_manual_unrollILi128ELi4EZNS0_15gpu_kernel_implIZZZNS0_12_GLOBAL__N_117hardshrink_kernelERNS_18TensorIteratorBaseERKN3c106ScalarEENKUlvE_clEvENKUlvE1_clEvEUlNS6_4HalfEE_EEvS5_RKT_EUlibE_EEviT1_,@function
_ZN2at6native32elementwise_kernel_manual_unrollILi128ELi4EZNS0_15gpu_kernel_implIZZZNS0_12_GLOBAL__N_117hardshrink_kernelERNS_18TensorIteratorBaseERKN3c106ScalarEENKUlvE_clEvENKUlvE1_clEvEUlNS6_4HalfEE_EEvS5_RKT_EUlibE_EEviT1_: ; @_ZN2at6native32elementwise_kernel_manual_unrollILi128ELi4EZNS0_15gpu_kernel_implIZZZNS0_12_GLOBAL__N_117hardshrink_kernelERNS_18TensorIteratorBaseERKN3c106ScalarEENKUlvE_clEvENKUlvE1_clEvEUlNS6_4HalfEE_EEvS5_RKT_EUlibE_EEviT1_
; %bb.0:
	s_load_dword s33, s[4:5], 0x20
	s_load_dwordx2 s[2:3], s[4:5], 0x18
	s_load_dword s38, s[4:5], 0x0
	s_load_dwordx4 s[8:11], s[4:5], 0x8
	v_lshl_or_b32 v2, s6, 9, v0
	v_or_b32_e32 v0, 0x180, v2
	s_waitcnt lgkmcnt(0)
	s_lshr_b32 s42, s33, 16
	s_lshr_b32 s43, s33, 24
	v_cmp_le_i32_e32 vcc, s38, v0
	s_mov_b64 s[4:5], 0
	s_mov_b64 s[12:13], 0
	s_and_saveexec_b64 s[0:1], vcc
	s_xor_b64 s[6:7], exec, s[0:1]
	s_cbranch_execz .LBB22_1027
; %bb.1:
	v_cmp_gt_i32_e32 vcc, s38, v2
	s_mov_b64 s[18:19], -1
	s_mov_b64 s[20:21], 0
	s_mov_b64 s[14:15], 0
	s_and_saveexec_b64 s[16:17], vcc
	s_cbranch_execz .LBB22_252
; %bb.2:
	v_mul_lo_u32 v0, v2, s3
	v_mov_b32_e32 v1, s11
	s_and_b32 s22, 0xffff, s43
	s_cmp_lt_i32 s22, 11
	v_ashrrev_i32_e32 v3, 31, v0
	v_add_co_u32_e32 v0, vcc, s10, v0
	v_addc_co_u32_e32 v1, vcc, v1, v3, vcc
	s_cbranch_scc1 .LBB22_9
; %bb.3:
	s_cmp_gt_i32 s22, 25
	s_cbranch_scc0 .LBB22_18
; %bb.4:
	s_cmp_gt_i32 s22, 28
	s_cbranch_scc0 .LBB22_22
	;; [unrolled: 3-line block ×4, first 2 shown]
; %bb.7:
	s_cmp_eq_u32 s22, 46
	s_cbranch_scc0 .LBB22_28
; %bb.8:
	global_load_dword v3, v[0:1], off
	s_mov_b64 s[0:1], -1
	s_waitcnt vmcnt(0)
	v_lshlrev_b32_e32 v3, 16, v3
	v_cvt_f16_f32_e32 v3, v3
	s_branch .LBB22_30
.LBB22_9:
                                        ; implicit-def: $vgpr3
	s_mov_b64 s[0:1], 0
	s_cbranch_execnz .LBB22_203
.LBB22_10:
	s_andn2_b64 vcc, exec, s[0:1]
	s_cbranch_vccnz .LBB22_250
.LBB22_11:
	v_mul_lo_u32 v0, v2, s2
	s_waitcnt vmcnt(0)
	v_cmp_nge_f16_e64 s[0:1], v3, -s33
	v_cmp_nge_f16_e32 vcc, s33, v3
	s_or_b64 vcc, s[0:1], vcc
	v_cndmask_b32_e32 v3, 0, v3, vcc
	v_ashrrev_i32_e32 v1, 31, v0
	v_mov_b32_e32 v4, s9
	s_and_b32 s24, s42, 0xff
	v_add_co_u32_e32 v0, vcc, s8, v0
	s_cmp_lt_i32 s24, 11
	v_addc_co_u32_e32 v1, vcc, v4, v1, vcc
	s_cbranch_scc1 .LBB22_19
; %bb.12:
	s_and_b32 s25, 0xffff, s24
	s_cmp_gt_i32 s25, 25
	s_cbranch_scc0 .LBB22_23
; %bb.13:
	s_cmp_gt_i32 s25, 28
	s_cbranch_scc0 .LBB22_25
; %bb.14:
	;; [unrolled: 3-line block ×4, first 2 shown]
	s_mov_b64 s[18:19], 0
	s_mov_b64 s[0:1], -1
	s_cmp_eq_u32 s25, 46
	s_mov_b64 s[12:13], 0
	s_cbranch_scc0 .LBB22_34
; %bb.17:
	v_cvt_f32_f16_e32 v4, v3
	s_movk_i32 s0, 0x7fff
	v_cmp_o_f16_e32 vcc, v3, v3
	v_mov_b32_e32 v5, 0x7fc0
	v_bfe_u32 v6, v4, 16, 1
	v_add3_u32 v4, v4, v6, s0
	v_cndmask_b32_sdwa v4, v5, v4, vcc dst_sel:DWORD dst_unused:UNUSED_PAD src0_sel:DWORD src1_sel:WORD_1
	global_store_dword v[0:1], v4, off
	s_mov_b64 s[12:13], -1
	s_mov_b64 s[0:1], 0
	s_branch .LBB22_34
.LBB22_18:
	s_mov_b64 s[0:1], 0
                                        ; implicit-def: $vgpr3
	s_cbranch_execnz .LBB22_168
	s_branch .LBB22_202
.LBB22_19:
	s_mov_b64 s[0:1], 0
	s_mov_b64 s[12:13], 0
	s_cbranch_execnz .LBB22_103
.LBB22_20:
	s_andn2_b64 vcc, exec, s[12:13]
	s_cbranch_vccnz .LBB22_141
.LBB22_21:
	v_add_u32_e32 v2, 0x80, v2
	s_mov_b64 s[18:19], -1
	s_branch .LBB22_251
.LBB22_22:
	s_mov_b64 s[12:13], -1
	s_mov_b64 s[0:1], 0
                                        ; implicit-def: $vgpr3
	s_branch .LBB22_149
.LBB22_23:
	s_mov_b64 s[18:19], -1
	s_mov_b64 s[0:1], 0
	s_mov_b64 s[12:13], 0
	s_branch .LBB22_61
.LBB22_24:
	s_mov_b64 s[12:13], -1
	s_mov_b64 s[0:1], 0
                                        ; implicit-def: $vgpr3
	s_branch .LBB22_144
.LBB22_25:
	s_mov_b64 s[18:19], -1
	s_mov_b64 s[0:1], 0
	s_mov_b64 s[12:13], 0
	s_branch .LBB22_44
.LBB22_26:
	s_mov_b64 s[12:13], -1
	s_branch .LBB22_29
.LBB22_27:
	s_mov_b64 s[18:19], -1
	s_mov_b64 s[0:1], 0
	s_mov_b64 s[12:13], 0
	s_branch .LBB22_40
.LBB22_28:
	s_mov_b64 s[14:15], -1
.LBB22_29:
	s_mov_b64 s[0:1], 0
                                        ; implicit-def: $vgpr3
.LBB22_30:
	s_and_b64 vcc, exec, s[12:13]
	s_cbranch_vccz .LBB22_143
; %bb.31:
	s_cmp_eq_u32 s22, 44
	s_cbranch_scc0 .LBB22_142
; %bb.32:
	global_load_ubyte v3, v[0:1], off
	s_movk_i32 s12, 0xff
	v_mov_b32_e32 v5, 0x7e00
	s_mov_b64 s[0:1], -1
	s_mov_b64 s[14:15], 0
	s_waitcnt vmcnt(0)
	v_lshlrev_b32_e32 v4, 23, v3
	v_cvt_f16_f32_e32 v4, v4
	v_cmp_ne_u32_e32 vcc, s12, v3
	v_cndmask_b32_e32 v4, v5, v4, vcc
	v_cmp_ne_u32_e32 vcc, 0, v3
	v_cndmask_b32_e32 v3, 0, v4, vcc
	s_branch .LBB22_143
.LBB22_33:
	s_mov_b64 s[18:19], -1
	s_mov_b64 s[0:1], 0
	s_mov_b64 s[12:13], 0
.LBB22_34:
	s_and_b64 vcc, exec, s[18:19]
	s_cbranch_vccz .LBB22_39
; %bb.35:
	s_cmp_eq_u32 s25, 44
	s_mov_b64 s[0:1], -1
	s_cbranch_scc0 .LBB22_39
; %bb.36:
	v_cvt_f32_f16_e32 v4, v3
	s_movk_i32 s0, 0xff
	v_mov_b32_e32 v6, 0xff
	v_bfe_u32 v5, v4, 23, 8
	v_cmp_ne_u32_e32 vcc, s0, v5
	s_and_saveexec_b64 s[12:13], vcc
; %bb.37:
	s_mov_b32 s0, 0x3fffff
	v_lshrrev_b32_e32 v6, 23, v4
	v_and_b32_e32 v7, 0x400000, v4
	v_and_or_b32 v4, v4, s0, v5
	v_cmp_ne_u32_e32 vcc, 0, v7
	v_cmp_ne_u32_e64 s[0:1], 0, v4
	s_and_b64 s[0:1], vcc, s[0:1]
	v_cndmask_b32_e64 v4, 0, 1, s[0:1]
	v_add_u32_e32 v6, v6, v4
; %bb.38:
	s_or_b64 exec, exec, s[12:13]
	s_mov_b64 s[12:13], -1
	s_mov_b64 s[0:1], 0
	global_store_byte v[0:1], v6, off
.LBB22_39:
	s_mov_b64 s[18:19], 0
.LBB22_40:
	s_and_b64 vcc, exec, s[18:19]
	s_cbranch_vccz .LBB22_43
; %bb.41:
	s_cmp_eq_u32 s25, 29
	s_mov_b64 s[0:1], -1
	s_cbranch_scc0 .LBB22_43
; %bb.42:
	v_cvt_f32_f16_e32 v4, v3
	v_mov_b32_e32 v5, 0
	s_mov_b64 s[12:13], -1
	s_mov_b64 s[0:1], 0
	v_cvt_u32_f32_e32 v4, v4
	s_mov_b64 s[18:19], 0
	global_store_dwordx2 v[0:1], v[4:5], off
	s_branch .LBB22_44
.LBB22_43:
	s_mov_b64 s[18:19], 0
.LBB22_44:
	s_and_b64 vcc, exec, s[18:19]
	s_cbranch_vccz .LBB22_60
; %bb.45:
	s_cmp_lt_i32 s25, 27
	s_mov_b64 s[12:13], -1
	s_cbranch_scc1 .LBB22_51
; %bb.46:
	s_cmp_gt_i32 s25, 27
	s_cbranch_scc0 .LBB22_48
; %bb.47:
	v_cvt_f32_f16_e32 v4, v3
	s_mov_b64 s[12:13], 0
	v_cvt_u32_f32_e32 v4, v4
	global_store_dword v[0:1], v4, off
.LBB22_48:
	s_andn2_b64 vcc, exec, s[12:13]
	s_cbranch_vccnz .LBB22_50
; %bb.49:
	v_cvt_u16_f16_e32 v4, v3
	global_store_short v[0:1], v4, off
.LBB22_50:
	s_mov_b64 s[12:13], 0
.LBB22_51:
	s_andn2_b64 vcc, exec, s[12:13]
	s_cbranch_vccnz .LBB22_59
; %bb.52:
	v_cvt_f32_f16_e32 v4, v3
	s_mov_b32 s12, 0x43800000
	v_mov_b32_e32 v6, 0x80
	v_and_b32_e32 v5, 0x7fffffff, v4
	v_cmp_gt_u32_e32 vcc, s12, v5
	s_and_saveexec_b64 s[12:13], vcc
	s_cbranch_execz .LBB22_58
; %bb.53:
	s_mov_b32 s18, 0x3bffffff
	v_cmp_lt_u32_e32 vcc, s18, v5
	s_mov_b64 s[18:19], 0
                                        ; implicit-def: $vgpr5
	s_and_saveexec_b64 s[22:23], vcc
	s_xor_b64 s[22:23], exec, s[22:23]
	s_cbranch_execz .LBB22_279
; %bb.54:
	v_bfe_u32 v5, v4, 20, 1
	s_mov_b32 s26, 0x487ffff
	v_add3_u32 v5, v4, v5, s26
	s_mov_b64 s[18:19], exec
	v_lshrrev_b32_e32 v5, 20, v5
	s_andn2_saveexec_b64 s[22:23], s[22:23]
	s_cbranch_execnz .LBB22_280
.LBB22_55:
	s_or_b64 exec, exec, s[22:23]
	v_mov_b32_e32 v6, 0
	s_and_saveexec_b64 s[22:23], s[18:19]
.LBB22_56:
	v_lshrrev_b32_e32 v4, 24, v4
	s_movk_i32 s18, 0x80
	v_and_or_b32 v6, v4, s18, v5
.LBB22_57:
	s_or_b64 exec, exec, s[22:23]
.LBB22_58:
	s_or_b64 exec, exec, s[12:13]
	global_store_byte v[0:1], v6, off
.LBB22_59:
	s_mov_b64 s[12:13], -1
.LBB22_60:
	s_mov_b64 s[18:19], 0
.LBB22_61:
	s_and_b64 vcc, exec, s[18:19]
	s_cbranch_vccz .LBB22_102
; %bb.62:
	s_cmp_gt_i32 s25, 22
	s_mov_b64 s[18:19], -1
	s_cbranch_scc0 .LBB22_94
; %bb.63:
	s_cmp_lt_i32 s25, 24
	s_mov_b64 s[12:13], -1
	s_cbranch_scc1 .LBB22_83
; %bb.64:
	s_cmp_gt_i32 s25, 24
	s_cbranch_scc0 .LBB22_72
; %bb.65:
	v_cvt_f32_f16_e32 v4, v3
	s_mov_b32 s12, 0x47800000
	v_mov_b32_e32 v6, 0x80
	v_and_b32_e32 v5, 0x7fffffff, v4
	v_cmp_gt_u32_e32 vcc, s12, v5
	s_and_saveexec_b64 s[12:13], vcc
	s_cbranch_execz .LBB22_71
; %bb.66:
	s_mov_b32 s18, 0x37ffffff
	v_cmp_lt_u32_e32 vcc, s18, v5
	s_mov_b64 s[18:19], 0
                                        ; implicit-def: $vgpr5
	s_and_saveexec_b64 s[22:23], vcc
	s_xor_b64 s[22:23], exec, s[22:23]
	s_cbranch_execz .LBB22_283
; %bb.67:
	v_bfe_u32 v5, v4, 21, 1
	s_mov_b32 s26, 0x88fffff
	v_add3_u32 v5, v4, v5, s26
	s_mov_b64 s[18:19], exec
	v_lshrrev_b32_e32 v5, 21, v5
	s_andn2_saveexec_b64 s[22:23], s[22:23]
	s_cbranch_execnz .LBB22_284
.LBB22_68:
	s_or_b64 exec, exec, s[22:23]
	v_mov_b32_e32 v6, 0
	s_and_saveexec_b64 s[22:23], s[18:19]
.LBB22_69:
	v_lshrrev_b32_e32 v4, 24, v4
	s_movk_i32 s18, 0x80
	v_and_or_b32 v6, v4, s18, v5
.LBB22_70:
	s_or_b64 exec, exec, s[22:23]
.LBB22_71:
	s_or_b64 exec, exec, s[12:13]
	s_mov_b64 s[12:13], 0
	global_store_byte v[0:1], v6, off
.LBB22_72:
	s_and_b64 vcc, exec, s[12:13]
	s_cbranch_vccz .LBB22_82
; %bb.73:
	v_cvt_f32_f16_e32 v4, v3
	s_mov_b32 s12, 0x43f00000
                                        ; implicit-def: $vgpr5
	v_and_b32_e32 v6, 0x7fffffff, v4
	v_cmp_gt_u32_e32 vcc, s12, v6
	s_and_saveexec_b64 s[12:13], vcc
	s_xor_b64 s[12:13], exec, s[12:13]
	s_cbranch_execz .LBB22_79
; %bb.74:
	s_mov_b32 s18, 0x3c7fffff
	v_cmp_lt_u32_e32 vcc, s18, v6
                                        ; implicit-def: $vgpr5
	s_and_saveexec_b64 s[18:19], vcc
	s_xor_b64 s[18:19], exec, s[18:19]
; %bb.75:
	v_bfe_u32 v5, v4, 20, 1
	s_mov_b32 s22, 0x407ffff
	v_add3_u32 v5, v4, v5, s22
	v_lshrrev_b32_e32 v6, 20, v5
	v_and_b32_e32 v5, 0xff00000, v5
	s_mov_b32 s22, 0x7f00000
	v_mov_b32_e32 v7, 0x7e
	v_cmp_ne_u32_e32 vcc, s22, v5
	v_cndmask_b32_e32 v5, v7, v6, vcc
; %bb.76:
	s_andn2_saveexec_b64 s[18:19], s[18:19]
; %bb.77:
	s_mov_b32 s22, 0x46800000
	v_add_f32_e64 v5, |v4|, s22
; %bb.78:
	s_or_b64 exec, exec, s[18:19]
                                        ; implicit-def: $vgpr6
.LBB22_79:
	s_andn2_saveexec_b64 s[12:13], s[12:13]
; %bb.80:
	s_mov_b32 s18, 0x7f800000
	v_mov_b32_e32 v5, 0x7e
	v_mov_b32_e32 v7, 0x7f
	v_cmp_lt_u32_e32 vcc, s18, v6
	v_cndmask_b32_e32 v5, v5, v7, vcc
; %bb.81:
	s_or_b64 exec, exec, s[12:13]
	v_lshrrev_b32_e32 v4, 24, v4
	s_movk_i32 s12, 0x80
	v_and_or_b32 v4, v4, s12, v5
	global_store_byte v[0:1], v4, off
.LBB22_82:
	s_mov_b64 s[12:13], 0
.LBB22_83:
	s_andn2_b64 vcc, exec, s[12:13]
	s_cbranch_vccnz .LBB22_93
; %bb.84:
	v_cvt_f32_f16_e32 v4, v3
	s_mov_b32 s12, 0x47800000
                                        ; implicit-def: $vgpr5
	v_and_b32_e32 v6, 0x7fffffff, v4
	v_cmp_gt_u32_e32 vcc, s12, v6
	s_and_saveexec_b64 s[12:13], vcc
	s_xor_b64 s[12:13], exec, s[12:13]
	s_cbranch_execz .LBB22_90
; %bb.85:
	s_mov_b32 s18, 0x387fffff
	v_cmp_lt_u32_e32 vcc, s18, v6
                                        ; implicit-def: $vgpr5
	s_and_saveexec_b64 s[18:19], vcc
	s_xor_b64 s[18:19], exec, s[18:19]
; %bb.86:
	v_bfe_u32 v5, v4, 21, 1
	s_mov_b32 s22, 0x80fffff
	v_add3_u32 v5, v4, v5, s22
	v_lshrrev_b32_e32 v5, 21, v5
; %bb.87:
	s_andn2_saveexec_b64 s[18:19], s[18:19]
; %bb.88:
	s_mov_b32 s22, 0x43000000
	v_add_f32_e64 v5, |v4|, s22
; %bb.89:
	s_or_b64 exec, exec, s[18:19]
                                        ; implicit-def: $vgpr6
.LBB22_90:
	s_andn2_saveexec_b64 s[12:13], s[12:13]
; %bb.91:
	s_mov_b32 s18, 0x7f800000
	v_mov_b32_e32 v5, 0x7c
	v_mov_b32_e32 v7, 0x7f
	v_cmp_lt_u32_e32 vcc, s18, v6
	v_cndmask_b32_e32 v5, v5, v7, vcc
; %bb.92:
	s_or_b64 exec, exec, s[12:13]
	v_lshrrev_b32_e32 v4, 24, v4
	s_movk_i32 s12, 0x80
	v_and_or_b32 v4, v4, s12, v5
	global_store_byte v[0:1], v4, off
.LBB22_93:
	s_mov_b64 s[18:19], 0
	s_mov_b64 s[12:13], -1
.LBB22_94:
	s_andn2_b64 vcc, exec, s[18:19]
	s_cbranch_vccnz .LBB22_102
; %bb.95:
	s_cmp_gt_i32 s25, 14
	s_mov_b64 s[18:19], -1
	s_cbranch_scc0 .LBB22_99
; %bb.96:
	s_cmp_eq_u32 s25, 15
	s_mov_b64 s[0:1], -1
	s_cbranch_scc0 .LBB22_98
; %bb.97:
	v_cvt_f32_f16_e32 v4, v3
	s_movk_i32 s0, 0x7fff
	v_cmp_o_f16_e32 vcc, v3, v3
	v_mov_b32_e32 v5, 0x7fc0
	v_bfe_u32 v6, v4, 16, 1
	v_add3_u32 v4, v4, v6, s0
	v_cndmask_b32_sdwa v4, v5, v4, vcc dst_sel:DWORD dst_unused:UNUSED_PAD src0_sel:DWORD src1_sel:WORD_1
	global_store_short v[0:1], v4, off
	s_mov_b64 s[12:13], -1
	s_mov_b64 s[0:1], 0
.LBB22_98:
	s_mov_b64 s[18:19], 0
.LBB22_99:
	s_and_b64 vcc, exec, s[18:19]
	s_cbranch_vccz .LBB22_102
; %bb.100:
	s_cmp_eq_u32 s25, 11
	s_mov_b64 s[0:1], -1
	s_cbranch_scc0 .LBB22_102
; %bb.101:
	v_and_b32_e32 v4, 0x7fff, v3
	v_cmp_ne_u16_e32 vcc, 0, v4
	v_cndmask_b32_e64 v4, 0, 1, vcc
	s_mov_b64 s[12:13], -1
	s_mov_b64 s[0:1], 0
	global_store_byte v[0:1], v4, off
.LBB22_102:
	s_branch .LBB22_20
.LBB22_103:
	s_and_b32 s18, 0xffff, s24
	s_cmp_lt_i32 s18, 5
	s_mov_b64 s[12:13], -1
	s_cbranch_scc1 .LBB22_124
; %bb.104:
	s_cmp_lt_i32 s18, 8
	s_cbranch_scc1 .LBB22_114
; %bb.105:
	s_cmp_lt_i32 s18, 9
	s_cbranch_scc1 .LBB22_111
; %bb.106:
	s_cmp_gt_i32 s18, 9
	s_cbranch_scc0 .LBB22_108
; %bb.107:
	v_cvt_f32_f16_e32 v4, v3
	v_mov_b32_e32 v6, 0
	v_mov_b32_e32 v7, v6
	s_mov_b64 s[12:13], 0
	v_cvt_f64_f32_e32 v[4:5], v4
	global_store_dwordx4 v[0:1], v[4:7], off
.LBB22_108:
	s_andn2_b64 vcc, exec, s[12:13]
	s_cbranch_vccnz .LBB22_110
; %bb.109:
	v_cvt_f32_f16_e32 v4, v3
	v_mov_b32_e32 v5, 0
	global_store_dwordx2 v[0:1], v[4:5], off
.LBB22_110:
	s_mov_b64 s[12:13], 0
.LBB22_111:
	s_andn2_b64 vcc, exec, s[12:13]
	s_cbranch_vccnz .LBB22_113
; %bb.112:
	v_and_b32_e32 v4, 0xffff, v3
	global_store_dword v[0:1], v4, off
.LBB22_113:
	s_mov_b64 s[12:13], 0
.LBB22_114:
	s_andn2_b64 vcc, exec, s[12:13]
	s_cbranch_vccnz .LBB22_123
; %bb.115:
	s_cmp_lt_i32 s18, 6
	s_mov_b64 s[12:13], -1
	s_cbranch_scc1 .LBB22_121
; %bb.116:
	s_cmp_gt_i32 s18, 6
	s_cbranch_scc0 .LBB22_118
; %bb.117:
	v_cvt_f32_f16_e32 v4, v3
	s_mov_b64 s[12:13], 0
	v_cvt_f64_f32_e32 v[4:5], v4
	global_store_dwordx2 v[0:1], v[4:5], off
.LBB22_118:
	s_andn2_b64 vcc, exec, s[12:13]
	s_cbranch_vccnz .LBB22_120
; %bb.119:
	v_cvt_f32_f16_e32 v4, v3
	global_store_dword v[0:1], v4, off
.LBB22_120:
	s_mov_b64 s[12:13], 0
.LBB22_121:
	s_andn2_b64 vcc, exec, s[12:13]
	s_cbranch_vccnz .LBB22_123
; %bb.122:
	global_store_short v[0:1], v3, off
.LBB22_123:
	s_mov_b64 s[12:13], 0
.LBB22_124:
	s_andn2_b64 vcc, exec, s[12:13]
	s_cbranch_vccnz .LBB22_140
; %bb.125:
	s_cmp_lt_i32 s18, 2
	s_mov_b64 s[12:13], -1
	s_cbranch_scc1 .LBB22_135
; %bb.126:
	s_cmp_lt_i32 s18, 3
	s_cbranch_scc1 .LBB22_132
; %bb.127:
	s_cmp_gt_i32 s18, 3
	s_cbranch_scc0 .LBB22_129
; %bb.128:
	v_cvt_f32_f16_e32 v4, v3
	s_mov_b64 s[12:13], 0
	v_cvt_i32_f32_e32 v4, v4
	v_ashrrev_i32_e32 v5, 31, v4
	global_store_dwordx2 v[0:1], v[4:5], off
.LBB22_129:
	s_andn2_b64 vcc, exec, s[12:13]
	s_cbranch_vccnz .LBB22_131
; %bb.130:
	v_cvt_f32_f16_e32 v4, v3
	v_cvt_i32_f32_e32 v4, v4
	global_store_dword v[0:1], v4, off
.LBB22_131:
	s_mov_b64 s[12:13], 0
.LBB22_132:
	s_andn2_b64 vcc, exec, s[12:13]
	s_cbranch_vccnz .LBB22_134
; %bb.133:
	v_cvt_i16_f16_e32 v4, v3
	global_store_short v[0:1], v4, off
.LBB22_134:
	s_mov_b64 s[12:13], 0
.LBB22_135:
	s_andn2_b64 vcc, exec, s[12:13]
	s_cbranch_vccnz .LBB22_140
; %bb.136:
	s_cmp_gt_i32 s18, 0
	s_mov_b64 s[12:13], -1
	s_cbranch_scc0 .LBB22_138
; %bb.137:
	v_cvt_i16_f16_e32 v4, v3
	global_store_byte v[0:1], v4, off
	s_mov_b64 s[12:13], 0
.LBB22_138:
	s_andn2_b64 vcc, exec, s[12:13]
	s_cbranch_vccnz .LBB22_140
; %bb.139:
	v_cvt_f32_f16_e32 v3, v3
	v_cvt_i32_f32_e32 v3, v3
	global_store_byte v[0:1], v3, off
.LBB22_140:
	s_branch .LBB22_21
.LBB22_141:
	s_mov_b64 s[18:19], 0
                                        ; implicit-def: $vgpr2
	s_branch .LBB22_251
.LBB22_142:
	s_mov_b64 s[14:15], -1
                                        ; implicit-def: $vgpr3
.LBB22_143:
	s_mov_b64 s[12:13], 0
.LBB22_144:
	s_and_b64 vcc, exec, s[12:13]
	s_cbranch_vccz .LBB22_148
; %bb.145:
	s_cmp_eq_u32 s22, 29
	s_cbranch_scc0 .LBB22_147
; %bb.146:
	global_load_dwordx2 v[3:4], v[0:1], off
	s_mov_b64 s[0:1], -1
	s_mov_b64 s[14:15], 0
	s_mov_b64 s[12:13], 0
	s_waitcnt vmcnt(0)
	v_ffbh_u32_e32 v5, v4
	v_min_u32_e32 v5, 32, v5
	v_lshlrev_b64 v[3:4], v5, v[3:4]
	v_min_u32_e32 v3, 1, v3
	v_or_b32_e32 v3, v4, v3
	v_cvt_f32_u32_e32 v3, v3
	v_sub_u32_e32 v4, 32, v5
	v_ldexp_f32 v3, v3, v4
	v_cvt_f16_f32_e32 v3, v3
	s_branch .LBB22_149
.LBB22_147:
	s_mov_b64 s[14:15], -1
                                        ; implicit-def: $vgpr3
.LBB22_148:
	s_mov_b64 s[12:13], 0
.LBB22_149:
	s_and_b64 vcc, exec, s[12:13]
	s_cbranch_vccz .LBB22_167
; %bb.150:
	s_cmp_lt_i32 s22, 27
	s_cbranch_scc1 .LBB22_153
; %bb.151:
	s_cmp_gt_i32 s22, 27
	s_cbranch_scc0 .LBB22_154
; %bb.152:
	global_load_dword v3, v[0:1], off
	s_mov_b64 s[0:1], 0
	s_waitcnt vmcnt(0)
	v_cvt_f32_u32_e32 v3, v3
	v_cvt_f16_f32_e32 v3, v3
	s_branch .LBB22_155
.LBB22_153:
	s_mov_b64 s[0:1], -1
                                        ; implicit-def: $vgpr3
	s_branch .LBB22_158
.LBB22_154:
	s_mov_b64 s[0:1], -1
                                        ; implicit-def: $vgpr3
.LBB22_155:
	s_andn2_b64 vcc, exec, s[0:1]
	s_cbranch_vccnz .LBB22_157
; %bb.156:
	global_load_ushort v3, v[0:1], off
	s_waitcnt vmcnt(0)
	v_cvt_f16_u16_e32 v3, v3
.LBB22_157:
	s_mov_b64 s[0:1], 0
.LBB22_158:
	s_andn2_b64 vcc, exec, s[0:1]
	s_cbranch_vccnz .LBB22_166
; %bb.159:
	global_load_ubyte v4, v[0:1], off
	s_movk_i32 s0, 0x7f
	s_waitcnt vmcnt(0)
	v_cmp_lt_i16_e32 vcc, s0, v4
	s_mov_b64 s[0:1], 0
	s_and_saveexec_b64 s[12:13], vcc
	s_xor_b64 s[12:13], exec, s[12:13]
	s_cbranch_execz .LBB22_179
; %bb.160:
	s_movk_i32 s0, 0x80
	v_cmp_eq_u16_e32 vcc, s0, v4
	s_mov_b64 s[0:1], -1
	s_and_saveexec_b64 s[18:19], vcc
; %bb.161:
	s_xor_b64 s[0:1], exec, -1
; %bb.162:
	s_or_b64 exec, exec, s[18:19]
	s_and_b64 s[0:1], s[0:1], exec
	s_or_saveexec_b64 s[12:13], s[12:13]
	v_mov_b32_e32 v3, 0x7e00
	s_xor_b64 exec, exec, s[12:13]
	s_cbranch_execnz .LBB22_180
.LBB22_163:
	s_or_b64 exec, exec, s[12:13]
	s_and_saveexec_b64 s[12:13], s[0:1]
	s_cbranch_execz .LBB22_165
.LBB22_164:
	v_lshlrev_b32_e32 v3, 24, v4
	v_and_b32_e32 v4, 0xffff, v4
	v_and_b32_e32 v5, 7, v4
	v_ffbh_u32_e32 v7, v5
	v_min_u32_e32 v7, 32, v7
	v_subrev_u32_e32 v8, 28, v7
	v_bfe_u32 v6, v4, 3, 4
	v_lshlrev_b32_e32 v4, v8, v4
	v_sub_u32_e32 v7, 29, v7
	v_and_b32_e32 v4, 7, v4
	v_cmp_eq_u32_e32 vcc, 0, v6
	v_cndmask_b32_e32 v6, v6, v7, vcc
	v_cndmask_b32_e32 v4, v5, v4, vcc
	v_mov_b32_e32 v5, 0x3b800000
	v_lshlrev_b32_e32 v4, 20, v4
	v_and_b32_e32 v3, 0x80000000, v3
	v_lshl_add_u32 v5, v6, 23, v5
	v_or3_b32 v3, v3, v5, v4
	v_cvt_f16_f32_e32 v3, v3
.LBB22_165:
	s_or_b64 exec, exec, s[12:13]
.LBB22_166:
	s_mov_b64 s[0:1], -1
.LBB22_167:
	s_branch .LBB22_202
.LBB22_168:
	s_cmp_gt_i32 s22, 22
	s_cbranch_scc0 .LBB22_178
; %bb.169:
	s_cmp_lt_i32 s22, 24
	s_cbranch_scc1 .LBB22_181
; %bb.170:
	s_cmp_gt_i32 s22, 24
	s_cbranch_scc0 .LBB22_182
; %bb.171:
	global_load_ubyte v4, v[0:1], off
	s_movk_i32 s0, 0x7f
	s_waitcnt vmcnt(0)
	v_cmp_lt_i16_e32 vcc, s0, v4
	s_mov_b64 s[0:1], 0
	s_and_saveexec_b64 s[12:13], vcc
	s_xor_b64 s[12:13], exec, s[12:13]
	s_cbranch_execz .LBB22_194
; %bb.172:
	s_movk_i32 s0, 0x80
	v_cmp_eq_u16_e32 vcc, s0, v4
	s_mov_b64 s[0:1], -1
	s_and_saveexec_b64 s[18:19], vcc
; %bb.173:
	s_xor_b64 s[0:1], exec, -1
; %bb.174:
	s_or_b64 exec, exec, s[18:19]
	s_and_b64 s[0:1], s[0:1], exec
	s_or_saveexec_b64 s[12:13], s[12:13]
	v_mov_b32_e32 v3, 0x7e00
	s_xor_b64 exec, exec, s[12:13]
	s_cbranch_execnz .LBB22_195
.LBB22_175:
	s_or_b64 exec, exec, s[12:13]
	s_and_saveexec_b64 s[12:13], s[0:1]
	s_cbranch_execz .LBB22_177
.LBB22_176:
	v_lshlrev_b32_e32 v3, 24, v4
	v_and_b32_e32 v4, 0xffff, v4
	v_and_b32_e32 v5, 3, v4
	v_ffbh_u32_e32 v7, v5
	v_min_u32_e32 v7, 32, v7
	v_subrev_u32_e32 v8, 29, v7
	v_bfe_u32 v6, v4, 2, 5
	v_lshlrev_b32_e32 v4, v8, v4
	v_sub_u32_e32 v7, 30, v7
	v_and_b32_e32 v4, 3, v4
	v_cmp_eq_u32_e32 vcc, 0, v6
	v_cndmask_b32_e32 v6, v6, v7, vcc
	v_cndmask_b32_e32 v4, v5, v4, vcc
	v_mov_b32_e32 v5, 0x37800000
	v_lshlrev_b32_e32 v4, 21, v4
	v_and_b32_e32 v3, 0x80000000, v3
	v_lshl_add_u32 v5, v6, 23, v5
	v_or3_b32 v3, v3, v5, v4
	v_cvt_f16_f32_e32 v3, v3
.LBB22_177:
	s_or_b64 exec, exec, s[12:13]
	s_mov_b64 s[0:1], 0
	s_branch .LBB22_183
.LBB22_178:
	s_mov_b64 s[12:13], -1
                                        ; implicit-def: $vgpr3
	s_branch .LBB22_189
.LBB22_179:
	s_or_saveexec_b64 s[12:13], s[12:13]
	v_mov_b32_e32 v3, 0x7e00
	s_xor_b64 exec, exec, s[12:13]
	s_cbranch_execz .LBB22_163
.LBB22_180:
	v_cmp_ne_u16_e32 vcc, 0, v4
	s_andn2_b64 s[0:1], s[0:1], exec
	s_and_b64 s[18:19], vcc, exec
	s_or_b64 s[0:1], s[0:1], s[18:19]
	v_mov_b32_e32 v3, v4
	s_or_b64 exec, exec, s[12:13]
	s_and_saveexec_b64 s[12:13], s[0:1]
	s_cbranch_execnz .LBB22_164
	s_branch .LBB22_165
.LBB22_181:
	s_mov_b64 s[0:1], -1
                                        ; implicit-def: $vgpr3
	s_branch .LBB22_186
.LBB22_182:
	s_mov_b64 s[0:1], -1
                                        ; implicit-def: $vgpr3
.LBB22_183:
	s_and_b64 vcc, exec, s[0:1]
	s_cbranch_vccz .LBB22_185
; %bb.184:
	global_load_ubyte v3, v[0:1], off
	s_mov_b32 s0, 0x7f800000
	s_waitcnt vmcnt(0)
	v_lshlrev_b32_e32 v3, 24, v3
	v_and_b32_e32 v4, 0x7f000000, v3
	v_ffbh_u32_e32 v5, v4
	v_min_u32_e32 v5, 32, v5
	v_sub_u32_e64 v5, v5, 4 clamp
	v_lshlrev_b32_e32 v7, v5, v4
	v_lshlrev_b32_e32 v5, 23, v5
	v_lshrrev_b32_e32 v7, 4, v7
	v_add_u32_e32 v6, 0x1000000, v4
	v_sub_u32_e32 v5, v7, v5
	v_ashrrev_i32_e32 v6, 8, v6
	v_add_u32_e32 v5, 0x3c000000, v5
	v_and_or_b32 v5, v6, s0, v5
	v_cmp_ne_u32_e32 vcc, 0, v4
	v_cndmask_b32_e32 v4, 0, v5, vcc
	s_brev_b32 s0, 1
	v_and_or_b32 v3, v3, s0, v4
	v_cvt_f16_f32_e32 v3, v3
.LBB22_185:
	s_mov_b64 s[0:1], 0
.LBB22_186:
	s_andn2_b64 vcc, exec, s[0:1]
	s_cbranch_vccnz .LBB22_188
; %bb.187:
	global_load_ubyte v3, v[0:1], off
	s_movk_i32 s0, 0x7f00
	s_brev_b32 s1, 16
	s_waitcnt vmcnt(0)
	v_lshlrev_b16_e32 v4, 8, v3
	v_lshlrev_b32_e32 v3, 25, v3
	v_lshrrev_b32_e32 v5, 4, v3
	v_and_or_b32 v6, v4, s0, 0.5
	v_or_b32_e32 v5, 0x70000000, v5
	v_add_f32_e32 v6, -0.5, v6
	v_mul_f32_e32 v5, 0x7800000, v5
	v_cmp_gt_u32_e32 vcc, s1, v3
	v_bfe_i32 v4, v4, 0, 16
	v_cndmask_b32_e32 v3, v5, v6, vcc
	s_brev_b32 s0, 1
	v_and_or_b32 v3, v4, s0, v3
	v_cvt_f16_f32_e32 v3, v3
.LBB22_188:
	s_mov_b64 s[12:13], 0
	s_mov_b64 s[0:1], -1
.LBB22_189:
	s_andn2_b64 vcc, exec, s[12:13]
	s_cbranch_vccnz .LBB22_202
; %bb.190:
	s_cmp_gt_i32 s22, 14
	s_cbranch_scc0 .LBB22_193
; %bb.191:
	s_cmp_eq_u32 s22, 15
	s_cbranch_scc0 .LBB22_196
; %bb.192:
	global_load_ushort v3, v[0:1], off
	s_mov_b64 s[0:1], -1
	s_mov_b64 s[14:15], 0
	s_waitcnt vmcnt(0)
	v_lshlrev_b32_e32 v3, 16, v3
	v_cvt_f16_f32_e32 v3, v3
	s_branch .LBB22_197
.LBB22_193:
	s_mov_b64 s[12:13], -1
                                        ; implicit-def: $vgpr3
	s_branch .LBB22_198
.LBB22_194:
	s_or_saveexec_b64 s[12:13], s[12:13]
	v_mov_b32_e32 v3, 0x7e00
	s_xor_b64 exec, exec, s[12:13]
	s_cbranch_execz .LBB22_175
.LBB22_195:
	v_cmp_ne_u16_e32 vcc, 0, v4
	s_andn2_b64 s[0:1], s[0:1], exec
	s_and_b64 s[18:19], vcc, exec
	s_or_b64 s[0:1], s[0:1], s[18:19]
	v_mov_b32_e32 v3, v4
	s_or_b64 exec, exec, s[12:13]
	s_and_saveexec_b64 s[12:13], s[0:1]
	s_cbranch_execnz .LBB22_176
	s_branch .LBB22_177
.LBB22_196:
	s_mov_b64 s[14:15], -1
                                        ; implicit-def: $vgpr3
.LBB22_197:
	s_mov_b64 s[12:13], 0
.LBB22_198:
	s_and_b64 vcc, exec, s[12:13]
	s_cbranch_vccz .LBB22_202
; %bb.199:
	s_cmp_eq_u32 s22, 11
	s_cbranch_scc0 .LBB22_201
; %bb.200:
	global_load_ubyte v3, v[0:1], off
	v_mov_b32_e32 v4, 0x3c00
	s_mov_b64 s[0:1], -1
	s_mov_b64 s[14:15], 0
	s_waitcnt vmcnt(0)
	v_cmp_ne_u16_e32 vcc, 0, v3
	v_cndmask_b32_e32 v3, 0, v4, vcc
	s_branch .LBB22_202
.LBB22_201:
	s_mov_b64 s[14:15], -1
                                        ; implicit-def: $vgpr3
.LBB22_202:
	s_branch .LBB22_10
.LBB22_203:
	s_cmp_lt_i32 s22, 5
	s_cbranch_scc1 .LBB22_208
; %bb.204:
	s_cmp_lt_i32 s22, 8
	s_cbranch_scc1 .LBB22_209
; %bb.205:
	;; [unrolled: 3-line block ×3, first 2 shown]
	s_cmp_gt_i32 s22, 9
	s_cbranch_scc0 .LBB22_211
; %bb.207:
	global_load_dwordx2 v[3:4], v[0:1], off
	s_movk_i32 s0, 0x1ff
	s_movk_i32 s1, 0xffe
	v_mov_b32_e32 v5, 0x7c00
	v_mov_b32_e32 v6, 0x7e00
	s_movk_i32 s12, 0x40f
	s_mov_b32 s13, 0x8000
	s_waitcnt vmcnt(0)
	v_and_or_b32 v3, v4, s0, v3
	v_cmp_ne_u32_e32 vcc, 0, v3
	v_lshrrev_b32_e32 v7, 8, v4
	v_bfe_u32 v8, v4, 20, 11
	v_cndmask_b32_e64 v3, 0, 1, vcc
	v_sub_u32_e32 v9, 0x3f1, v8
	v_and_or_b32 v3, v7, s1, v3
	v_add_u32_e32 v8, 0xfffffc10, v8
	v_med3_i32 v7, v9, 0, 13
	v_or_b32_e32 v9, 0x1000, v3
	v_cmp_ne_u32_e32 vcc, 0, v3
	v_lshl_or_b32 v10, v8, 12, v3
	v_cndmask_b32_e32 v3, v5, v6, vcc
	v_lshrrev_b32_e32 v6, v7, v9
	v_lshlrev_b32_e32 v7, v7, v6
	v_cmp_ne_u32_e32 vcc, v7, v9
	v_cndmask_b32_e64 v7, 0, 1, vcc
	v_or_b32_e32 v6, v6, v7
	v_cmp_gt_i32_e32 vcc, 1, v8
	v_cndmask_b32_e32 v6, v10, v6, vcc
	v_and_b32_e32 v7, 7, v6
	v_cmp_lt_i32_e32 vcc, 5, v7
	v_cndmask_b32_e64 v9, 0, 1, vcc
	v_cmp_eq_u32_e32 vcc, 3, v7
	v_cndmask_b32_e64 v7, 0, 1, vcc
	v_lshrrev_b32_e32 v6, 2, v6
	v_or_b32_e32 v7, v7, v9
	v_add_u32_e32 v6, v6, v7
	v_cmp_gt_i32_e32 vcc, 31, v8
	v_cndmask_b32_e32 v5, v5, v6, vcc
	v_cmp_eq_u32_e32 vcc, s12, v8
	v_lshrrev_b32_e32 v4, 16, v4
	v_cndmask_b32_e32 v3, v5, v3, vcc
	v_and_or_b32 v3, v4, s13, v3
	s_mov_b64 s[0:1], 0
	s_branch .LBB22_212
.LBB22_208:
                                        ; implicit-def: $vgpr3
	s_branch .LBB22_230
.LBB22_209:
	s_mov_b64 s[0:1], -1
                                        ; implicit-def: $vgpr3
	s_branch .LBB22_218
.LBB22_210:
	s_mov_b64 s[0:1], -1
                                        ; implicit-def: $vgpr3
	s_branch .LBB22_215
.LBB22_211:
	s_mov_b64 s[0:1], -1
                                        ; implicit-def: $vgpr3
.LBB22_212:
	s_andn2_b64 vcc, exec, s[0:1]
	s_cbranch_vccnz .LBB22_214
; %bb.213:
	global_load_dword v3, v[0:1], off
	s_waitcnt vmcnt(0)
	v_cvt_f16_f32_e32 v3, v3
.LBB22_214:
	s_mov_b64 s[0:1], 0
.LBB22_215:
	s_andn2_b64 vcc, exec, s[0:1]
	s_cbranch_vccnz .LBB22_217
; %bb.216:
	global_load_dword v3, v[0:1], off
.LBB22_217:
	s_mov_b64 s[0:1], 0
.LBB22_218:
	s_andn2_b64 vcc, exec, s[0:1]
	s_cbranch_vccnz .LBB22_229
; %bb.219:
	s_cmp_lt_i32 s22, 6
	s_cbranch_scc1 .LBB22_222
; %bb.220:
	s_cmp_gt_i32 s22, 6
	s_cbranch_scc0 .LBB22_223
; %bb.221:
	global_load_dwordx2 v[3:4], v[0:1], off
	s_movk_i32 s0, 0x1ff
	s_movk_i32 s1, 0xffe
	v_mov_b32_e32 v5, 0x7c00
	v_mov_b32_e32 v6, 0x7e00
	s_movk_i32 s12, 0x40f
	s_mov_b32 s13, 0x8000
	s_waitcnt vmcnt(0)
	v_and_or_b32 v3, v4, s0, v3
	v_cmp_ne_u32_e32 vcc, 0, v3
	v_lshrrev_b32_e32 v7, 8, v4
	v_bfe_u32 v8, v4, 20, 11
	v_cndmask_b32_e64 v3, 0, 1, vcc
	v_sub_u32_e32 v9, 0x3f1, v8
	v_and_or_b32 v3, v7, s1, v3
	v_add_u32_e32 v8, 0xfffffc10, v8
	v_med3_i32 v7, v9, 0, 13
	v_or_b32_e32 v9, 0x1000, v3
	v_cmp_ne_u32_e32 vcc, 0, v3
	v_lshl_or_b32 v10, v8, 12, v3
	v_cndmask_b32_e32 v3, v5, v6, vcc
	v_lshrrev_b32_e32 v6, v7, v9
	v_lshlrev_b32_e32 v7, v7, v6
	v_cmp_ne_u32_e32 vcc, v7, v9
	v_cndmask_b32_e64 v7, 0, 1, vcc
	v_or_b32_e32 v6, v6, v7
	v_cmp_gt_i32_e32 vcc, 1, v8
	v_cndmask_b32_e32 v6, v10, v6, vcc
	v_and_b32_e32 v7, 7, v6
	v_cmp_lt_i32_e32 vcc, 5, v7
	v_cndmask_b32_e64 v9, 0, 1, vcc
	v_cmp_eq_u32_e32 vcc, 3, v7
	v_cndmask_b32_e64 v7, 0, 1, vcc
	v_lshrrev_b32_e32 v6, 2, v6
	v_or_b32_e32 v7, v7, v9
	v_add_u32_e32 v6, v6, v7
	v_cmp_gt_i32_e32 vcc, 31, v8
	v_cndmask_b32_e32 v5, v5, v6, vcc
	v_cmp_eq_u32_e32 vcc, s12, v8
	v_lshrrev_b32_e32 v4, 16, v4
	v_cndmask_b32_e32 v3, v5, v3, vcc
	v_and_or_b32 v3, v4, s13, v3
	s_mov_b64 s[0:1], 0
	s_branch .LBB22_224
.LBB22_222:
	s_mov_b64 s[0:1], -1
                                        ; implicit-def: $vgpr3
	s_branch .LBB22_227
.LBB22_223:
	s_mov_b64 s[0:1], -1
                                        ; implicit-def: $vgpr3
.LBB22_224:
	s_andn2_b64 vcc, exec, s[0:1]
	s_cbranch_vccnz .LBB22_226
; %bb.225:
	global_load_dword v3, v[0:1], off
	s_waitcnt vmcnt(0)
	v_cvt_f16_f32_e32 v3, v3
.LBB22_226:
	s_mov_b64 s[0:1], 0
.LBB22_227:
	s_andn2_b64 vcc, exec, s[0:1]
	s_cbranch_vccnz .LBB22_229
; %bb.228:
	global_load_ushort v3, v[0:1], off
.LBB22_229:
	s_cbranch_execnz .LBB22_249
.LBB22_230:
	s_cmp_lt_i32 s22, 2
	s_cbranch_scc1 .LBB22_234
; %bb.231:
	s_cmp_lt_i32 s22, 3
	s_cbranch_scc1 .LBB22_235
; %bb.232:
	s_cmp_gt_i32 s22, 3
	s_cbranch_scc0 .LBB22_236
; %bb.233:
	global_load_dwordx2 v[3:4], v[0:1], off
	s_mov_b64 s[0:1], 0
	s_waitcnt vmcnt(0)
	v_xor_b32_e32 v6, v3, v4
	v_ffbh_i32_e32 v5, v4
	v_ashrrev_i32_e32 v6, 31, v6
	v_add_u32_e32 v5, -1, v5
	v_add_u32_e32 v6, 32, v6
	v_min_u32_e32 v5, v5, v6
	v_lshlrev_b64 v[3:4], v5, v[3:4]
	v_min_u32_e32 v3, 1, v3
	v_or_b32_e32 v3, v4, v3
	v_cvt_f32_i32_e32 v3, v3
	v_sub_u32_e32 v4, 32, v5
	v_ldexp_f32 v3, v3, v4
	v_cvt_f16_f32_e32 v3, v3
	s_branch .LBB22_237
.LBB22_234:
	s_mov_b64 s[0:1], -1
                                        ; implicit-def: $vgpr3
	s_branch .LBB22_243
.LBB22_235:
	s_mov_b64 s[0:1], -1
                                        ; implicit-def: $vgpr3
	s_branch .LBB22_240
.LBB22_236:
	s_mov_b64 s[0:1], -1
                                        ; implicit-def: $vgpr3
.LBB22_237:
	s_andn2_b64 vcc, exec, s[0:1]
	s_cbranch_vccnz .LBB22_239
; %bb.238:
	global_load_dword v3, v[0:1], off
	s_waitcnt vmcnt(0)
	v_cvt_f32_i32_e32 v3, v3
	v_cvt_f16_f32_e32 v3, v3
.LBB22_239:
	s_mov_b64 s[0:1], 0
.LBB22_240:
	s_andn2_b64 vcc, exec, s[0:1]
	s_cbranch_vccnz .LBB22_242
; %bb.241:
	global_load_ushort v3, v[0:1], off
	s_waitcnt vmcnt(0)
	v_cvt_f16_i16_e32 v3, v3
.LBB22_242:
	s_mov_b64 s[0:1], 0
.LBB22_243:
	s_andn2_b64 vcc, exec, s[0:1]
	s_cbranch_vccnz .LBB22_249
; %bb.244:
	s_cmp_gt_i32 s22, 0
	s_cbranch_scc0 .LBB22_246
; %bb.245:
	global_load_sbyte v3, v[0:1], off
	s_mov_b64 s[0:1], 0
	s_waitcnt vmcnt(0)
	v_cvt_f16_i16_e32 v3, v3
	s_branch .LBB22_247
.LBB22_246:
	s_mov_b64 s[0:1], -1
                                        ; implicit-def: $vgpr3
.LBB22_247:
	s_andn2_b64 vcc, exec, s[0:1]
	s_cbranch_vccnz .LBB22_249
; %bb.248:
	global_load_ubyte v0, v[0:1], off
	s_waitcnt vmcnt(0)
	v_cvt_f16_u16_e32 v3, v0
.LBB22_249:
	s_branch .LBB22_11
.LBB22_250:
	s_mov_b64 s[0:1], 0
                                        ; implicit-def: $vgpr2
	s_mov_b64 s[18:19], 0
.LBB22_251:
	s_and_b64 s[12:13], s[0:1], exec
	s_and_b64 s[14:15], s[14:15], exec
	s_orn2_b64 s[18:19], s[18:19], exec
.LBB22_252:
	s_or_b64 exec, exec, s[16:17]
	s_mov_b64 s[22:23], 0
	s_mov_b64 s[0:1], 0
                                        ; implicit-def: $vgpr0_vgpr1
                                        ; implicit-def: $vgpr4
	s_and_saveexec_b64 s[16:17], s[18:19]
	s_cbranch_execz .LBB22_261
; %bb.253:
	v_cmp_gt_i32_e32 vcc, s38, v2
	s_mov_b64 s[0:1], -1
	s_mov_b64 s[18:19], s[14:15]
	s_mov_b64 s[20:21], s[12:13]
	s_and_saveexec_b64 s[22:23], vcc
	s_cbranch_execz .LBB22_513
; %bb.254:
	v_mul_lo_u32 v0, v2, s3
	v_mov_b32_e32 v1, s11
	s_and_b32 s26, 0xffff, s43
	s_cmp_lt_i32 s26, 11
	s_waitcnt vmcnt(0)
	v_ashrrev_i32_e32 v3, 31, v0
	v_add_co_u32_e32 v0, vcc, s10, v0
	v_addc_co_u32_e32 v1, vcc, v1, v3, vcc
	s_cbranch_scc1 .LBB22_264
; %bb.255:
	s_cmp_gt_i32 s26, 25
	s_cbranch_scc0 .LBB22_273
; %bb.256:
	s_cmp_gt_i32 s26, 28
	s_cbranch_scc0 .LBB22_275
	;; [unrolled: 3-line block ×4, first 2 shown]
; %bb.259:
	s_cmp_eq_u32 s26, 46
	s_mov_b64 s[20:21], 0
	s_cbranch_scc0 .LBB22_285
; %bb.260:
	global_load_dword v3, v[0:1], off
	s_mov_b64 s[18:19], 0
	s_waitcnt vmcnt(0)
	v_lshlrev_b32_e32 v3, 16, v3
	v_cvt_f16_f32_e32 v3, v3
	s_branch .LBB22_286
.LBB22_261:
	s_or_b64 exec, exec, s[16:17]
	s_mov_b64 s[16:17], 0
	s_and_saveexec_b64 s[18:19], s[14:15]
	s_cbranch_execnz .LBB22_859
.LBB22_262:
	s_or_b64 exec, exec, s[18:19]
	s_and_saveexec_b64 s[14:15], s[20:21]
	s_xor_b64 s[14:15], exec, s[14:15]
	s_cbranch_execz .LBB22_860
.LBB22_263:
	global_load_ubyte v3, v[0:1], off
	v_mov_b32_e32 v4, 0x3c00
	s_or_b64 s[0:1], s[0:1], exec
	s_waitcnt vmcnt(0)
	v_cmp_ne_u16_e32 vcc, 0, v3
	v_cndmask_b32_e32 v4, 0, v4, vcc
	s_or_b64 exec, exec, s[14:15]
	s_and_saveexec_b64 s[14:15], s[22:23]
	s_cbranch_execz .LBB22_906
	s_branch .LBB22_861
.LBB22_264:
	s_mov_b64 s[0:1], 0
                                        ; implicit-def: $vgpr3
	s_mov_b64 s[18:19], s[14:15]
	s_cbranch_execnz .LBB22_463
.LBB22_265:
	s_andn2_b64 vcc, exec, s[0:1]
	s_cbranch_vccnz .LBB22_511
.LBB22_266:
	v_mul_lo_u32 v0, v2, s2
	s_waitcnt vmcnt(0)
	v_cmp_nge_f16_e64 s[0:1], v3, -s33
	v_cmp_nge_f16_e32 vcc, s33, v3
	s_or_b64 vcc, s[0:1], vcc
	v_cndmask_b32_e32 v3, 0, v3, vcc
	v_ashrrev_i32_e32 v1, 31, v0
	v_mov_b32_e32 v4, s9
	s_and_b32 s28, s42, 0xff
	v_add_co_u32_e32 v0, vcc, s8, v0
	s_cmp_lt_i32 s28, 11
	v_addc_co_u32_e32 v1, vcc, v4, v1, vcc
	s_cbranch_scc1 .LBB22_274
; %bb.267:
	s_and_b32 s29, 0xffff, s28
	s_cmp_gt_i32 s29, 25
	s_cbranch_scc0 .LBB22_276
; %bb.268:
	s_cmp_gt_i32 s29, 28
	s_cbranch_scc0 .LBB22_278
; %bb.269:
	;; [unrolled: 3-line block ×4, first 2 shown]
	s_mov_b64 s[24:25], 0
	s_mov_b64 s[0:1], -1
	s_cmp_eq_u32 s29, 46
	s_mov_b64 s[20:21], 0
	s_cbranch_scc0 .LBB22_290
; %bb.272:
	v_cvt_f32_f16_e32 v4, v3
	s_movk_i32 s0, 0x7fff
	v_cmp_o_f16_e32 vcc, v3, v3
	v_mov_b32_e32 v5, 0x7fc0
	v_bfe_u32 v6, v4, 16, 1
	v_add3_u32 v4, v4, v6, s0
	v_cndmask_b32_sdwa v4, v5, v4, vcc dst_sel:DWORD dst_unused:UNUSED_PAD src0_sel:DWORD src1_sel:WORD_1
	global_store_dword v[0:1], v4, off
	s_mov_b64 s[20:21], -1
	s_mov_b64 s[0:1], 0
	s_branch .LBB22_290
.LBB22_273:
	s_mov_b64 s[20:21], -1
	s_mov_b64 s[0:1], 0
	s_mov_b64 s[18:19], s[14:15]
                                        ; implicit-def: $vgpr3
	s_branch .LBB22_427
.LBB22_274:
	s_mov_b64 s[24:25], -1
	s_mov_b64 s[20:21], 0
	s_mov_b64 s[0:1], s[12:13]
	s_branch .LBB22_359
.LBB22_275:
	s_mov_b64 s[20:21], -1
	s_mov_b64 s[0:1], 0
	s_mov_b64 s[18:19], s[14:15]
                                        ; implicit-def: $vgpr3
	s_branch .LBB22_408
.LBB22_276:
	s_mov_b64 s[24:25], -1
	s_mov_b64 s[20:21], 0
	s_mov_b64 s[0:1], s[12:13]
	s_branch .LBB22_317
.LBB22_277:
	s_mov_b64 s[20:21], -1
	s_mov_b64 s[0:1], 0
	s_mov_b64 s[18:19], s[14:15]
                                        ; implicit-def: $vgpr3
	s_branch .LBB22_403
.LBB22_278:
	s_mov_b64 s[24:25], -1
	s_mov_b64 s[20:21], 0
	s_mov_b64 s[0:1], s[12:13]
	s_branch .LBB22_300
.LBB22_279:
	s_andn2_saveexec_b64 s[22:23], s[22:23]
	s_cbranch_execz .LBB22_55
.LBB22_280:
	s_mov_b32 s26, 0x46000000
	v_add_f32_e64 v5, |v4|, s26
	v_and_b32_e32 v5, 0xff, v5
	v_cmp_ne_u32_e32 vcc, 0, v5
	s_andn2_b64 s[18:19], s[18:19], exec
	s_and_b64 s[26:27], vcc, exec
	s_or_b64 s[18:19], s[18:19], s[26:27]
	s_or_b64 exec, exec, s[22:23]
	v_mov_b32_e32 v6, 0
	s_and_saveexec_b64 s[22:23], s[18:19]
	s_cbranch_execnz .LBB22_56
	s_branch .LBB22_57
.LBB22_281:
	s_mov_b64 s[20:21], -1
	s_mov_b64 s[0:1], 0
	s_mov_b64 s[18:19], s[14:15]
                                        ; implicit-def: $vgpr3
	s_branch .LBB22_286
.LBB22_282:
	s_mov_b64 s[24:25], -1
	s_mov_b64 s[20:21], 0
	s_mov_b64 s[0:1], s[12:13]
	s_branch .LBB22_296
.LBB22_283:
	s_andn2_saveexec_b64 s[22:23], s[22:23]
	s_cbranch_execz .LBB22_68
.LBB22_284:
	s_mov_b32 s26, 0x42800000
	v_add_f32_e64 v5, |v4|, s26
	v_and_b32_e32 v5, 0xff, v5
	v_cmp_ne_u32_e32 vcc, 0, v5
	s_andn2_b64 s[18:19], s[18:19], exec
	s_and_b64 s[26:27], vcc, exec
	s_or_b64 s[18:19], s[18:19], s[26:27]
	s_or_b64 exec, exec, s[22:23]
	v_mov_b32_e32 v6, 0
	s_and_saveexec_b64 s[22:23], s[18:19]
	s_cbranch_execnz .LBB22_69
	s_branch .LBB22_70
.LBB22_285:
	s_mov_b64 s[18:19], -1
                                        ; implicit-def: $vgpr3
	s_mov_b64 s[0:1], 0
.LBB22_286:
	s_and_b64 vcc, exec, s[20:21]
	s_cbranch_vccz .LBB22_402
; %bb.287:
	s_cmp_eq_u32 s26, 44
	s_cbranch_scc0 .LBB22_401
; %bb.288:
	global_load_ubyte v3, v[0:1], off
	s_movk_i32 s18, 0xff
	v_mov_b32_e32 v5, 0x7e00
	s_mov_b64 s[0:1], -1
	s_waitcnt vmcnt(0)
	v_lshlrev_b32_e32 v4, 23, v3
	v_cvt_f16_f32_e32 v4, v4
	v_cmp_ne_u32_e32 vcc, s18, v3
	s_mov_b64 s[18:19], 0
	v_cndmask_b32_e32 v4, v5, v4, vcc
	v_cmp_ne_u32_e32 vcc, 0, v3
	v_cndmask_b32_e32 v3, 0, v4, vcc
	s_branch .LBB22_402
.LBB22_289:
	s_mov_b64 s[24:25], -1
	s_mov_b64 s[20:21], 0
	s_mov_b64 s[0:1], s[12:13]
.LBB22_290:
	s_and_b64 vcc, exec, s[24:25]
	s_cbranch_vccz .LBB22_295
; %bb.291:
	s_cmp_eq_u32 s29, 44
	s_mov_b64 s[0:1], -1
	s_cbranch_scc0 .LBB22_295
; %bb.292:
	v_cvt_f32_f16_e32 v4, v3
	s_movk_i32 s0, 0xff
	v_mov_b32_e32 v6, 0xff
	v_bfe_u32 v5, v4, 23, 8
	v_cmp_ne_u32_e32 vcc, s0, v5
	s_and_saveexec_b64 s[20:21], vcc
; %bb.293:
	s_mov_b32 s0, 0x3fffff
	v_lshrrev_b32_e32 v6, 23, v4
	v_and_b32_e32 v7, 0x400000, v4
	v_and_or_b32 v4, v4, s0, v5
	v_cmp_ne_u32_e32 vcc, 0, v7
	v_cmp_ne_u32_e64 s[0:1], 0, v4
	s_and_b64 s[0:1], vcc, s[0:1]
	v_cndmask_b32_e64 v4, 0, 1, s[0:1]
	v_add_u32_e32 v6, v6, v4
; %bb.294:
	s_or_b64 exec, exec, s[20:21]
	s_mov_b64 s[20:21], -1
	s_mov_b64 s[0:1], 0
	global_store_byte v[0:1], v6, off
.LBB22_295:
	s_mov_b64 s[24:25], 0
.LBB22_296:
	s_and_b64 vcc, exec, s[24:25]
	s_cbranch_vccz .LBB22_299
; %bb.297:
	s_cmp_eq_u32 s29, 29
	s_mov_b64 s[0:1], -1
	s_cbranch_scc0 .LBB22_299
; %bb.298:
	v_cvt_f32_f16_e32 v4, v3
	v_mov_b32_e32 v5, 0
	s_mov_b64 s[20:21], -1
	s_mov_b64 s[0:1], 0
	v_cvt_u32_f32_e32 v4, v4
	s_mov_b64 s[24:25], 0
	global_store_dwordx2 v[0:1], v[4:5], off
	s_branch .LBB22_300
.LBB22_299:
	s_mov_b64 s[24:25], 0
.LBB22_300:
	s_and_b64 vcc, exec, s[24:25]
	s_cbranch_vccz .LBB22_316
; %bb.301:
	s_cmp_lt_i32 s29, 27
	s_mov_b64 s[20:21], -1
	s_cbranch_scc1 .LBB22_307
; %bb.302:
	s_cmp_gt_i32 s29, 27
	s_cbranch_scc0 .LBB22_304
; %bb.303:
	v_cvt_f32_f16_e32 v4, v3
	s_mov_b64 s[20:21], 0
	v_cvt_u32_f32_e32 v4, v4
	global_store_dword v[0:1], v4, off
.LBB22_304:
	s_andn2_b64 vcc, exec, s[20:21]
	s_cbranch_vccnz .LBB22_306
; %bb.305:
	v_cvt_u16_f16_e32 v4, v3
	global_store_short v[0:1], v4, off
.LBB22_306:
	s_mov_b64 s[20:21], 0
.LBB22_307:
	s_andn2_b64 vcc, exec, s[20:21]
	s_cbranch_vccnz .LBB22_315
; %bb.308:
	v_cvt_f32_f16_e32 v4, v3
	s_mov_b32 s20, 0x43800000
	v_mov_b32_e32 v6, 0x80
	v_and_b32_e32 v5, 0x7fffffff, v4
	v_cmp_gt_u32_e32 vcc, s20, v5
	s_and_saveexec_b64 s[20:21], vcc
	s_cbranch_execz .LBB22_314
; %bb.309:
	s_mov_b32 s24, 0x3bffffff
	v_cmp_lt_u32_e32 vcc, s24, v5
	s_mov_b64 s[24:25], 0
                                        ; implicit-def: $vgpr5
	s_and_saveexec_b64 s[26:27], vcc
	s_xor_b64 s[26:27], exec, s[26:27]
	s_cbranch_execz .LBB22_526
; %bb.310:
	v_bfe_u32 v5, v4, 20, 1
	s_mov_b32 s30, 0x487ffff
	v_add3_u32 v5, v4, v5, s30
	s_mov_b64 s[24:25], exec
	v_lshrrev_b32_e32 v5, 20, v5
	s_andn2_saveexec_b64 s[26:27], s[26:27]
	s_cbranch_execnz .LBB22_527
.LBB22_311:
	s_or_b64 exec, exec, s[26:27]
	v_mov_b32_e32 v6, 0
	s_and_saveexec_b64 s[26:27], s[24:25]
.LBB22_312:
	v_lshrrev_b32_e32 v4, 24, v4
	s_movk_i32 s24, 0x80
	v_and_or_b32 v6, v4, s24, v5
.LBB22_313:
	s_or_b64 exec, exec, s[26:27]
.LBB22_314:
	s_or_b64 exec, exec, s[20:21]
	global_store_byte v[0:1], v6, off
.LBB22_315:
	s_mov_b64 s[20:21], -1
.LBB22_316:
	s_mov_b64 s[24:25], 0
.LBB22_317:
	s_and_b64 vcc, exec, s[24:25]
	s_cbranch_vccz .LBB22_358
; %bb.318:
	s_cmp_gt_i32 s29, 22
	s_mov_b64 s[24:25], -1
	s_cbranch_scc0 .LBB22_350
; %bb.319:
	s_cmp_lt_i32 s29, 24
	s_mov_b64 s[20:21], -1
	s_cbranch_scc1 .LBB22_339
; %bb.320:
	s_cmp_gt_i32 s29, 24
	s_cbranch_scc0 .LBB22_328
; %bb.321:
	v_cvt_f32_f16_e32 v4, v3
	s_mov_b32 s20, 0x47800000
	v_mov_b32_e32 v6, 0x80
	v_and_b32_e32 v5, 0x7fffffff, v4
	v_cmp_gt_u32_e32 vcc, s20, v5
	s_and_saveexec_b64 s[20:21], vcc
	s_cbranch_execz .LBB22_327
; %bb.322:
	s_mov_b32 s24, 0x37ffffff
	v_cmp_lt_u32_e32 vcc, s24, v5
	s_mov_b64 s[24:25], 0
                                        ; implicit-def: $vgpr5
	s_and_saveexec_b64 s[26:27], vcc
	s_xor_b64 s[26:27], exec, s[26:27]
	s_cbranch_execz .LBB22_529
; %bb.323:
	v_bfe_u32 v5, v4, 21, 1
	s_mov_b32 s30, 0x88fffff
	v_add3_u32 v5, v4, v5, s30
	s_mov_b64 s[24:25], exec
	v_lshrrev_b32_e32 v5, 21, v5
	s_andn2_saveexec_b64 s[26:27], s[26:27]
	s_cbranch_execnz .LBB22_530
.LBB22_324:
	s_or_b64 exec, exec, s[26:27]
	v_mov_b32_e32 v6, 0
	s_and_saveexec_b64 s[26:27], s[24:25]
.LBB22_325:
	v_lshrrev_b32_e32 v4, 24, v4
	s_movk_i32 s24, 0x80
	v_and_or_b32 v6, v4, s24, v5
.LBB22_326:
	s_or_b64 exec, exec, s[26:27]
.LBB22_327:
	s_or_b64 exec, exec, s[20:21]
	s_mov_b64 s[20:21], 0
	global_store_byte v[0:1], v6, off
.LBB22_328:
	s_and_b64 vcc, exec, s[20:21]
	s_cbranch_vccz .LBB22_338
; %bb.329:
	v_cvt_f32_f16_e32 v4, v3
	s_mov_b32 s20, 0x43f00000
                                        ; implicit-def: $vgpr5
	v_and_b32_e32 v6, 0x7fffffff, v4
	v_cmp_gt_u32_e32 vcc, s20, v6
	s_and_saveexec_b64 s[20:21], vcc
	s_xor_b64 s[20:21], exec, s[20:21]
	s_cbranch_execz .LBB22_335
; %bb.330:
	s_mov_b32 s24, 0x3c7fffff
	v_cmp_lt_u32_e32 vcc, s24, v6
                                        ; implicit-def: $vgpr5
	s_and_saveexec_b64 s[24:25], vcc
	s_xor_b64 s[24:25], exec, s[24:25]
; %bb.331:
	v_bfe_u32 v5, v4, 20, 1
	s_mov_b32 s26, 0x407ffff
	v_add3_u32 v5, v4, v5, s26
	v_lshrrev_b32_e32 v6, 20, v5
	v_and_b32_e32 v5, 0xff00000, v5
	s_mov_b32 s26, 0x7f00000
	v_mov_b32_e32 v7, 0x7e
	v_cmp_ne_u32_e32 vcc, s26, v5
	v_cndmask_b32_e32 v5, v7, v6, vcc
; %bb.332:
	s_andn2_saveexec_b64 s[24:25], s[24:25]
; %bb.333:
	s_mov_b32 s26, 0x46800000
	v_add_f32_e64 v5, |v4|, s26
; %bb.334:
	s_or_b64 exec, exec, s[24:25]
                                        ; implicit-def: $vgpr6
.LBB22_335:
	s_andn2_saveexec_b64 s[20:21], s[20:21]
; %bb.336:
	s_mov_b32 s24, 0x7f800000
	v_mov_b32_e32 v5, 0x7e
	v_mov_b32_e32 v7, 0x7f
	v_cmp_lt_u32_e32 vcc, s24, v6
	v_cndmask_b32_e32 v5, v5, v7, vcc
; %bb.337:
	s_or_b64 exec, exec, s[20:21]
	v_lshrrev_b32_e32 v4, 24, v4
	s_movk_i32 s20, 0x80
	v_and_or_b32 v4, v4, s20, v5
	global_store_byte v[0:1], v4, off
.LBB22_338:
	s_mov_b64 s[20:21], 0
.LBB22_339:
	s_andn2_b64 vcc, exec, s[20:21]
	s_cbranch_vccnz .LBB22_349
; %bb.340:
	v_cvt_f32_f16_e32 v4, v3
	s_mov_b32 s20, 0x47800000
                                        ; implicit-def: $vgpr5
	v_and_b32_e32 v6, 0x7fffffff, v4
	v_cmp_gt_u32_e32 vcc, s20, v6
	s_and_saveexec_b64 s[20:21], vcc
	s_xor_b64 s[20:21], exec, s[20:21]
	s_cbranch_execz .LBB22_346
; %bb.341:
	s_mov_b32 s24, 0x387fffff
	v_cmp_lt_u32_e32 vcc, s24, v6
                                        ; implicit-def: $vgpr5
	s_and_saveexec_b64 s[24:25], vcc
	s_xor_b64 s[24:25], exec, s[24:25]
; %bb.342:
	v_bfe_u32 v5, v4, 21, 1
	s_mov_b32 s26, 0x80fffff
	v_add3_u32 v5, v4, v5, s26
	v_lshrrev_b32_e32 v5, 21, v5
; %bb.343:
	s_andn2_saveexec_b64 s[24:25], s[24:25]
; %bb.344:
	s_mov_b32 s26, 0x43000000
	v_add_f32_e64 v5, |v4|, s26
; %bb.345:
	s_or_b64 exec, exec, s[24:25]
                                        ; implicit-def: $vgpr6
.LBB22_346:
	s_andn2_saveexec_b64 s[20:21], s[20:21]
; %bb.347:
	s_mov_b32 s24, 0x7f800000
	v_mov_b32_e32 v5, 0x7c
	v_mov_b32_e32 v7, 0x7f
	v_cmp_lt_u32_e32 vcc, s24, v6
	v_cndmask_b32_e32 v5, v5, v7, vcc
; %bb.348:
	s_or_b64 exec, exec, s[20:21]
	v_lshrrev_b32_e32 v4, 24, v4
	s_movk_i32 s20, 0x80
	v_and_or_b32 v4, v4, s20, v5
	global_store_byte v[0:1], v4, off
.LBB22_349:
	s_mov_b64 s[24:25], 0
	s_mov_b64 s[20:21], -1
.LBB22_350:
	s_andn2_b64 vcc, exec, s[24:25]
	s_cbranch_vccnz .LBB22_358
; %bb.351:
	s_cmp_gt_i32 s29, 14
	s_mov_b64 s[24:25], -1
	s_cbranch_scc0 .LBB22_355
; %bb.352:
	s_cmp_eq_u32 s29, 15
	s_mov_b64 s[0:1], -1
	s_cbranch_scc0 .LBB22_354
; %bb.353:
	v_cvt_f32_f16_e32 v4, v3
	s_movk_i32 s0, 0x7fff
	v_cmp_o_f16_e32 vcc, v3, v3
	v_mov_b32_e32 v5, 0x7fc0
	v_bfe_u32 v6, v4, 16, 1
	v_add3_u32 v4, v4, v6, s0
	v_cndmask_b32_sdwa v4, v5, v4, vcc dst_sel:DWORD dst_unused:UNUSED_PAD src0_sel:DWORD src1_sel:WORD_1
	global_store_short v[0:1], v4, off
	s_mov_b64 s[20:21], -1
	s_mov_b64 s[0:1], 0
.LBB22_354:
	s_mov_b64 s[24:25], 0
.LBB22_355:
	s_and_b64 vcc, exec, s[24:25]
	s_cbranch_vccz .LBB22_358
; %bb.356:
	s_cmp_eq_u32 s29, 11
	s_mov_b64 s[0:1], -1
	s_cbranch_scc0 .LBB22_358
; %bb.357:
	v_and_b32_e32 v4, 0x7fff, v3
	v_cmp_ne_u16_e32 vcc, 0, v4
	v_cndmask_b32_e64 v4, 0, 1, vcc
	s_mov_b64 s[20:21], -1
	s_mov_b64 s[0:1], 0
	global_store_byte v[0:1], v4, off
.LBB22_358:
	s_mov_b64 s[24:25], 0
.LBB22_359:
	s_and_b64 vcc, exec, s[24:25]
	s_cbranch_vccz .LBB22_398
; %bb.360:
	s_and_b32 s24, 0xffff, s28
	s_cmp_lt_i32 s24, 5
	s_mov_b64 s[20:21], -1
	s_cbranch_scc1 .LBB22_381
; %bb.361:
	s_cmp_lt_i32 s24, 8
	s_cbranch_scc1 .LBB22_371
; %bb.362:
	s_cmp_lt_i32 s24, 9
	s_cbranch_scc1 .LBB22_368
; %bb.363:
	s_cmp_gt_i32 s24, 9
	s_cbranch_scc0 .LBB22_365
; %bb.364:
	v_cvt_f32_f16_e32 v4, v3
	v_mov_b32_e32 v6, 0
	v_mov_b32_e32 v7, v6
	s_mov_b64 s[20:21], 0
	v_cvt_f64_f32_e32 v[4:5], v4
	global_store_dwordx4 v[0:1], v[4:7], off
.LBB22_365:
	s_andn2_b64 vcc, exec, s[20:21]
	s_cbranch_vccnz .LBB22_367
; %bb.366:
	v_cvt_f32_f16_e32 v4, v3
	v_mov_b32_e32 v5, 0
	global_store_dwordx2 v[0:1], v[4:5], off
.LBB22_367:
	s_mov_b64 s[20:21], 0
.LBB22_368:
	s_andn2_b64 vcc, exec, s[20:21]
	s_cbranch_vccnz .LBB22_370
; %bb.369:
	v_and_b32_e32 v4, 0xffff, v3
	global_store_dword v[0:1], v4, off
.LBB22_370:
	s_mov_b64 s[20:21], 0
.LBB22_371:
	s_andn2_b64 vcc, exec, s[20:21]
	s_cbranch_vccnz .LBB22_380
; %bb.372:
	s_cmp_lt_i32 s24, 6
	s_mov_b64 s[20:21], -1
	s_cbranch_scc1 .LBB22_378
; %bb.373:
	s_cmp_gt_i32 s24, 6
	s_cbranch_scc0 .LBB22_375
; %bb.374:
	v_cvt_f32_f16_e32 v4, v3
	s_mov_b64 s[20:21], 0
	v_cvt_f64_f32_e32 v[4:5], v4
	global_store_dwordx2 v[0:1], v[4:5], off
.LBB22_375:
	s_andn2_b64 vcc, exec, s[20:21]
	s_cbranch_vccnz .LBB22_377
; %bb.376:
	v_cvt_f32_f16_e32 v4, v3
	global_store_dword v[0:1], v4, off
.LBB22_377:
	s_mov_b64 s[20:21], 0
.LBB22_378:
	s_andn2_b64 vcc, exec, s[20:21]
	s_cbranch_vccnz .LBB22_380
; %bb.379:
	global_store_short v[0:1], v3, off
.LBB22_380:
	s_mov_b64 s[20:21], 0
.LBB22_381:
	s_andn2_b64 vcc, exec, s[20:21]
	s_cbranch_vccnz .LBB22_397
; %bb.382:
	s_cmp_lt_i32 s24, 2
	s_mov_b64 s[20:21], -1
	s_cbranch_scc1 .LBB22_392
; %bb.383:
	s_cmp_lt_i32 s24, 3
	s_cbranch_scc1 .LBB22_389
; %bb.384:
	s_cmp_gt_i32 s24, 3
	s_cbranch_scc0 .LBB22_386
; %bb.385:
	v_cvt_f32_f16_e32 v4, v3
	s_mov_b64 s[20:21], 0
	v_cvt_i32_f32_e32 v4, v4
	v_ashrrev_i32_e32 v5, 31, v4
	global_store_dwordx2 v[0:1], v[4:5], off
.LBB22_386:
	s_andn2_b64 vcc, exec, s[20:21]
	s_cbranch_vccnz .LBB22_388
; %bb.387:
	v_cvt_f32_f16_e32 v4, v3
	v_cvt_i32_f32_e32 v4, v4
	global_store_dword v[0:1], v4, off
.LBB22_388:
	s_mov_b64 s[20:21], 0
.LBB22_389:
	s_andn2_b64 vcc, exec, s[20:21]
	s_cbranch_vccnz .LBB22_391
; %bb.390:
	v_cvt_i16_f16_e32 v4, v3
	global_store_short v[0:1], v4, off
.LBB22_391:
	s_mov_b64 s[20:21], 0
.LBB22_392:
	s_andn2_b64 vcc, exec, s[20:21]
	s_cbranch_vccnz .LBB22_397
; %bb.393:
	s_cmp_gt_i32 s24, 0
	s_mov_b64 s[20:21], -1
	s_cbranch_scc0 .LBB22_395
; %bb.394:
	v_cvt_i16_f16_e32 v4, v3
	s_mov_b64 s[20:21], 0
	global_store_byte v[0:1], v4, off
.LBB22_395:
	s_andn2_b64 vcc, exec, s[20:21]
	s_cbranch_vccnz .LBB22_397
; %bb.396:
	v_cvt_f32_f16_e32 v3, v3
	v_cvt_i32_f32_e32 v3, v3
	global_store_byte v[0:1], v3, off
.LBB22_397:
	s_mov_b64 s[20:21], -1
.LBB22_398:
	s_andn2_b64 vcc, exec, s[20:21]
	s_cbranch_vccnz .LBB22_400
; %bb.399:
	v_add_u32_e32 v2, 0x80, v2
	s_mov_b64 s[24:25], -1
	s_branch .LBB22_512
.LBB22_400:
	s_mov_b64 s[24:25], 0
                                        ; implicit-def: $vgpr2
	s_branch .LBB22_512
.LBB22_401:
	s_mov_b64 s[18:19], -1
                                        ; implicit-def: $vgpr3
.LBB22_402:
	s_mov_b64 s[20:21], 0
.LBB22_403:
	s_and_b64 vcc, exec, s[20:21]
	s_cbranch_vccz .LBB22_407
; %bb.404:
	s_cmp_eq_u32 s26, 29
	s_cbranch_scc0 .LBB22_406
; %bb.405:
	global_load_dwordx2 v[3:4], v[0:1], off
	s_mov_b64 s[0:1], -1
	s_mov_b64 s[18:19], 0
	s_mov_b64 s[20:21], 0
	s_waitcnt vmcnt(0)
	v_ffbh_u32_e32 v5, v4
	v_min_u32_e32 v5, 32, v5
	v_lshlrev_b64 v[3:4], v5, v[3:4]
	v_min_u32_e32 v3, 1, v3
	v_or_b32_e32 v3, v4, v3
	v_cvt_f32_u32_e32 v3, v3
	v_sub_u32_e32 v4, 32, v5
	v_ldexp_f32 v3, v3, v4
	v_cvt_f16_f32_e32 v3, v3
	s_branch .LBB22_408
.LBB22_406:
	s_mov_b64 s[18:19], -1
                                        ; implicit-def: $vgpr3
.LBB22_407:
	s_mov_b64 s[20:21], 0
.LBB22_408:
	s_and_b64 vcc, exec, s[20:21]
	s_cbranch_vccz .LBB22_426
; %bb.409:
	s_cmp_lt_i32 s26, 27
	s_cbranch_scc1 .LBB22_412
; %bb.410:
	s_cmp_gt_i32 s26, 27
	s_cbranch_scc0 .LBB22_413
; %bb.411:
	global_load_dword v3, v[0:1], off
	s_mov_b64 s[0:1], 0
	s_waitcnt vmcnt(0)
	v_cvt_f32_u32_e32 v3, v3
	v_cvt_f16_f32_e32 v3, v3
	s_branch .LBB22_414
.LBB22_412:
	s_mov_b64 s[0:1], -1
                                        ; implicit-def: $vgpr3
	s_branch .LBB22_417
.LBB22_413:
	s_mov_b64 s[0:1], -1
                                        ; implicit-def: $vgpr3
.LBB22_414:
	s_andn2_b64 vcc, exec, s[0:1]
	s_cbranch_vccnz .LBB22_416
; %bb.415:
	global_load_ushort v3, v[0:1], off
	s_waitcnt vmcnt(0)
	v_cvt_f16_u16_e32 v3, v3
.LBB22_416:
	s_mov_b64 s[0:1], 0
.LBB22_417:
	s_andn2_b64 vcc, exec, s[0:1]
	s_cbranch_vccnz .LBB22_425
; %bb.418:
	global_load_ubyte v4, v[0:1], off
	s_movk_i32 s0, 0x7f
	s_waitcnt vmcnt(0)
	v_cmp_lt_i16_e32 vcc, s0, v4
	s_mov_b64 s[0:1], 0
	s_and_saveexec_b64 s[20:21], vcc
	s_xor_b64 s[20:21], exec, s[20:21]
	s_cbranch_execz .LBB22_439
; %bb.419:
	s_movk_i32 s0, 0x80
	v_cmp_eq_u16_e32 vcc, s0, v4
	s_mov_b64 s[0:1], -1
	s_and_saveexec_b64 s[24:25], vcc
; %bb.420:
	s_xor_b64 s[0:1], exec, -1
; %bb.421:
	s_or_b64 exec, exec, s[24:25]
	s_and_b64 s[0:1], s[0:1], exec
	s_or_saveexec_b64 s[20:21], s[20:21]
	v_mov_b32_e32 v3, 0x7e00
	s_xor_b64 exec, exec, s[20:21]
	s_cbranch_execnz .LBB22_440
.LBB22_422:
	s_or_b64 exec, exec, s[20:21]
	s_and_saveexec_b64 s[20:21], s[0:1]
	s_cbranch_execz .LBB22_424
.LBB22_423:
	v_lshlrev_b32_e32 v3, 24, v4
	v_and_b32_e32 v4, 0xffff, v4
	v_and_b32_e32 v5, 7, v4
	v_ffbh_u32_e32 v7, v5
	v_min_u32_e32 v7, 32, v7
	v_subrev_u32_e32 v8, 28, v7
	v_bfe_u32 v6, v4, 3, 4
	v_lshlrev_b32_e32 v4, v8, v4
	v_sub_u32_e32 v7, 29, v7
	v_and_b32_e32 v4, 7, v4
	v_cmp_eq_u32_e32 vcc, 0, v6
	v_cndmask_b32_e32 v6, v6, v7, vcc
	v_cndmask_b32_e32 v4, v5, v4, vcc
	v_mov_b32_e32 v5, 0x3b800000
	v_lshlrev_b32_e32 v4, 20, v4
	v_and_b32_e32 v3, 0x80000000, v3
	v_lshl_add_u32 v5, v6, 23, v5
	v_or3_b32 v3, v3, v5, v4
	v_cvt_f16_f32_e32 v3, v3
.LBB22_424:
	s_or_b64 exec, exec, s[20:21]
.LBB22_425:
	s_mov_b64 s[0:1], -1
.LBB22_426:
	s_mov_b64 s[20:21], 0
.LBB22_427:
	s_and_b64 vcc, exec, s[20:21]
	s_cbranch_vccz .LBB22_462
; %bb.428:
	s_cmp_gt_i32 s26, 22
	s_cbranch_scc0 .LBB22_438
; %bb.429:
	s_cmp_lt_i32 s26, 24
	s_cbranch_scc1 .LBB22_441
; %bb.430:
	s_cmp_gt_i32 s26, 24
	s_cbranch_scc0 .LBB22_442
; %bb.431:
	global_load_ubyte v4, v[0:1], off
	s_movk_i32 s0, 0x7f
	s_waitcnt vmcnt(0)
	v_cmp_lt_i16_e32 vcc, s0, v4
	s_mov_b64 s[0:1], 0
	s_and_saveexec_b64 s[20:21], vcc
	s_xor_b64 s[20:21], exec, s[20:21]
	s_cbranch_execz .LBB22_454
; %bb.432:
	s_movk_i32 s0, 0x80
	v_cmp_eq_u16_e32 vcc, s0, v4
	s_mov_b64 s[0:1], -1
	s_and_saveexec_b64 s[24:25], vcc
; %bb.433:
	s_xor_b64 s[0:1], exec, -1
; %bb.434:
	s_or_b64 exec, exec, s[24:25]
	s_and_b64 s[0:1], s[0:1], exec
	s_or_saveexec_b64 s[20:21], s[20:21]
	v_mov_b32_e32 v3, 0x7e00
	s_xor_b64 exec, exec, s[20:21]
	s_cbranch_execnz .LBB22_455
.LBB22_435:
	s_or_b64 exec, exec, s[20:21]
	s_and_saveexec_b64 s[20:21], s[0:1]
	s_cbranch_execz .LBB22_437
.LBB22_436:
	v_lshlrev_b32_e32 v3, 24, v4
	v_and_b32_e32 v4, 0xffff, v4
	v_and_b32_e32 v5, 3, v4
	v_ffbh_u32_e32 v7, v5
	v_min_u32_e32 v7, 32, v7
	v_subrev_u32_e32 v8, 29, v7
	v_bfe_u32 v6, v4, 2, 5
	v_lshlrev_b32_e32 v4, v8, v4
	v_sub_u32_e32 v7, 30, v7
	v_and_b32_e32 v4, 3, v4
	v_cmp_eq_u32_e32 vcc, 0, v6
	v_cndmask_b32_e32 v6, v6, v7, vcc
	v_cndmask_b32_e32 v4, v5, v4, vcc
	v_mov_b32_e32 v5, 0x37800000
	v_lshlrev_b32_e32 v4, 21, v4
	v_and_b32_e32 v3, 0x80000000, v3
	v_lshl_add_u32 v5, v6, 23, v5
	v_or3_b32 v3, v3, v5, v4
	v_cvt_f16_f32_e32 v3, v3
.LBB22_437:
	s_or_b64 exec, exec, s[20:21]
	s_mov_b64 s[0:1], 0
	s_branch .LBB22_443
.LBB22_438:
	s_mov_b64 s[20:21], -1
                                        ; implicit-def: $vgpr3
	s_branch .LBB22_449
.LBB22_439:
	s_or_saveexec_b64 s[20:21], s[20:21]
	v_mov_b32_e32 v3, 0x7e00
	s_xor_b64 exec, exec, s[20:21]
	s_cbranch_execz .LBB22_422
.LBB22_440:
	v_cmp_ne_u16_e32 vcc, 0, v4
	s_andn2_b64 s[0:1], s[0:1], exec
	s_and_b64 s[24:25], vcc, exec
	s_or_b64 s[0:1], s[0:1], s[24:25]
	v_mov_b32_e32 v3, v4
	s_or_b64 exec, exec, s[20:21]
	s_and_saveexec_b64 s[20:21], s[0:1]
	s_cbranch_execnz .LBB22_423
	s_branch .LBB22_424
.LBB22_441:
	s_mov_b64 s[0:1], -1
                                        ; implicit-def: $vgpr3
	s_branch .LBB22_446
.LBB22_442:
	s_mov_b64 s[0:1], -1
                                        ; implicit-def: $vgpr3
.LBB22_443:
	s_and_b64 vcc, exec, s[0:1]
	s_cbranch_vccz .LBB22_445
; %bb.444:
	global_load_ubyte v3, v[0:1], off
	s_mov_b32 s0, 0x7f800000
	s_waitcnt vmcnt(0)
	v_lshlrev_b32_e32 v3, 24, v3
	v_and_b32_e32 v4, 0x7f000000, v3
	v_ffbh_u32_e32 v5, v4
	v_min_u32_e32 v5, 32, v5
	v_sub_u32_e64 v5, v5, 4 clamp
	v_lshlrev_b32_e32 v7, v5, v4
	v_lshlrev_b32_e32 v5, 23, v5
	v_lshrrev_b32_e32 v7, 4, v7
	v_add_u32_e32 v6, 0x1000000, v4
	v_sub_u32_e32 v5, v7, v5
	v_ashrrev_i32_e32 v6, 8, v6
	v_add_u32_e32 v5, 0x3c000000, v5
	v_and_or_b32 v5, v6, s0, v5
	v_cmp_ne_u32_e32 vcc, 0, v4
	v_cndmask_b32_e32 v4, 0, v5, vcc
	s_brev_b32 s0, 1
	v_and_or_b32 v3, v3, s0, v4
	v_cvt_f16_f32_e32 v3, v3
.LBB22_445:
	s_mov_b64 s[0:1], 0
.LBB22_446:
	s_andn2_b64 vcc, exec, s[0:1]
	s_cbranch_vccnz .LBB22_448
; %bb.447:
	global_load_ubyte v3, v[0:1], off
	s_movk_i32 s0, 0x7f00
	s_brev_b32 s1, 16
	s_waitcnt vmcnt(0)
	v_lshlrev_b16_e32 v4, 8, v3
	v_lshlrev_b32_e32 v3, 25, v3
	v_lshrrev_b32_e32 v5, 4, v3
	v_and_or_b32 v6, v4, s0, 0.5
	v_or_b32_e32 v5, 0x70000000, v5
	v_add_f32_e32 v6, -0.5, v6
	v_mul_f32_e32 v5, 0x7800000, v5
	v_cmp_gt_u32_e32 vcc, s1, v3
	v_bfe_i32 v4, v4, 0, 16
	v_cndmask_b32_e32 v3, v5, v6, vcc
	s_brev_b32 s0, 1
	v_and_or_b32 v3, v4, s0, v3
	v_cvt_f16_f32_e32 v3, v3
.LBB22_448:
	s_mov_b64 s[20:21], 0
	s_mov_b64 s[0:1], -1
.LBB22_449:
	s_andn2_b64 vcc, exec, s[20:21]
	s_cbranch_vccnz .LBB22_462
; %bb.450:
	s_cmp_gt_i32 s26, 14
	s_cbranch_scc0 .LBB22_453
; %bb.451:
	s_cmp_eq_u32 s26, 15
	s_cbranch_scc0 .LBB22_456
; %bb.452:
	global_load_ushort v3, v[0:1], off
	s_mov_b64 s[0:1], -1
	s_mov_b64 s[18:19], 0
	s_waitcnt vmcnt(0)
	v_lshlrev_b32_e32 v3, 16, v3
	v_cvt_f16_f32_e32 v3, v3
	s_branch .LBB22_457
.LBB22_453:
	s_mov_b64 s[20:21], -1
                                        ; implicit-def: $vgpr3
	s_branch .LBB22_458
.LBB22_454:
	s_or_saveexec_b64 s[20:21], s[20:21]
	v_mov_b32_e32 v3, 0x7e00
	s_xor_b64 exec, exec, s[20:21]
	s_cbranch_execz .LBB22_435
.LBB22_455:
	v_cmp_ne_u16_e32 vcc, 0, v4
	s_andn2_b64 s[0:1], s[0:1], exec
	s_and_b64 s[24:25], vcc, exec
	s_or_b64 s[0:1], s[0:1], s[24:25]
	v_mov_b32_e32 v3, v4
	s_or_b64 exec, exec, s[20:21]
	s_and_saveexec_b64 s[20:21], s[0:1]
	s_cbranch_execnz .LBB22_436
	s_branch .LBB22_437
.LBB22_456:
	s_mov_b64 s[18:19], -1
                                        ; implicit-def: $vgpr3
.LBB22_457:
	s_mov_b64 s[20:21], 0
.LBB22_458:
	s_and_b64 vcc, exec, s[20:21]
	s_cbranch_vccz .LBB22_462
; %bb.459:
	s_cmp_eq_u32 s26, 11
	s_cbranch_scc0 .LBB22_461
; %bb.460:
	global_load_ubyte v3, v[0:1], off
	v_mov_b32_e32 v4, 0x3c00
	s_mov_b64 s[0:1], -1
	s_mov_b64 s[18:19], 0
	s_waitcnt vmcnt(0)
	v_cmp_ne_u16_e32 vcc, 0, v3
	v_cndmask_b32_e32 v3, 0, v4, vcc
	s_branch .LBB22_462
.LBB22_461:
	s_mov_b64 s[18:19], -1
                                        ; implicit-def: $vgpr3
.LBB22_462:
	s_branch .LBB22_265
.LBB22_463:
	s_cmp_lt_i32 s26, 5
	s_cbranch_scc1 .LBB22_468
; %bb.464:
	s_cmp_lt_i32 s26, 8
	s_cbranch_scc1 .LBB22_469
; %bb.465:
	;; [unrolled: 3-line block ×3, first 2 shown]
	s_cmp_gt_i32 s26, 9
	s_cbranch_scc0 .LBB22_471
; %bb.467:
	global_load_dwordx2 v[3:4], v[0:1], off
	s_movk_i32 s0, 0x1ff
	s_movk_i32 s1, 0xffe
	v_mov_b32_e32 v5, 0x7c00
	v_mov_b32_e32 v6, 0x7e00
	s_movk_i32 s20, 0x40f
	s_mov_b32 s21, 0x8000
	s_waitcnt vmcnt(0)
	v_and_or_b32 v3, v4, s0, v3
	v_cmp_ne_u32_e32 vcc, 0, v3
	v_lshrrev_b32_e32 v7, 8, v4
	v_bfe_u32 v8, v4, 20, 11
	v_cndmask_b32_e64 v3, 0, 1, vcc
	v_sub_u32_e32 v9, 0x3f1, v8
	v_and_or_b32 v3, v7, s1, v3
	v_add_u32_e32 v8, 0xfffffc10, v8
	v_med3_i32 v7, v9, 0, 13
	v_or_b32_e32 v9, 0x1000, v3
	v_cmp_ne_u32_e32 vcc, 0, v3
	v_lshl_or_b32 v10, v8, 12, v3
	v_cndmask_b32_e32 v3, v5, v6, vcc
	v_lshrrev_b32_e32 v6, v7, v9
	v_lshlrev_b32_e32 v7, v7, v6
	v_cmp_ne_u32_e32 vcc, v7, v9
	v_cndmask_b32_e64 v7, 0, 1, vcc
	v_or_b32_e32 v6, v6, v7
	v_cmp_gt_i32_e32 vcc, 1, v8
	v_cndmask_b32_e32 v6, v10, v6, vcc
	v_and_b32_e32 v7, 7, v6
	v_cmp_lt_i32_e32 vcc, 5, v7
	v_cndmask_b32_e64 v9, 0, 1, vcc
	v_cmp_eq_u32_e32 vcc, 3, v7
	v_cndmask_b32_e64 v7, 0, 1, vcc
	v_lshrrev_b32_e32 v6, 2, v6
	v_or_b32_e32 v7, v7, v9
	v_add_u32_e32 v6, v6, v7
	v_cmp_gt_i32_e32 vcc, 31, v8
	v_cndmask_b32_e32 v5, v5, v6, vcc
	v_cmp_eq_u32_e32 vcc, s20, v8
	v_lshrrev_b32_e32 v4, 16, v4
	v_cndmask_b32_e32 v3, v5, v3, vcc
	v_and_or_b32 v3, v4, s21, v3
	s_mov_b64 s[0:1], 0
	s_branch .LBB22_472
.LBB22_468:
	s_mov_b64 s[0:1], -1
                                        ; implicit-def: $vgpr3
	s_branch .LBB22_490
.LBB22_469:
	s_mov_b64 s[0:1], -1
                                        ; implicit-def: $vgpr3
	s_branch .LBB22_478
.LBB22_470:
	s_mov_b64 s[0:1], -1
                                        ; implicit-def: $vgpr3
	s_branch .LBB22_475
.LBB22_471:
	s_mov_b64 s[0:1], -1
                                        ; implicit-def: $vgpr3
.LBB22_472:
	s_andn2_b64 vcc, exec, s[0:1]
	s_cbranch_vccnz .LBB22_474
; %bb.473:
	global_load_dword v3, v[0:1], off
	s_waitcnt vmcnt(0)
	v_cvt_f16_f32_e32 v3, v3
.LBB22_474:
	s_mov_b64 s[0:1], 0
.LBB22_475:
	s_andn2_b64 vcc, exec, s[0:1]
	s_cbranch_vccnz .LBB22_477
; %bb.476:
	global_load_dword v3, v[0:1], off
.LBB22_477:
	s_mov_b64 s[0:1], 0
.LBB22_478:
	s_andn2_b64 vcc, exec, s[0:1]
	s_cbranch_vccnz .LBB22_489
; %bb.479:
	s_cmp_lt_i32 s26, 6
	s_cbranch_scc1 .LBB22_482
; %bb.480:
	s_cmp_gt_i32 s26, 6
	s_cbranch_scc0 .LBB22_483
; %bb.481:
	global_load_dwordx2 v[3:4], v[0:1], off
	s_movk_i32 s0, 0x1ff
	s_movk_i32 s1, 0xffe
	v_mov_b32_e32 v5, 0x7c00
	v_mov_b32_e32 v6, 0x7e00
	s_movk_i32 s20, 0x40f
	s_mov_b32 s21, 0x8000
	s_waitcnt vmcnt(0)
	v_and_or_b32 v3, v4, s0, v3
	v_cmp_ne_u32_e32 vcc, 0, v3
	v_lshrrev_b32_e32 v7, 8, v4
	v_bfe_u32 v8, v4, 20, 11
	v_cndmask_b32_e64 v3, 0, 1, vcc
	v_sub_u32_e32 v9, 0x3f1, v8
	v_and_or_b32 v3, v7, s1, v3
	v_add_u32_e32 v8, 0xfffffc10, v8
	v_med3_i32 v7, v9, 0, 13
	v_or_b32_e32 v9, 0x1000, v3
	v_cmp_ne_u32_e32 vcc, 0, v3
	v_lshl_or_b32 v10, v8, 12, v3
	v_cndmask_b32_e32 v3, v5, v6, vcc
	v_lshrrev_b32_e32 v6, v7, v9
	v_lshlrev_b32_e32 v7, v7, v6
	v_cmp_ne_u32_e32 vcc, v7, v9
	v_cndmask_b32_e64 v7, 0, 1, vcc
	v_or_b32_e32 v6, v6, v7
	v_cmp_gt_i32_e32 vcc, 1, v8
	v_cndmask_b32_e32 v6, v10, v6, vcc
	v_and_b32_e32 v7, 7, v6
	v_cmp_lt_i32_e32 vcc, 5, v7
	v_cndmask_b32_e64 v9, 0, 1, vcc
	v_cmp_eq_u32_e32 vcc, 3, v7
	v_cndmask_b32_e64 v7, 0, 1, vcc
	v_lshrrev_b32_e32 v6, 2, v6
	v_or_b32_e32 v7, v7, v9
	v_add_u32_e32 v6, v6, v7
	v_cmp_gt_i32_e32 vcc, 31, v8
	v_cndmask_b32_e32 v5, v5, v6, vcc
	v_cmp_eq_u32_e32 vcc, s20, v8
	v_lshrrev_b32_e32 v4, 16, v4
	v_cndmask_b32_e32 v3, v5, v3, vcc
	v_and_or_b32 v3, v4, s21, v3
	s_mov_b64 s[0:1], 0
	s_branch .LBB22_484
.LBB22_482:
	s_mov_b64 s[0:1], -1
                                        ; implicit-def: $vgpr3
	s_branch .LBB22_487
.LBB22_483:
	s_mov_b64 s[0:1], -1
                                        ; implicit-def: $vgpr3
.LBB22_484:
	s_andn2_b64 vcc, exec, s[0:1]
	s_cbranch_vccnz .LBB22_486
; %bb.485:
	global_load_dword v3, v[0:1], off
	s_waitcnt vmcnt(0)
	v_cvt_f16_f32_e32 v3, v3
.LBB22_486:
	s_mov_b64 s[0:1], 0
.LBB22_487:
	s_andn2_b64 vcc, exec, s[0:1]
	s_cbranch_vccnz .LBB22_489
; %bb.488:
	global_load_ushort v3, v[0:1], off
.LBB22_489:
	s_mov_b64 s[0:1], 0
.LBB22_490:
	s_andn2_b64 vcc, exec, s[0:1]
	s_cbranch_vccnz .LBB22_510
; %bb.491:
	s_cmp_lt_i32 s26, 2
	s_cbranch_scc1 .LBB22_495
; %bb.492:
	s_cmp_lt_i32 s26, 3
	s_cbranch_scc1 .LBB22_496
; %bb.493:
	s_cmp_gt_i32 s26, 3
	s_cbranch_scc0 .LBB22_497
; %bb.494:
	global_load_dwordx2 v[3:4], v[0:1], off
	s_mov_b64 s[0:1], 0
	s_waitcnt vmcnt(0)
	v_xor_b32_e32 v6, v3, v4
	v_ffbh_i32_e32 v5, v4
	v_ashrrev_i32_e32 v6, 31, v6
	v_add_u32_e32 v5, -1, v5
	v_add_u32_e32 v6, 32, v6
	v_min_u32_e32 v5, v5, v6
	v_lshlrev_b64 v[3:4], v5, v[3:4]
	v_min_u32_e32 v3, 1, v3
	v_or_b32_e32 v3, v4, v3
	v_cvt_f32_i32_e32 v3, v3
	v_sub_u32_e32 v4, 32, v5
	v_ldexp_f32 v3, v3, v4
	v_cvt_f16_f32_e32 v3, v3
	s_branch .LBB22_498
.LBB22_495:
	s_mov_b64 s[0:1], -1
                                        ; implicit-def: $vgpr3
	s_branch .LBB22_504
.LBB22_496:
	s_mov_b64 s[0:1], -1
                                        ; implicit-def: $vgpr3
	s_branch .LBB22_501
.LBB22_497:
	s_mov_b64 s[0:1], -1
                                        ; implicit-def: $vgpr3
.LBB22_498:
	s_andn2_b64 vcc, exec, s[0:1]
	s_cbranch_vccnz .LBB22_500
; %bb.499:
	global_load_dword v3, v[0:1], off
	s_waitcnt vmcnt(0)
	v_cvt_f32_i32_e32 v3, v3
	v_cvt_f16_f32_e32 v3, v3
.LBB22_500:
	s_mov_b64 s[0:1], 0
.LBB22_501:
	s_andn2_b64 vcc, exec, s[0:1]
	s_cbranch_vccnz .LBB22_503
; %bb.502:
	global_load_ushort v3, v[0:1], off
	s_waitcnt vmcnt(0)
	v_cvt_f16_i16_e32 v3, v3
.LBB22_503:
	s_mov_b64 s[0:1], 0
.LBB22_504:
	s_andn2_b64 vcc, exec, s[0:1]
	s_cbranch_vccnz .LBB22_510
; %bb.505:
	s_cmp_gt_i32 s26, 0
	s_cbranch_scc0 .LBB22_507
; %bb.506:
	global_load_sbyte v3, v[0:1], off
	s_mov_b64 s[0:1], 0
	s_waitcnt vmcnt(0)
	v_cvt_f16_i16_e32 v3, v3
	s_branch .LBB22_508
.LBB22_507:
	s_mov_b64 s[0:1], -1
                                        ; implicit-def: $vgpr3
.LBB22_508:
	s_andn2_b64 vcc, exec, s[0:1]
	s_cbranch_vccnz .LBB22_510
; %bb.509:
	global_load_ubyte v0, v[0:1], off
	s_waitcnt vmcnt(0)
	v_cvt_f16_u16_e32 v3, v0
.LBB22_510:
	s_branch .LBB22_266
.LBB22_511:
	s_mov_b64 s[24:25], 0
                                        ; implicit-def: $vgpr2
	s_mov_b64 s[0:1], s[12:13]
.LBB22_512:
	s_andn2_b64 s[20:21], s[12:13], exec
	s_and_b64 s[0:1], s[0:1], exec
	s_or_b64 s[20:21], s[20:21], s[0:1]
	s_andn2_b64 s[0:1], s[14:15], exec
	s_and_b64 s[18:19], s[18:19], exec
	s_or_b64 s[18:19], s[0:1], s[18:19]
	s_orn2_b64 s[0:1], s[24:25], exec
.LBB22_513:
	s_or_b64 exec, exec, s[22:23]
	s_mov_b64 s[24:25], 0
	s_mov_b64 s[26:27], 0
	;; [unrolled: 1-line block ×3, first 2 shown]
                                        ; implicit-def: $vgpr0_vgpr1
                                        ; implicit-def: $vgpr4
	s_and_saveexec_b64 s[22:23], s[0:1]
	s_cbranch_execz .LBB22_858
; %bb.514:
	v_cmp_gt_i32_e32 vcc, s38, v2
	s_mov_b64 s[34:35], -1
	s_mov_b64 s[0:1], s[18:19]
	s_mov_b64 s[28:29], s[20:21]
	s_and_saveexec_b64 s[24:25], vcc
	s_cbranch_execz .LBB22_772
; %bb.515:
	v_mul_lo_u32 v0, v2, s3
	v_mov_b32_e32 v1, s11
	s_and_b32 s34, 0xffff, s43
	s_cmp_lt_i32 s34, 11
	s_waitcnt vmcnt(0)
	v_ashrrev_i32_e32 v3, 31, v0
	v_add_co_u32_e32 v0, vcc, s10, v0
	v_addc_co_u32_e32 v1, vcc, v1, v3, vcc
	s_cbranch_scc1 .LBB22_522
; %bb.516:
	s_cmp_gt_i32 s34, 25
	s_cbranch_scc0 .LBB22_523
; %bb.517:
	s_cmp_gt_i32 s34, 28
	s_cbranch_scc0 .LBB22_524
	;; [unrolled: 3-line block ×4, first 2 shown]
; %bb.520:
	s_cmp_eq_u32 s34, 46
	s_mov_b64 s[28:29], 0
	s_cbranch_scc0 .LBB22_531
; %bb.521:
	global_load_dword v3, v[0:1], off
	s_mov_b64 s[0:1], -1
	s_waitcnt vmcnt(0)
	v_lshlrev_b32_e32 v3, 16, v3
	v_cvt_f16_f32_e32 v3, v3
	s_branch .LBB22_532
.LBB22_522:
	s_mov_b64 s[28:29], -1
	s_mov_b64 s[0:1], 0
                                        ; implicit-def: $vgpr3
	s_mov_b64 s[26:27], s[18:19]
	s_branch .LBB22_597
.LBB22_523:
	s_mov_b64 s[28:29], -1
	s_mov_b64 s[0:1], 0
	s_mov_b64 s[26:27], s[18:19]
                                        ; implicit-def: $vgpr3
	s_branch .LBB22_561
.LBB22_524:
	s_mov_b64 s[28:29], -1
	s_mov_b64 s[0:1], 0
	s_mov_b64 s[26:27], s[18:19]
                                        ; implicit-def: $vgpr3
	s_branch .LBB22_542
.LBB22_525:
	s_mov_b64 s[28:29], -1
	s_mov_b64 s[0:1], 0
	s_mov_b64 s[26:27], s[18:19]
                                        ; implicit-def: $vgpr3
	s_branch .LBB22_537
.LBB22_526:
	s_andn2_saveexec_b64 s[26:27], s[26:27]
	s_cbranch_execz .LBB22_311
.LBB22_527:
	s_mov_b32 s30, 0x46000000
	v_add_f32_e64 v5, |v4|, s30
	v_and_b32_e32 v5, 0xff, v5
	v_cmp_ne_u32_e32 vcc, 0, v5
	s_andn2_b64 s[24:25], s[24:25], exec
	s_and_b64 s[30:31], vcc, exec
	s_or_b64 s[24:25], s[24:25], s[30:31]
	s_or_b64 exec, exec, s[26:27]
	v_mov_b32_e32 v6, 0
	s_and_saveexec_b64 s[26:27], s[24:25]
	s_cbranch_execnz .LBB22_312
	s_branch .LBB22_313
.LBB22_528:
	s_mov_b64 s[28:29], -1
	s_mov_b64 s[0:1], 0
	s_mov_b64 s[26:27], s[18:19]
                                        ; implicit-def: $vgpr3
	s_branch .LBB22_532
.LBB22_529:
	s_andn2_saveexec_b64 s[26:27], s[26:27]
	s_cbranch_execz .LBB22_324
.LBB22_530:
	s_mov_b32 s30, 0x42800000
	v_add_f32_e64 v5, |v4|, s30
	v_and_b32_e32 v5, 0xff, v5
	v_cmp_ne_u32_e32 vcc, 0, v5
	s_andn2_b64 s[24:25], s[24:25], exec
	s_and_b64 s[30:31], vcc, exec
	s_or_b64 s[24:25], s[24:25], s[30:31]
	s_or_b64 exec, exec, s[26:27]
	v_mov_b32_e32 v6, 0
	s_and_saveexec_b64 s[26:27], s[24:25]
	s_cbranch_execnz .LBB22_325
	s_branch .LBB22_326
.LBB22_531:
	s_mov_b64 s[26:27], -1
                                        ; implicit-def: $vgpr3
	s_mov_b64 s[0:1], 0
.LBB22_532:
	s_and_b64 vcc, exec, s[28:29]
	s_cbranch_vccz .LBB22_536
; %bb.533:
	s_cmp_eq_u32 s34, 44
	s_cbranch_scc0 .LBB22_535
; %bb.534:
	global_load_ubyte v3, v[0:1], off
	s_movk_i32 s26, 0xff
	v_mov_b32_e32 v5, 0x7e00
	s_mov_b64 s[0:1], -1
	s_waitcnt vmcnt(0)
	v_lshlrev_b32_e32 v4, 23, v3
	v_cvt_f16_f32_e32 v4, v4
	v_cmp_ne_u32_e32 vcc, s26, v3
	s_mov_b64 s[26:27], 0
	v_cndmask_b32_e32 v4, v5, v4, vcc
	v_cmp_ne_u32_e32 vcc, 0, v3
	v_cndmask_b32_e32 v3, 0, v4, vcc
	s_branch .LBB22_536
.LBB22_535:
	s_mov_b64 s[26:27], -1
                                        ; implicit-def: $vgpr3
.LBB22_536:
	s_mov_b64 s[28:29], 0
.LBB22_537:
	s_and_b64 vcc, exec, s[28:29]
	s_cbranch_vccz .LBB22_541
; %bb.538:
	s_cmp_eq_u32 s34, 29
	s_cbranch_scc0 .LBB22_540
; %bb.539:
	global_load_dwordx2 v[3:4], v[0:1], off
	s_mov_b64 s[0:1], -1
	s_mov_b64 s[26:27], 0
	s_mov_b64 s[28:29], 0
	s_waitcnt vmcnt(0)
	v_ffbh_u32_e32 v5, v4
	v_min_u32_e32 v5, 32, v5
	v_lshlrev_b64 v[3:4], v5, v[3:4]
	v_min_u32_e32 v3, 1, v3
	v_or_b32_e32 v3, v4, v3
	v_cvt_f32_u32_e32 v3, v3
	v_sub_u32_e32 v4, 32, v5
	v_ldexp_f32 v3, v3, v4
	v_cvt_f16_f32_e32 v3, v3
	s_branch .LBB22_542
.LBB22_540:
	s_mov_b64 s[26:27], -1
                                        ; implicit-def: $vgpr3
.LBB22_541:
	s_mov_b64 s[28:29], 0
.LBB22_542:
	s_and_b64 vcc, exec, s[28:29]
	s_cbranch_vccz .LBB22_560
; %bb.543:
	s_cmp_lt_i32 s34, 27
	s_cbranch_scc1 .LBB22_546
; %bb.544:
	s_cmp_gt_i32 s34, 27
	s_cbranch_scc0 .LBB22_547
; %bb.545:
	global_load_dword v3, v[0:1], off
	s_mov_b64 s[0:1], 0
	s_waitcnt vmcnt(0)
	v_cvt_f32_u32_e32 v3, v3
	v_cvt_f16_f32_e32 v3, v3
	s_branch .LBB22_548
.LBB22_546:
	s_mov_b64 s[0:1], -1
                                        ; implicit-def: $vgpr3
	s_branch .LBB22_551
.LBB22_547:
	s_mov_b64 s[0:1], -1
                                        ; implicit-def: $vgpr3
.LBB22_548:
	s_andn2_b64 vcc, exec, s[0:1]
	s_cbranch_vccnz .LBB22_550
; %bb.549:
	global_load_ushort v3, v[0:1], off
	s_waitcnt vmcnt(0)
	v_cvt_f16_u16_e32 v3, v3
.LBB22_550:
	s_mov_b64 s[0:1], 0
.LBB22_551:
	s_andn2_b64 vcc, exec, s[0:1]
	s_cbranch_vccnz .LBB22_559
; %bb.552:
	global_load_ubyte v4, v[0:1], off
	s_movk_i32 s0, 0x7f
	s_waitcnt vmcnt(0)
	v_cmp_lt_i16_e32 vcc, s0, v4
	s_mov_b64 s[0:1], 0
	s_and_saveexec_b64 s[28:29], vcc
	s_xor_b64 s[28:29], exec, s[28:29]
	s_cbranch_execz .LBB22_573
; %bb.553:
	s_movk_i32 s0, 0x80
	v_cmp_eq_u16_e32 vcc, s0, v4
	s_mov_b64 s[0:1], -1
	s_and_saveexec_b64 s[30:31], vcc
; %bb.554:
	s_xor_b64 s[0:1], exec, -1
; %bb.555:
	s_or_b64 exec, exec, s[30:31]
	s_and_b64 s[0:1], s[0:1], exec
	s_or_saveexec_b64 s[28:29], s[28:29]
	v_mov_b32_e32 v3, 0x7e00
	s_xor_b64 exec, exec, s[28:29]
	s_cbranch_execnz .LBB22_574
.LBB22_556:
	s_or_b64 exec, exec, s[28:29]
	s_and_saveexec_b64 s[28:29], s[0:1]
	s_cbranch_execz .LBB22_558
.LBB22_557:
	v_lshlrev_b32_e32 v3, 24, v4
	v_and_b32_e32 v4, 0xffff, v4
	v_and_b32_e32 v5, 7, v4
	v_ffbh_u32_e32 v7, v5
	v_min_u32_e32 v7, 32, v7
	v_subrev_u32_e32 v8, 28, v7
	v_bfe_u32 v6, v4, 3, 4
	v_lshlrev_b32_e32 v4, v8, v4
	v_sub_u32_e32 v7, 29, v7
	v_and_b32_e32 v4, 7, v4
	v_cmp_eq_u32_e32 vcc, 0, v6
	v_cndmask_b32_e32 v6, v6, v7, vcc
	v_cndmask_b32_e32 v4, v5, v4, vcc
	v_mov_b32_e32 v5, 0x3b800000
	v_lshlrev_b32_e32 v4, 20, v4
	v_and_b32_e32 v3, 0x80000000, v3
	v_lshl_add_u32 v5, v6, 23, v5
	v_or3_b32 v3, v3, v5, v4
	v_cvt_f16_f32_e32 v3, v3
.LBB22_558:
	s_or_b64 exec, exec, s[28:29]
.LBB22_559:
	s_mov_b64 s[0:1], -1
.LBB22_560:
	s_mov_b64 s[28:29], 0
.LBB22_561:
	s_and_b64 vcc, exec, s[28:29]
	s_cbranch_vccz .LBB22_596
; %bb.562:
	s_cmp_gt_i32 s34, 22
	s_cbranch_scc0 .LBB22_572
; %bb.563:
	s_cmp_lt_i32 s34, 24
	s_cbranch_scc1 .LBB22_575
; %bb.564:
	s_cmp_gt_i32 s34, 24
	s_cbranch_scc0 .LBB22_576
; %bb.565:
	global_load_ubyte v4, v[0:1], off
	s_movk_i32 s0, 0x7f
	s_waitcnt vmcnt(0)
	v_cmp_lt_i16_e32 vcc, s0, v4
	s_mov_b64 s[0:1], 0
	s_and_saveexec_b64 s[28:29], vcc
	s_xor_b64 s[28:29], exec, s[28:29]
	s_cbranch_execz .LBB22_588
; %bb.566:
	s_movk_i32 s0, 0x80
	v_cmp_eq_u16_e32 vcc, s0, v4
	s_mov_b64 s[0:1], -1
	s_and_saveexec_b64 s[30:31], vcc
; %bb.567:
	s_xor_b64 s[0:1], exec, -1
; %bb.568:
	s_or_b64 exec, exec, s[30:31]
	s_and_b64 s[0:1], s[0:1], exec
	s_or_saveexec_b64 s[28:29], s[28:29]
	v_mov_b32_e32 v3, 0x7e00
	s_xor_b64 exec, exec, s[28:29]
	s_cbranch_execnz .LBB22_589
.LBB22_569:
	s_or_b64 exec, exec, s[28:29]
	s_and_saveexec_b64 s[28:29], s[0:1]
	s_cbranch_execz .LBB22_571
.LBB22_570:
	v_lshlrev_b32_e32 v3, 24, v4
	v_and_b32_e32 v4, 0xffff, v4
	v_and_b32_e32 v5, 3, v4
	v_ffbh_u32_e32 v7, v5
	v_min_u32_e32 v7, 32, v7
	v_subrev_u32_e32 v8, 29, v7
	v_bfe_u32 v6, v4, 2, 5
	v_lshlrev_b32_e32 v4, v8, v4
	v_sub_u32_e32 v7, 30, v7
	v_and_b32_e32 v4, 3, v4
	v_cmp_eq_u32_e32 vcc, 0, v6
	v_cndmask_b32_e32 v6, v6, v7, vcc
	v_cndmask_b32_e32 v4, v5, v4, vcc
	v_mov_b32_e32 v5, 0x37800000
	v_lshlrev_b32_e32 v4, 21, v4
	v_and_b32_e32 v3, 0x80000000, v3
	v_lshl_add_u32 v5, v6, 23, v5
	v_or3_b32 v3, v3, v5, v4
	v_cvt_f16_f32_e32 v3, v3
.LBB22_571:
	s_or_b64 exec, exec, s[28:29]
	s_mov_b64 s[0:1], 0
	s_branch .LBB22_577
.LBB22_572:
	s_mov_b64 s[28:29], -1
                                        ; implicit-def: $vgpr3
	s_branch .LBB22_583
.LBB22_573:
	s_or_saveexec_b64 s[28:29], s[28:29]
	v_mov_b32_e32 v3, 0x7e00
	s_xor_b64 exec, exec, s[28:29]
	s_cbranch_execz .LBB22_556
.LBB22_574:
	v_cmp_ne_u16_e32 vcc, 0, v4
	s_andn2_b64 s[0:1], s[0:1], exec
	s_and_b64 s[30:31], vcc, exec
	s_or_b64 s[0:1], s[0:1], s[30:31]
	v_mov_b32_e32 v3, v4
	s_or_b64 exec, exec, s[28:29]
	s_and_saveexec_b64 s[28:29], s[0:1]
	s_cbranch_execnz .LBB22_557
	s_branch .LBB22_558
.LBB22_575:
	s_mov_b64 s[0:1], -1
                                        ; implicit-def: $vgpr3
	s_branch .LBB22_580
.LBB22_576:
	s_mov_b64 s[0:1], -1
                                        ; implicit-def: $vgpr3
.LBB22_577:
	s_and_b64 vcc, exec, s[0:1]
	s_cbranch_vccz .LBB22_579
; %bb.578:
	global_load_ubyte v3, v[0:1], off
	s_mov_b32 s0, 0x7f800000
	s_waitcnt vmcnt(0)
	v_lshlrev_b32_e32 v3, 24, v3
	v_and_b32_e32 v4, 0x7f000000, v3
	v_ffbh_u32_e32 v5, v4
	v_min_u32_e32 v5, 32, v5
	v_sub_u32_e64 v5, v5, 4 clamp
	v_lshlrev_b32_e32 v7, v5, v4
	v_lshlrev_b32_e32 v5, 23, v5
	v_lshrrev_b32_e32 v7, 4, v7
	v_add_u32_e32 v6, 0x1000000, v4
	v_sub_u32_e32 v5, v7, v5
	v_ashrrev_i32_e32 v6, 8, v6
	v_add_u32_e32 v5, 0x3c000000, v5
	v_and_or_b32 v5, v6, s0, v5
	v_cmp_ne_u32_e32 vcc, 0, v4
	v_cndmask_b32_e32 v4, 0, v5, vcc
	s_brev_b32 s0, 1
	v_and_or_b32 v3, v3, s0, v4
	v_cvt_f16_f32_e32 v3, v3
.LBB22_579:
	s_mov_b64 s[0:1], 0
.LBB22_580:
	s_andn2_b64 vcc, exec, s[0:1]
	s_cbranch_vccnz .LBB22_582
; %bb.581:
	global_load_ubyte v3, v[0:1], off
	s_movk_i32 s0, 0x7f00
	s_brev_b32 s1, 16
	s_waitcnt vmcnt(0)
	v_lshlrev_b16_e32 v4, 8, v3
	v_lshlrev_b32_e32 v3, 25, v3
	v_lshrrev_b32_e32 v5, 4, v3
	v_and_or_b32 v6, v4, s0, 0.5
	v_or_b32_e32 v5, 0x70000000, v5
	v_add_f32_e32 v6, -0.5, v6
	v_mul_f32_e32 v5, 0x7800000, v5
	v_cmp_gt_u32_e32 vcc, s1, v3
	v_bfe_i32 v4, v4, 0, 16
	v_cndmask_b32_e32 v3, v5, v6, vcc
	s_brev_b32 s0, 1
	v_and_or_b32 v3, v4, s0, v3
	v_cvt_f16_f32_e32 v3, v3
.LBB22_582:
	s_mov_b64 s[28:29], 0
	s_mov_b64 s[0:1], -1
.LBB22_583:
	s_andn2_b64 vcc, exec, s[28:29]
	s_cbranch_vccnz .LBB22_596
; %bb.584:
	s_cmp_gt_i32 s34, 14
	s_cbranch_scc0 .LBB22_587
; %bb.585:
	s_cmp_eq_u32 s34, 15
	s_cbranch_scc0 .LBB22_590
; %bb.586:
	global_load_ushort v3, v[0:1], off
	s_mov_b64 s[0:1], -1
	s_mov_b64 s[26:27], 0
	s_waitcnt vmcnt(0)
	v_lshlrev_b32_e32 v3, 16, v3
	v_cvt_f16_f32_e32 v3, v3
	s_branch .LBB22_591
.LBB22_587:
	s_mov_b64 s[28:29], -1
                                        ; implicit-def: $vgpr3
	s_branch .LBB22_592
.LBB22_588:
	s_or_saveexec_b64 s[28:29], s[28:29]
	v_mov_b32_e32 v3, 0x7e00
	s_xor_b64 exec, exec, s[28:29]
	s_cbranch_execz .LBB22_569
.LBB22_589:
	v_cmp_ne_u16_e32 vcc, 0, v4
	s_andn2_b64 s[0:1], s[0:1], exec
	s_and_b64 s[30:31], vcc, exec
	s_or_b64 s[0:1], s[0:1], s[30:31]
	v_mov_b32_e32 v3, v4
	s_or_b64 exec, exec, s[28:29]
	s_and_saveexec_b64 s[28:29], s[0:1]
	s_cbranch_execnz .LBB22_570
	s_branch .LBB22_571
.LBB22_590:
	s_mov_b64 s[26:27], -1
                                        ; implicit-def: $vgpr3
.LBB22_591:
	s_mov_b64 s[28:29], 0
.LBB22_592:
	s_and_b64 vcc, exec, s[28:29]
	s_cbranch_vccz .LBB22_596
; %bb.593:
	s_cmp_eq_u32 s34, 11
	s_cbranch_scc0 .LBB22_595
; %bb.594:
	global_load_ubyte v3, v[0:1], off
	v_mov_b32_e32 v4, 0x3c00
	s_mov_b64 s[0:1], -1
	s_mov_b64 s[26:27], 0
	s_waitcnt vmcnt(0)
	v_cmp_ne_u16_e32 vcc, 0, v3
	v_cndmask_b32_e32 v3, 0, v4, vcc
	s_branch .LBB22_596
.LBB22_595:
	s_mov_b64 s[26:27], -1
                                        ; implicit-def: $vgpr3
.LBB22_596:
	s_mov_b64 s[28:29], 0
.LBB22_597:
	s_and_b64 vcc, exec, s[28:29]
	s_cbranch_vccz .LBB22_646
; %bb.598:
	s_cmp_lt_i32 s34, 5
	s_cbranch_scc1 .LBB22_603
; %bb.599:
	s_cmp_lt_i32 s34, 8
	s_cbranch_scc1 .LBB22_604
	;; [unrolled: 3-line block ×3, first 2 shown]
; %bb.601:
	s_cmp_gt_i32 s34, 9
	s_cbranch_scc0 .LBB22_606
; %bb.602:
	global_load_dwordx2 v[3:4], v[0:1], off
	s_movk_i32 s0, 0x1ff
	s_movk_i32 s1, 0xffe
	v_mov_b32_e32 v5, 0x7c00
	v_mov_b32_e32 v6, 0x7e00
	s_movk_i32 s28, 0x40f
	s_mov_b32 s29, 0x8000
	s_waitcnt vmcnt(0)
	v_and_or_b32 v3, v4, s0, v3
	v_cmp_ne_u32_e32 vcc, 0, v3
	v_lshrrev_b32_e32 v7, 8, v4
	v_bfe_u32 v8, v4, 20, 11
	v_cndmask_b32_e64 v3, 0, 1, vcc
	v_sub_u32_e32 v9, 0x3f1, v8
	v_and_or_b32 v3, v7, s1, v3
	v_add_u32_e32 v8, 0xfffffc10, v8
	v_med3_i32 v7, v9, 0, 13
	v_or_b32_e32 v9, 0x1000, v3
	v_cmp_ne_u32_e32 vcc, 0, v3
	v_lshl_or_b32 v10, v8, 12, v3
	v_cndmask_b32_e32 v3, v5, v6, vcc
	v_lshrrev_b32_e32 v6, v7, v9
	v_lshlrev_b32_e32 v7, v7, v6
	v_cmp_ne_u32_e32 vcc, v7, v9
	v_cndmask_b32_e64 v7, 0, 1, vcc
	v_or_b32_e32 v6, v6, v7
	v_cmp_gt_i32_e32 vcc, 1, v8
	v_cndmask_b32_e32 v6, v10, v6, vcc
	v_and_b32_e32 v7, 7, v6
	v_cmp_lt_i32_e32 vcc, 5, v7
	v_cndmask_b32_e64 v9, 0, 1, vcc
	v_cmp_eq_u32_e32 vcc, 3, v7
	v_cndmask_b32_e64 v7, 0, 1, vcc
	v_lshrrev_b32_e32 v6, 2, v6
	v_or_b32_e32 v7, v7, v9
	v_add_u32_e32 v6, v6, v7
	v_cmp_gt_i32_e32 vcc, 31, v8
	v_cndmask_b32_e32 v5, v5, v6, vcc
	v_cmp_eq_u32_e32 vcc, s28, v8
	v_lshrrev_b32_e32 v4, 16, v4
	v_cndmask_b32_e32 v3, v5, v3, vcc
	v_and_or_b32 v3, v4, s29, v3
	s_mov_b64 s[0:1], 0
	s_branch .LBB22_607
.LBB22_603:
	s_mov_b64 s[0:1], -1
                                        ; implicit-def: $vgpr3
	s_branch .LBB22_625
.LBB22_604:
	s_mov_b64 s[0:1], -1
                                        ; implicit-def: $vgpr3
	s_branch .LBB22_613
.LBB22_605:
	s_mov_b64 s[0:1], -1
                                        ; implicit-def: $vgpr3
	s_branch .LBB22_610
.LBB22_606:
	s_mov_b64 s[0:1], -1
                                        ; implicit-def: $vgpr3
.LBB22_607:
	s_andn2_b64 vcc, exec, s[0:1]
	s_cbranch_vccnz .LBB22_609
; %bb.608:
	global_load_dword v3, v[0:1], off
	s_waitcnt vmcnt(0)
	v_cvt_f16_f32_e32 v3, v3
.LBB22_609:
	s_mov_b64 s[0:1], 0
.LBB22_610:
	s_andn2_b64 vcc, exec, s[0:1]
	s_cbranch_vccnz .LBB22_612
; %bb.611:
	global_load_dword v3, v[0:1], off
.LBB22_612:
	s_mov_b64 s[0:1], 0
.LBB22_613:
	s_andn2_b64 vcc, exec, s[0:1]
	s_cbranch_vccnz .LBB22_624
; %bb.614:
	s_cmp_lt_i32 s34, 6
	s_cbranch_scc1 .LBB22_617
; %bb.615:
	s_cmp_gt_i32 s34, 6
	s_cbranch_scc0 .LBB22_618
; %bb.616:
	global_load_dwordx2 v[3:4], v[0:1], off
	s_movk_i32 s0, 0x1ff
	s_movk_i32 s1, 0xffe
	v_mov_b32_e32 v5, 0x7c00
	v_mov_b32_e32 v6, 0x7e00
	s_movk_i32 s28, 0x40f
	s_mov_b32 s29, 0x8000
	s_waitcnt vmcnt(0)
	v_and_or_b32 v3, v4, s0, v3
	v_cmp_ne_u32_e32 vcc, 0, v3
	v_lshrrev_b32_e32 v7, 8, v4
	v_bfe_u32 v8, v4, 20, 11
	v_cndmask_b32_e64 v3, 0, 1, vcc
	v_sub_u32_e32 v9, 0x3f1, v8
	v_and_or_b32 v3, v7, s1, v3
	v_add_u32_e32 v8, 0xfffffc10, v8
	v_med3_i32 v7, v9, 0, 13
	v_or_b32_e32 v9, 0x1000, v3
	v_cmp_ne_u32_e32 vcc, 0, v3
	v_lshl_or_b32 v10, v8, 12, v3
	v_cndmask_b32_e32 v3, v5, v6, vcc
	v_lshrrev_b32_e32 v6, v7, v9
	v_lshlrev_b32_e32 v7, v7, v6
	v_cmp_ne_u32_e32 vcc, v7, v9
	v_cndmask_b32_e64 v7, 0, 1, vcc
	v_or_b32_e32 v6, v6, v7
	v_cmp_gt_i32_e32 vcc, 1, v8
	v_cndmask_b32_e32 v6, v10, v6, vcc
	v_and_b32_e32 v7, 7, v6
	v_cmp_lt_i32_e32 vcc, 5, v7
	v_cndmask_b32_e64 v9, 0, 1, vcc
	v_cmp_eq_u32_e32 vcc, 3, v7
	v_cndmask_b32_e64 v7, 0, 1, vcc
	v_lshrrev_b32_e32 v6, 2, v6
	v_or_b32_e32 v7, v7, v9
	v_add_u32_e32 v6, v6, v7
	v_cmp_gt_i32_e32 vcc, 31, v8
	v_cndmask_b32_e32 v5, v5, v6, vcc
	v_cmp_eq_u32_e32 vcc, s28, v8
	v_lshrrev_b32_e32 v4, 16, v4
	v_cndmask_b32_e32 v3, v5, v3, vcc
	v_and_or_b32 v3, v4, s29, v3
	s_mov_b64 s[0:1], 0
	s_branch .LBB22_619
.LBB22_617:
	s_mov_b64 s[0:1], -1
                                        ; implicit-def: $vgpr3
	s_branch .LBB22_622
.LBB22_618:
	s_mov_b64 s[0:1], -1
                                        ; implicit-def: $vgpr3
.LBB22_619:
	s_andn2_b64 vcc, exec, s[0:1]
	s_cbranch_vccnz .LBB22_621
; %bb.620:
	global_load_dword v3, v[0:1], off
	s_waitcnt vmcnt(0)
	v_cvt_f16_f32_e32 v3, v3
.LBB22_621:
	s_mov_b64 s[0:1], 0
.LBB22_622:
	s_andn2_b64 vcc, exec, s[0:1]
	s_cbranch_vccnz .LBB22_624
; %bb.623:
	global_load_ushort v3, v[0:1], off
.LBB22_624:
	s_mov_b64 s[0:1], 0
.LBB22_625:
	s_andn2_b64 vcc, exec, s[0:1]
	s_cbranch_vccnz .LBB22_645
; %bb.626:
	s_cmp_lt_i32 s34, 2
	s_cbranch_scc1 .LBB22_630
; %bb.627:
	s_cmp_lt_i32 s34, 3
	s_cbranch_scc1 .LBB22_631
; %bb.628:
	s_cmp_gt_i32 s34, 3
	s_cbranch_scc0 .LBB22_632
; %bb.629:
	global_load_dwordx2 v[3:4], v[0:1], off
	s_mov_b64 s[0:1], 0
	s_waitcnt vmcnt(0)
	v_xor_b32_e32 v6, v3, v4
	v_ffbh_i32_e32 v5, v4
	v_ashrrev_i32_e32 v6, 31, v6
	v_add_u32_e32 v5, -1, v5
	v_add_u32_e32 v6, 32, v6
	v_min_u32_e32 v5, v5, v6
	v_lshlrev_b64 v[3:4], v5, v[3:4]
	v_min_u32_e32 v3, 1, v3
	v_or_b32_e32 v3, v4, v3
	v_cvt_f32_i32_e32 v3, v3
	v_sub_u32_e32 v4, 32, v5
	v_ldexp_f32 v3, v3, v4
	v_cvt_f16_f32_e32 v3, v3
	s_branch .LBB22_633
.LBB22_630:
	s_mov_b64 s[0:1], -1
                                        ; implicit-def: $vgpr3
	s_branch .LBB22_639
.LBB22_631:
	s_mov_b64 s[0:1], -1
                                        ; implicit-def: $vgpr3
	s_branch .LBB22_636
.LBB22_632:
	s_mov_b64 s[0:1], -1
                                        ; implicit-def: $vgpr3
.LBB22_633:
	s_andn2_b64 vcc, exec, s[0:1]
	s_cbranch_vccnz .LBB22_635
; %bb.634:
	global_load_dword v3, v[0:1], off
	s_waitcnt vmcnt(0)
	v_cvt_f32_i32_e32 v3, v3
	v_cvt_f16_f32_e32 v3, v3
.LBB22_635:
	s_mov_b64 s[0:1], 0
.LBB22_636:
	s_andn2_b64 vcc, exec, s[0:1]
	s_cbranch_vccnz .LBB22_638
; %bb.637:
	global_load_ushort v3, v[0:1], off
	s_waitcnt vmcnt(0)
	v_cvt_f16_i16_e32 v3, v3
.LBB22_638:
	s_mov_b64 s[0:1], 0
.LBB22_639:
	s_andn2_b64 vcc, exec, s[0:1]
	s_cbranch_vccnz .LBB22_645
; %bb.640:
	s_cmp_gt_i32 s34, 0
	s_cbranch_scc0 .LBB22_642
; %bb.641:
	global_load_sbyte v3, v[0:1], off
	s_mov_b64 s[0:1], 0
	s_waitcnt vmcnt(0)
	v_cvt_f16_i16_e32 v3, v3
	s_branch .LBB22_643
.LBB22_642:
	s_mov_b64 s[0:1], -1
                                        ; implicit-def: $vgpr3
.LBB22_643:
	s_andn2_b64 vcc, exec, s[0:1]
	s_cbranch_vccnz .LBB22_645
; %bb.644:
	global_load_ubyte v0, v[0:1], off
	s_waitcnt vmcnt(0)
	v_cvt_f16_u16_e32 v3, v0
.LBB22_645:
	s_mov_b64 s[0:1], -1
.LBB22_646:
	s_andn2_b64 vcc, exec, s[0:1]
	s_cbranch_vccnz .LBB22_654
; %bb.647:
	v_mul_lo_u32 v0, v2, s2
	s_waitcnt vmcnt(0)
	v_cmp_nge_f16_e64 s[0:1], v3, -s33
	v_cmp_nge_f16_e32 vcc, s33, v3
	s_or_b64 vcc, s[0:1], vcc
	v_cndmask_b32_e32 v3, 0, v3, vcc
	v_ashrrev_i32_e32 v1, 31, v0
	v_mov_b32_e32 v4, s9
	s_and_b32 s36, s42, 0xff
	v_add_co_u32_e32 v0, vcc, s8, v0
	s_cmp_lt_i32 s36, 11
	v_addc_co_u32_e32 v1, vcc, v4, v1, vcc
	s_cbranch_scc1 .LBB22_655
; %bb.648:
	s_and_b32 s37, 0xffff, s36
	s_cmp_gt_i32 s37, 25
	s_cbranch_scc0 .LBB22_656
; %bb.649:
	s_cmp_gt_i32 s37, 28
	s_cbranch_scc0 .LBB22_657
; %bb.650:
	s_cmp_gt_i32 s37, 43
	s_cbranch_scc0 .LBB22_658
; %bb.651:
	s_cmp_gt_i32 s37, 45
	s_cbranch_scc0 .LBB22_659
; %bb.652:
	s_mov_b64 s[30:31], 0
	s_mov_b64 s[0:1], -1
	s_cmp_eq_u32 s37, 46
	s_mov_b64 s[28:29], 0
	s_cbranch_scc0 .LBB22_660
; %bb.653:
	v_cvt_f32_f16_e32 v4, v3
	s_movk_i32 s0, 0x7fff
	v_cmp_o_f16_e32 vcc, v3, v3
	v_mov_b32_e32 v5, 0x7fc0
	v_bfe_u32 v6, v4, 16, 1
	v_add3_u32 v4, v4, v6, s0
	v_cndmask_b32_sdwa v4, v5, v4, vcc dst_sel:DWORD dst_unused:UNUSED_PAD src0_sel:DWORD src1_sel:WORD_1
	global_store_dword v[0:1], v4, off
	s_mov_b64 s[28:29], -1
	s_mov_b64 s[0:1], 0
	s_branch .LBB22_660
.LBB22_654:
	s_mov_b64 s[30:31], 0
                                        ; implicit-def: $vgpr2
	s_mov_b64 s[0:1], s[20:21]
	s_branch .LBB22_771
.LBB22_655:
	s_mov_b64 s[30:31], -1
	s_mov_b64 s[28:29], 0
	s_mov_b64 s[0:1], s[20:21]
	s_branch .LBB22_729
.LBB22_656:
	s_mov_b64 s[30:31], -1
	s_mov_b64 s[28:29], 0
	s_mov_b64 s[0:1], s[20:21]
	s_branch .LBB22_687
.LBB22_657:
	s_mov_b64 s[30:31], -1
	s_mov_b64 s[28:29], 0
	s_mov_b64 s[0:1], s[20:21]
	s_branch .LBB22_670
.LBB22_658:
	s_mov_b64 s[30:31], -1
	s_mov_b64 s[28:29], 0
	s_mov_b64 s[0:1], s[20:21]
	s_branch .LBB22_666
.LBB22_659:
	s_mov_b64 s[30:31], -1
	s_mov_b64 s[28:29], 0
	s_mov_b64 s[0:1], s[20:21]
.LBB22_660:
	s_and_b64 vcc, exec, s[30:31]
	s_cbranch_vccz .LBB22_665
; %bb.661:
	s_cmp_eq_u32 s37, 44
	s_mov_b64 s[0:1], -1
	s_cbranch_scc0 .LBB22_665
; %bb.662:
	v_cvt_f32_f16_e32 v4, v3
	s_movk_i32 s0, 0xff
	v_mov_b32_e32 v6, 0xff
	v_bfe_u32 v5, v4, 23, 8
	v_cmp_ne_u32_e32 vcc, s0, v5
	s_and_saveexec_b64 s[28:29], vcc
; %bb.663:
	s_mov_b32 s0, 0x3fffff
	v_lshrrev_b32_e32 v6, 23, v4
	v_and_b32_e32 v7, 0x400000, v4
	v_and_or_b32 v4, v4, s0, v5
	v_cmp_ne_u32_e32 vcc, 0, v7
	v_cmp_ne_u32_e64 s[0:1], 0, v4
	s_and_b64 s[0:1], vcc, s[0:1]
	v_cndmask_b32_e64 v4, 0, 1, s[0:1]
	v_add_u32_e32 v6, v6, v4
; %bb.664:
	s_or_b64 exec, exec, s[28:29]
	s_mov_b64 s[28:29], -1
	s_mov_b64 s[0:1], 0
	global_store_byte v[0:1], v6, off
.LBB22_665:
	s_mov_b64 s[30:31], 0
.LBB22_666:
	s_and_b64 vcc, exec, s[30:31]
	s_cbranch_vccz .LBB22_669
; %bb.667:
	s_cmp_eq_u32 s37, 29
	s_mov_b64 s[0:1], -1
	s_cbranch_scc0 .LBB22_669
; %bb.668:
	v_cvt_f32_f16_e32 v4, v3
	v_mov_b32_e32 v5, 0
	s_mov_b64 s[28:29], -1
	s_mov_b64 s[0:1], 0
	v_cvt_u32_f32_e32 v4, v4
	s_mov_b64 s[30:31], 0
	global_store_dwordx2 v[0:1], v[4:5], off
	s_branch .LBB22_670
.LBB22_669:
	s_mov_b64 s[30:31], 0
.LBB22_670:
	s_and_b64 vcc, exec, s[30:31]
	s_cbranch_vccz .LBB22_686
; %bb.671:
	s_cmp_lt_i32 s37, 27
	s_mov_b64 s[28:29], -1
	s_cbranch_scc1 .LBB22_677
; %bb.672:
	s_cmp_gt_i32 s37, 27
	s_cbranch_scc0 .LBB22_674
; %bb.673:
	v_cvt_f32_f16_e32 v4, v3
	s_mov_b64 s[28:29], 0
	v_cvt_u32_f32_e32 v4, v4
	global_store_dword v[0:1], v4, off
.LBB22_674:
	s_andn2_b64 vcc, exec, s[28:29]
	s_cbranch_vccnz .LBB22_676
; %bb.675:
	v_cvt_u16_f16_e32 v4, v3
	global_store_short v[0:1], v4, off
.LBB22_676:
	s_mov_b64 s[28:29], 0
.LBB22_677:
	s_andn2_b64 vcc, exec, s[28:29]
	s_cbranch_vccnz .LBB22_685
; %bb.678:
	v_cvt_f32_f16_e32 v4, v3
	s_mov_b32 s28, 0x43800000
	v_mov_b32_e32 v6, 0x80
	v_and_b32_e32 v5, 0x7fffffff, v4
	v_cmp_gt_u32_e32 vcc, s28, v5
	s_and_saveexec_b64 s[28:29], vcc
	s_cbranch_execz .LBB22_684
; %bb.679:
	s_mov_b32 s30, 0x3bffffff
	v_cmp_lt_u32_e32 vcc, s30, v5
	s_mov_b64 s[30:31], 0
                                        ; implicit-def: $vgpr5
	s_and_saveexec_b64 s[34:35], vcc
	s_xor_b64 s[34:35], exec, s[34:35]
	s_cbranch_execz .LBB22_785
; %bb.680:
	v_bfe_u32 v5, v4, 20, 1
	s_mov_b32 s39, 0x487ffff
	v_add3_u32 v5, v4, v5, s39
	s_mov_b64 s[30:31], exec
	v_lshrrev_b32_e32 v5, 20, v5
	s_andn2_saveexec_b64 s[34:35], s[34:35]
	s_cbranch_execnz .LBB22_786
.LBB22_681:
	s_or_b64 exec, exec, s[34:35]
	v_mov_b32_e32 v6, 0
	s_and_saveexec_b64 s[34:35], s[30:31]
.LBB22_682:
	v_lshrrev_b32_e32 v4, 24, v4
	s_movk_i32 s30, 0x80
	v_and_or_b32 v6, v4, s30, v5
.LBB22_683:
	s_or_b64 exec, exec, s[34:35]
.LBB22_684:
	s_or_b64 exec, exec, s[28:29]
	global_store_byte v[0:1], v6, off
.LBB22_685:
	s_mov_b64 s[28:29], -1
.LBB22_686:
	s_mov_b64 s[30:31], 0
.LBB22_687:
	s_and_b64 vcc, exec, s[30:31]
	s_cbranch_vccz .LBB22_728
; %bb.688:
	s_cmp_gt_i32 s37, 22
	s_mov_b64 s[30:31], -1
	s_cbranch_scc0 .LBB22_720
; %bb.689:
	s_cmp_lt_i32 s37, 24
	s_mov_b64 s[28:29], -1
	s_cbranch_scc1 .LBB22_709
; %bb.690:
	s_cmp_gt_i32 s37, 24
	s_cbranch_scc0 .LBB22_698
; %bb.691:
	v_cvt_f32_f16_e32 v4, v3
	s_mov_b32 s28, 0x47800000
	v_mov_b32_e32 v6, 0x80
	v_and_b32_e32 v5, 0x7fffffff, v4
	v_cmp_gt_u32_e32 vcc, s28, v5
	s_and_saveexec_b64 s[28:29], vcc
	s_cbranch_execz .LBB22_697
; %bb.692:
	s_mov_b32 s30, 0x37ffffff
	v_cmp_lt_u32_e32 vcc, s30, v5
	s_mov_b64 s[30:31], 0
                                        ; implicit-def: $vgpr5
	s_and_saveexec_b64 s[34:35], vcc
	s_xor_b64 s[34:35], exec, s[34:35]
	s_cbranch_execz .LBB22_788
; %bb.693:
	v_bfe_u32 v5, v4, 21, 1
	s_mov_b32 s39, 0x88fffff
	v_add3_u32 v5, v4, v5, s39
	s_mov_b64 s[30:31], exec
	v_lshrrev_b32_e32 v5, 21, v5
	s_andn2_saveexec_b64 s[34:35], s[34:35]
	s_cbranch_execnz .LBB22_789
.LBB22_694:
	s_or_b64 exec, exec, s[34:35]
	v_mov_b32_e32 v6, 0
	s_and_saveexec_b64 s[34:35], s[30:31]
.LBB22_695:
	v_lshrrev_b32_e32 v4, 24, v4
	s_movk_i32 s30, 0x80
	v_and_or_b32 v6, v4, s30, v5
.LBB22_696:
	s_or_b64 exec, exec, s[34:35]
.LBB22_697:
	s_or_b64 exec, exec, s[28:29]
	s_mov_b64 s[28:29], 0
	global_store_byte v[0:1], v6, off
.LBB22_698:
	s_and_b64 vcc, exec, s[28:29]
	s_cbranch_vccz .LBB22_708
; %bb.699:
	v_cvt_f32_f16_e32 v4, v3
	s_mov_b32 s28, 0x43f00000
                                        ; implicit-def: $vgpr5
	v_and_b32_e32 v6, 0x7fffffff, v4
	v_cmp_gt_u32_e32 vcc, s28, v6
	s_and_saveexec_b64 s[28:29], vcc
	s_xor_b64 s[28:29], exec, s[28:29]
	s_cbranch_execz .LBB22_705
; %bb.700:
	s_mov_b32 s30, 0x3c7fffff
	v_cmp_lt_u32_e32 vcc, s30, v6
                                        ; implicit-def: $vgpr5
	s_and_saveexec_b64 s[30:31], vcc
	s_xor_b64 s[30:31], exec, s[30:31]
; %bb.701:
	v_bfe_u32 v5, v4, 20, 1
	s_mov_b32 s34, 0x407ffff
	v_add3_u32 v5, v4, v5, s34
	v_lshrrev_b32_e32 v6, 20, v5
	v_and_b32_e32 v5, 0xff00000, v5
	s_mov_b32 s34, 0x7f00000
	v_mov_b32_e32 v7, 0x7e
	v_cmp_ne_u32_e32 vcc, s34, v5
	v_cndmask_b32_e32 v5, v7, v6, vcc
; %bb.702:
	s_andn2_saveexec_b64 s[30:31], s[30:31]
; %bb.703:
	s_mov_b32 s34, 0x46800000
	v_add_f32_e64 v5, |v4|, s34
; %bb.704:
	s_or_b64 exec, exec, s[30:31]
                                        ; implicit-def: $vgpr6
.LBB22_705:
	s_andn2_saveexec_b64 s[28:29], s[28:29]
; %bb.706:
	s_mov_b32 s30, 0x7f800000
	v_mov_b32_e32 v5, 0x7e
	v_mov_b32_e32 v7, 0x7f
	v_cmp_lt_u32_e32 vcc, s30, v6
	v_cndmask_b32_e32 v5, v5, v7, vcc
; %bb.707:
	s_or_b64 exec, exec, s[28:29]
	v_lshrrev_b32_e32 v4, 24, v4
	s_movk_i32 s28, 0x80
	v_and_or_b32 v4, v4, s28, v5
	global_store_byte v[0:1], v4, off
.LBB22_708:
	s_mov_b64 s[28:29], 0
.LBB22_709:
	s_andn2_b64 vcc, exec, s[28:29]
	s_cbranch_vccnz .LBB22_719
; %bb.710:
	v_cvt_f32_f16_e32 v4, v3
	s_mov_b32 s28, 0x47800000
                                        ; implicit-def: $vgpr5
	v_and_b32_e32 v6, 0x7fffffff, v4
	v_cmp_gt_u32_e32 vcc, s28, v6
	s_and_saveexec_b64 s[28:29], vcc
	s_xor_b64 s[28:29], exec, s[28:29]
	s_cbranch_execz .LBB22_716
; %bb.711:
	s_mov_b32 s30, 0x387fffff
	v_cmp_lt_u32_e32 vcc, s30, v6
                                        ; implicit-def: $vgpr5
	s_and_saveexec_b64 s[30:31], vcc
	s_xor_b64 s[30:31], exec, s[30:31]
; %bb.712:
	v_bfe_u32 v5, v4, 21, 1
	s_mov_b32 s34, 0x80fffff
	v_add3_u32 v5, v4, v5, s34
	v_lshrrev_b32_e32 v5, 21, v5
; %bb.713:
	s_andn2_saveexec_b64 s[30:31], s[30:31]
; %bb.714:
	s_mov_b32 s34, 0x43000000
	v_add_f32_e64 v5, |v4|, s34
; %bb.715:
	s_or_b64 exec, exec, s[30:31]
                                        ; implicit-def: $vgpr6
.LBB22_716:
	s_andn2_saveexec_b64 s[28:29], s[28:29]
; %bb.717:
	s_mov_b32 s30, 0x7f800000
	v_mov_b32_e32 v5, 0x7c
	v_mov_b32_e32 v7, 0x7f
	v_cmp_lt_u32_e32 vcc, s30, v6
	v_cndmask_b32_e32 v5, v5, v7, vcc
; %bb.718:
	s_or_b64 exec, exec, s[28:29]
	v_lshrrev_b32_e32 v4, 24, v4
	s_movk_i32 s28, 0x80
	v_and_or_b32 v4, v4, s28, v5
	global_store_byte v[0:1], v4, off
.LBB22_719:
	s_mov_b64 s[30:31], 0
	s_mov_b64 s[28:29], -1
.LBB22_720:
	s_andn2_b64 vcc, exec, s[30:31]
	s_cbranch_vccnz .LBB22_728
; %bb.721:
	s_cmp_gt_i32 s37, 14
	s_mov_b64 s[30:31], -1
	s_cbranch_scc0 .LBB22_725
; %bb.722:
	s_cmp_eq_u32 s37, 15
	s_mov_b64 s[0:1], -1
	s_cbranch_scc0 .LBB22_724
; %bb.723:
	v_cvt_f32_f16_e32 v4, v3
	s_movk_i32 s0, 0x7fff
	v_cmp_o_f16_e32 vcc, v3, v3
	v_mov_b32_e32 v5, 0x7fc0
	v_bfe_u32 v6, v4, 16, 1
	v_add3_u32 v4, v4, v6, s0
	v_cndmask_b32_sdwa v4, v5, v4, vcc dst_sel:DWORD dst_unused:UNUSED_PAD src0_sel:DWORD src1_sel:WORD_1
	global_store_short v[0:1], v4, off
	s_mov_b64 s[28:29], -1
	s_mov_b64 s[0:1], 0
.LBB22_724:
	s_mov_b64 s[30:31], 0
.LBB22_725:
	s_and_b64 vcc, exec, s[30:31]
	s_cbranch_vccz .LBB22_728
; %bb.726:
	s_cmp_eq_u32 s37, 11
	s_mov_b64 s[0:1], -1
	s_cbranch_scc0 .LBB22_728
; %bb.727:
	v_and_b32_e32 v4, 0x7fff, v3
	v_cmp_ne_u16_e32 vcc, 0, v4
	v_cndmask_b32_e64 v4, 0, 1, vcc
	s_mov_b64 s[28:29], -1
	s_mov_b64 s[0:1], 0
	global_store_byte v[0:1], v4, off
.LBB22_728:
	s_mov_b64 s[30:31], 0
.LBB22_729:
	s_and_b64 vcc, exec, s[30:31]
	s_cbranch_vccz .LBB22_768
; %bb.730:
	s_and_b32 s30, 0xffff, s36
	s_cmp_lt_i32 s30, 5
	s_mov_b64 s[28:29], -1
	s_cbranch_scc1 .LBB22_751
; %bb.731:
	s_cmp_lt_i32 s30, 8
	s_cbranch_scc1 .LBB22_741
; %bb.732:
	s_cmp_lt_i32 s30, 9
	s_cbranch_scc1 .LBB22_738
; %bb.733:
	s_cmp_gt_i32 s30, 9
	s_cbranch_scc0 .LBB22_735
; %bb.734:
	v_cvt_f32_f16_e32 v4, v3
	v_mov_b32_e32 v6, 0
	v_mov_b32_e32 v7, v6
	s_mov_b64 s[28:29], 0
	v_cvt_f64_f32_e32 v[4:5], v4
	global_store_dwordx4 v[0:1], v[4:7], off
.LBB22_735:
	s_andn2_b64 vcc, exec, s[28:29]
	s_cbranch_vccnz .LBB22_737
; %bb.736:
	v_cvt_f32_f16_e32 v4, v3
	v_mov_b32_e32 v5, 0
	global_store_dwordx2 v[0:1], v[4:5], off
.LBB22_737:
	s_mov_b64 s[28:29], 0
.LBB22_738:
	s_andn2_b64 vcc, exec, s[28:29]
	s_cbranch_vccnz .LBB22_740
; %bb.739:
	v_and_b32_e32 v4, 0xffff, v3
	global_store_dword v[0:1], v4, off
.LBB22_740:
	s_mov_b64 s[28:29], 0
.LBB22_741:
	s_andn2_b64 vcc, exec, s[28:29]
	s_cbranch_vccnz .LBB22_750
; %bb.742:
	s_cmp_lt_i32 s30, 6
	s_mov_b64 s[28:29], -1
	s_cbranch_scc1 .LBB22_748
; %bb.743:
	s_cmp_gt_i32 s30, 6
	s_cbranch_scc0 .LBB22_745
; %bb.744:
	v_cvt_f32_f16_e32 v4, v3
	s_mov_b64 s[28:29], 0
	v_cvt_f64_f32_e32 v[4:5], v4
	global_store_dwordx2 v[0:1], v[4:5], off
.LBB22_745:
	s_andn2_b64 vcc, exec, s[28:29]
	s_cbranch_vccnz .LBB22_747
; %bb.746:
	v_cvt_f32_f16_e32 v4, v3
	global_store_dword v[0:1], v4, off
.LBB22_747:
	s_mov_b64 s[28:29], 0
.LBB22_748:
	s_andn2_b64 vcc, exec, s[28:29]
	s_cbranch_vccnz .LBB22_750
; %bb.749:
	global_store_short v[0:1], v3, off
.LBB22_750:
	s_mov_b64 s[28:29], 0
.LBB22_751:
	s_andn2_b64 vcc, exec, s[28:29]
	s_cbranch_vccnz .LBB22_767
; %bb.752:
	s_cmp_lt_i32 s30, 2
	s_mov_b64 s[28:29], -1
	s_cbranch_scc1 .LBB22_762
; %bb.753:
	s_cmp_lt_i32 s30, 3
	s_cbranch_scc1 .LBB22_759
; %bb.754:
	s_cmp_gt_i32 s30, 3
	s_cbranch_scc0 .LBB22_756
; %bb.755:
	v_cvt_f32_f16_e32 v4, v3
	s_mov_b64 s[28:29], 0
	v_cvt_i32_f32_e32 v4, v4
	v_ashrrev_i32_e32 v5, 31, v4
	global_store_dwordx2 v[0:1], v[4:5], off
.LBB22_756:
	s_andn2_b64 vcc, exec, s[28:29]
	s_cbranch_vccnz .LBB22_758
; %bb.757:
	v_cvt_f32_f16_e32 v4, v3
	v_cvt_i32_f32_e32 v4, v4
	global_store_dword v[0:1], v4, off
.LBB22_758:
	s_mov_b64 s[28:29], 0
.LBB22_759:
	s_andn2_b64 vcc, exec, s[28:29]
	s_cbranch_vccnz .LBB22_761
; %bb.760:
	v_cvt_i16_f16_e32 v4, v3
	global_store_short v[0:1], v4, off
.LBB22_761:
	s_mov_b64 s[28:29], 0
.LBB22_762:
	s_andn2_b64 vcc, exec, s[28:29]
	s_cbranch_vccnz .LBB22_767
; %bb.763:
	s_cmp_gt_i32 s30, 0
	s_mov_b64 s[28:29], -1
	s_cbranch_scc0 .LBB22_765
; %bb.764:
	v_cvt_i16_f16_e32 v4, v3
	s_mov_b64 s[28:29], 0
	global_store_byte v[0:1], v4, off
.LBB22_765:
	s_andn2_b64 vcc, exec, s[28:29]
	s_cbranch_vccnz .LBB22_767
; %bb.766:
	v_cvt_f32_f16_e32 v3, v3
	v_cvt_i32_f32_e32 v3, v3
	global_store_byte v[0:1], v3, off
.LBB22_767:
	s_mov_b64 s[28:29], -1
.LBB22_768:
	s_andn2_b64 vcc, exec, s[28:29]
	s_cbranch_vccnz .LBB22_770
; %bb.769:
	v_add_u32_e32 v2, 0x80, v2
	s_mov_b64 s[30:31], -1
	s_branch .LBB22_771
.LBB22_770:
	s_mov_b64 s[30:31], 0
                                        ; implicit-def: $vgpr2
.LBB22_771:
	s_andn2_b64 s[28:29], s[20:21], exec
	s_and_b64 s[0:1], s[0:1], exec
	s_or_b64 s[28:29], s[28:29], s[0:1]
	s_andn2_b64 s[0:1], s[18:19], exec
	s_and_b64 s[26:27], s[26:27], exec
	s_or_b64 s[0:1], s[0:1], s[26:27]
	s_orn2_b64 s[34:35], s[30:31], exec
.LBB22_772:
	s_or_b64 exec, exec, s[24:25]
	s_mov_b64 s[30:31], 0
	s_mov_b64 s[26:27], 0
	;; [unrolled: 1-line block ×3, first 2 shown]
                                        ; implicit-def: $vgpr0_vgpr1
                                        ; implicit-def: $vgpr4
	s_and_saveexec_b64 s[24:25], s[34:35]
	s_cbranch_execz .LBB22_857
; %bb.773:
	v_cmp_gt_i32_e32 vcc, s38, v2
	s_mov_b64 s[34:35], 0
	s_mov_b64 s[38:39], s[0:1]
	;; [unrolled: 1-line block ×3, first 2 shown]
                                        ; implicit-def: $vgpr0_vgpr1
                                        ; implicit-def: $vgpr4
	s_and_saveexec_b64 s[26:27], vcc
	s_cbranch_execz .LBB22_856
; %bb.774:
	v_mul_lo_u32 v0, v2, s3
	v_mov_b32_e32 v1, s11
	s_and_b32 s44, 0xffff, s43
	s_cmp_lt_i32 s44, 11
	s_waitcnt vmcnt(0)
	v_ashrrev_i32_e32 v3, 31, v0
	v_add_co_u32_e32 v0, vcc, s10, v0
	v_addc_co_u32_e32 v1, vcc, v1, v3, vcc
	s_cbranch_scc1 .LBB22_781
; %bb.775:
	s_cmp_gt_i32 s44, 25
	s_cbranch_scc0 .LBB22_782
; %bb.776:
	s_cmp_gt_i32 s44, 28
	s_cbranch_scc0 .LBB22_783
	;; [unrolled: 3-line block ×4, first 2 shown]
; %bb.779:
	s_cmp_eq_u32 s44, 46
	s_mov_b64 s[38:39], 0
	s_cbranch_scc0 .LBB22_790
; %bb.780:
	global_load_dword v3, v[0:1], off
	s_mov_b64 s[36:37], -1
	s_waitcnt vmcnt(0)
	v_lshlrev_b32_e32 v3, 16, v3
	v_cvt_f16_f32_e32 v4, v3
	s_branch .LBB22_792
.LBB22_781:
	s_mov_b64 s[38:39], -1
                                        ; implicit-def: $vgpr4
	s_mov_b64 s[30:31], s[0:1]
	s_branch .LBB22_855
.LBB22_782:
	s_mov_b64 s[38:39], -1
	s_mov_b64 s[30:31], s[0:1]
                                        ; implicit-def: $vgpr4
	s_branch .LBB22_821
.LBB22_783:
	s_mov_b64 s[38:39], -1
	s_mov_b64 s[30:31], s[0:1]
                                        ; implicit-def: $vgpr4
	s_branch .LBB22_802
.LBB22_784:
	s_mov_b64 s[38:39], -1
	s_mov_b64 s[30:31], s[0:1]
                                        ; implicit-def: $vgpr4
	s_branch .LBB22_797
.LBB22_785:
	s_andn2_saveexec_b64 s[34:35], s[34:35]
	s_cbranch_execz .LBB22_681
.LBB22_786:
	s_mov_b32 s39, 0x46000000
	v_add_f32_e64 v5, |v4|, s39
	v_and_b32_e32 v5, 0xff, v5
	v_cmp_ne_u32_e32 vcc, 0, v5
	s_andn2_b64 s[30:31], s[30:31], exec
	s_and_b64 s[40:41], vcc, exec
	s_or_b64 s[30:31], s[30:31], s[40:41]
	s_or_b64 exec, exec, s[34:35]
	v_mov_b32_e32 v6, 0
	s_and_saveexec_b64 s[34:35], s[30:31]
	s_cbranch_execnz .LBB22_682
	s_branch .LBB22_683
.LBB22_787:
	s_mov_b64 s[38:39], -1
	s_mov_b64 s[30:31], s[0:1]
	s_branch .LBB22_791
.LBB22_788:
	s_andn2_saveexec_b64 s[34:35], s[34:35]
	s_cbranch_execz .LBB22_694
.LBB22_789:
	s_mov_b32 s39, 0x42800000
	v_add_f32_e64 v5, |v4|, s39
	v_and_b32_e32 v5, 0xff, v5
	v_cmp_ne_u32_e32 vcc, 0, v5
	s_andn2_b64 s[30:31], s[30:31], exec
	s_and_b64 s[40:41], vcc, exec
	s_or_b64 s[30:31], s[30:31], s[40:41]
	s_or_b64 exec, exec, s[34:35]
	v_mov_b32_e32 v6, 0
	s_and_saveexec_b64 s[34:35], s[30:31]
	s_cbranch_execnz .LBB22_695
	s_branch .LBB22_696
.LBB22_790:
	s_mov_b64 s[30:31], -1
.LBB22_791:
                                        ; implicit-def: $vgpr4
.LBB22_792:
	s_and_b64 vcc, exec, s[38:39]
	s_cbranch_vccz .LBB22_796
; %bb.793:
	s_cmp_eq_u32 s44, 44
	s_cbranch_scc0 .LBB22_795
; %bb.794:
	global_load_ubyte v3, v[0:1], off
	s_movk_i32 s36, 0xff
	v_mov_b32_e32 v5, 0x7e00
	s_mov_b64 s[30:31], 0
	s_waitcnt vmcnt(0)
	v_lshlrev_b32_e32 v4, 23, v3
	v_cvt_f16_f32_e32 v4, v4
	v_cmp_ne_u32_e32 vcc, s36, v3
	s_mov_b64 s[36:37], -1
	v_cndmask_b32_e32 v4, v5, v4, vcc
	v_cmp_ne_u32_e32 vcc, 0, v3
	v_cndmask_b32_e32 v4, 0, v4, vcc
	s_branch .LBB22_796
.LBB22_795:
	s_mov_b64 s[30:31], -1
                                        ; implicit-def: $vgpr4
.LBB22_796:
	s_mov_b64 s[38:39], 0
.LBB22_797:
	s_and_b64 vcc, exec, s[38:39]
	s_cbranch_vccz .LBB22_801
; %bb.798:
	s_cmp_eq_u32 s44, 29
	s_cbranch_scc0 .LBB22_800
; %bb.799:
	global_load_dwordx2 v[3:4], v[0:1], off
	s_mov_b64 s[30:31], 0
	s_mov_b64 s[36:37], -1
	s_mov_b64 s[38:39], 0
	s_waitcnt vmcnt(0)
	v_ffbh_u32_e32 v5, v4
	v_min_u32_e32 v5, 32, v5
	v_lshlrev_b64 v[3:4], v5, v[3:4]
	v_min_u32_e32 v3, 1, v3
	v_or_b32_e32 v3, v4, v3
	v_cvt_f32_u32_e32 v3, v3
	v_sub_u32_e32 v4, 32, v5
	v_ldexp_f32 v3, v3, v4
	v_cvt_f16_f32_e32 v4, v3
	s_branch .LBB22_802
.LBB22_800:
	s_mov_b64 s[30:31], -1
                                        ; implicit-def: $vgpr4
.LBB22_801:
	s_mov_b64 s[38:39], 0
.LBB22_802:
	s_and_b64 vcc, exec, s[38:39]
	s_cbranch_vccz .LBB22_820
; %bb.803:
	s_cmp_lt_i32 s44, 27
	s_cbranch_scc1 .LBB22_806
; %bb.804:
	s_cmp_gt_i32 s44, 27
	s_cbranch_scc0 .LBB22_807
; %bb.805:
	global_load_dword v3, v[0:1], off
	s_mov_b64 s[36:37], 0
	s_waitcnt vmcnt(0)
	v_cvt_f32_u32_e32 v3, v3
	v_cvt_f16_f32_e32 v4, v3
	s_branch .LBB22_808
.LBB22_806:
	s_mov_b64 s[36:37], -1
                                        ; implicit-def: $vgpr4
	s_branch .LBB22_811
.LBB22_807:
	s_mov_b64 s[36:37], -1
                                        ; implicit-def: $vgpr4
.LBB22_808:
	s_andn2_b64 vcc, exec, s[36:37]
	s_cbranch_vccnz .LBB22_810
; %bb.809:
	global_load_ushort v3, v[0:1], off
	s_waitcnt vmcnt(0)
	v_cvt_f16_u16_e32 v4, v3
.LBB22_810:
	s_mov_b64 s[36:37], 0
.LBB22_811:
	s_andn2_b64 vcc, exec, s[36:37]
	s_cbranch_vccnz .LBB22_819
; %bb.812:
	global_load_ubyte v3, v[0:1], off
	s_movk_i32 s36, 0x7f
	s_waitcnt vmcnt(0)
	v_cmp_lt_i16_e32 vcc, s36, v3
	s_mov_b64 s[36:37], 0
	s_and_saveexec_b64 s[38:39], vcc
	s_xor_b64 s[38:39], exec, s[38:39]
	s_cbranch_execz .LBB22_833
; %bb.813:
	s_movk_i32 s36, 0x80
	v_cmp_eq_u16_e32 vcc, s36, v3
	s_mov_b64 s[36:37], -1
	s_and_saveexec_b64 s[40:41], vcc
; %bb.814:
	s_xor_b64 s[36:37], exec, -1
; %bb.815:
	s_or_b64 exec, exec, s[40:41]
	s_and_b64 s[36:37], s[36:37], exec
	s_or_saveexec_b64 s[38:39], s[38:39]
	v_mov_b32_e32 v4, 0x7e00
	s_xor_b64 exec, exec, s[38:39]
	s_cbranch_execnz .LBB22_834
.LBB22_816:
	s_or_b64 exec, exec, s[38:39]
	s_and_saveexec_b64 s[38:39], s[36:37]
	s_cbranch_execz .LBB22_818
.LBB22_817:
	v_lshlrev_b32_e32 v4, 24, v3
	v_and_b32_e32 v3, 0xffff, v3
	v_and_b32_e32 v5, 7, v3
	v_ffbh_u32_e32 v7, v5
	v_min_u32_e32 v7, 32, v7
	v_subrev_u32_e32 v8, 28, v7
	v_bfe_u32 v6, v3, 3, 4
	v_lshlrev_b32_e32 v3, v8, v3
	v_sub_u32_e32 v7, 29, v7
	v_and_b32_e32 v3, 7, v3
	v_cmp_eq_u32_e32 vcc, 0, v6
	v_cndmask_b32_e32 v6, v6, v7, vcc
	v_cndmask_b32_e32 v3, v5, v3, vcc
	v_mov_b32_e32 v5, 0x3b800000
	v_lshlrev_b32_e32 v3, 20, v3
	v_and_b32_e32 v4, 0x80000000, v4
	v_lshl_add_u32 v5, v6, 23, v5
	v_or3_b32 v3, v4, v5, v3
	v_cvt_f16_f32_e32 v4, v3
.LBB22_818:
	s_or_b64 exec, exec, s[38:39]
.LBB22_819:
	s_mov_b64 s[36:37], -1
.LBB22_820:
	s_mov_b64 s[38:39], 0
.LBB22_821:
	s_and_b64 vcc, exec, s[38:39]
	s_cbranch_vccz .LBB22_854
; %bb.822:
	s_cmp_gt_i32 s44, 22
	s_cbranch_scc0 .LBB22_832
; %bb.823:
	s_cmp_lt_i32 s44, 24
	s_cbranch_scc1 .LBB22_835
; %bb.824:
	s_cmp_gt_i32 s44, 24
	s_cbranch_scc0 .LBB22_836
; %bb.825:
	global_load_ubyte v3, v[0:1], off
	s_movk_i32 s34, 0x7f
	s_waitcnt vmcnt(0)
	v_cmp_lt_i16_e32 vcc, s34, v3
	s_mov_b64 s[34:35], 0
	s_and_saveexec_b64 s[36:37], vcc
	s_xor_b64 s[36:37], exec, s[36:37]
	s_cbranch_execz .LBB22_848
; %bb.826:
	s_movk_i32 s34, 0x80
	v_cmp_eq_u16_e32 vcc, s34, v3
	s_mov_b64 s[34:35], -1
	s_and_saveexec_b64 s[38:39], vcc
; %bb.827:
	s_xor_b64 s[34:35], exec, -1
; %bb.828:
	s_or_b64 exec, exec, s[38:39]
	s_and_b64 s[34:35], s[34:35], exec
	s_or_saveexec_b64 s[36:37], s[36:37]
	v_mov_b32_e32 v4, 0x7e00
	s_xor_b64 exec, exec, s[36:37]
	s_cbranch_execnz .LBB22_849
.LBB22_829:
	s_or_b64 exec, exec, s[36:37]
	s_and_saveexec_b64 s[36:37], s[34:35]
	s_cbranch_execz .LBB22_831
.LBB22_830:
	v_lshlrev_b32_e32 v4, 24, v3
	v_and_b32_e32 v3, 0xffff, v3
	v_and_b32_e32 v5, 3, v3
	v_ffbh_u32_e32 v7, v5
	v_min_u32_e32 v7, 32, v7
	v_subrev_u32_e32 v8, 29, v7
	v_bfe_u32 v6, v3, 2, 5
	v_lshlrev_b32_e32 v3, v8, v3
	v_sub_u32_e32 v7, 30, v7
	v_and_b32_e32 v3, 3, v3
	v_cmp_eq_u32_e32 vcc, 0, v6
	v_cndmask_b32_e32 v6, v6, v7, vcc
	v_cndmask_b32_e32 v3, v5, v3, vcc
	v_mov_b32_e32 v5, 0x37800000
	v_lshlrev_b32_e32 v3, 21, v3
	v_and_b32_e32 v4, 0x80000000, v4
	v_lshl_add_u32 v5, v6, 23, v5
	v_or3_b32 v3, v4, v5, v3
	v_cvt_f16_f32_e32 v4, v3
.LBB22_831:
	s_or_b64 exec, exec, s[36:37]
	s_mov_b64 s[34:35], 0
	s_branch .LBB22_837
.LBB22_832:
	s_mov_b64 s[34:35], -1
                                        ; implicit-def: $vgpr4
	s_branch .LBB22_843
.LBB22_833:
	s_or_saveexec_b64 s[38:39], s[38:39]
	v_mov_b32_e32 v4, 0x7e00
	s_xor_b64 exec, exec, s[38:39]
	s_cbranch_execz .LBB22_816
.LBB22_834:
	v_cmp_ne_u16_e32 vcc, 0, v3
	s_andn2_b64 s[36:37], s[36:37], exec
	s_and_b64 s[40:41], vcc, exec
	s_or_b64 s[36:37], s[36:37], s[40:41]
	v_mov_b32_e32 v4, v3
	s_or_b64 exec, exec, s[38:39]
	s_and_saveexec_b64 s[38:39], s[36:37]
	s_cbranch_execnz .LBB22_817
	s_branch .LBB22_818
.LBB22_835:
	s_mov_b64 s[34:35], -1
                                        ; implicit-def: $vgpr4
	s_branch .LBB22_840
.LBB22_836:
	s_mov_b64 s[34:35], -1
                                        ; implicit-def: $vgpr4
.LBB22_837:
	s_and_b64 vcc, exec, s[34:35]
	s_cbranch_vccz .LBB22_839
; %bb.838:
	global_load_ubyte v3, v[0:1], off
	s_mov_b32 s34, 0x7f800000
	s_waitcnt vmcnt(0)
	v_lshlrev_b32_e32 v3, 24, v3
	v_and_b32_e32 v4, 0x7f000000, v3
	v_ffbh_u32_e32 v5, v4
	v_min_u32_e32 v5, 32, v5
	v_sub_u32_e64 v5, v5, 4 clamp
	v_lshlrev_b32_e32 v7, v5, v4
	v_lshlrev_b32_e32 v5, 23, v5
	v_lshrrev_b32_e32 v7, 4, v7
	v_add_u32_e32 v6, 0x1000000, v4
	v_sub_u32_e32 v5, v7, v5
	v_ashrrev_i32_e32 v6, 8, v6
	v_add_u32_e32 v5, 0x3c000000, v5
	v_and_or_b32 v5, v6, s34, v5
	v_cmp_ne_u32_e32 vcc, 0, v4
	v_cndmask_b32_e32 v4, 0, v5, vcc
	s_brev_b32 s34, 1
	v_and_or_b32 v3, v3, s34, v4
	v_cvt_f16_f32_e32 v4, v3
.LBB22_839:
	s_mov_b64 s[34:35], 0
.LBB22_840:
	s_andn2_b64 vcc, exec, s[34:35]
	s_cbranch_vccnz .LBB22_842
; %bb.841:
	global_load_ubyte v3, v[0:1], off
	s_movk_i32 s34, 0x7f00
	s_brev_b32 s35, 16
	s_waitcnt vmcnt(0)
	v_lshlrev_b16_e32 v4, 8, v3
	v_lshlrev_b32_e32 v3, 25, v3
	v_lshrrev_b32_e32 v5, 4, v3
	v_and_or_b32 v6, v4, s34, 0.5
	v_or_b32_e32 v5, 0x70000000, v5
	v_add_f32_e32 v6, -0.5, v6
	v_mul_f32_e32 v5, 0x7800000, v5
	v_cmp_gt_u32_e32 vcc, s35, v3
	v_bfe_i32 v4, v4, 0, 16
	v_cndmask_b32_e32 v3, v5, v6, vcc
	s_brev_b32 s34, 1
	v_and_or_b32 v3, v4, s34, v3
	v_cvt_f16_f32_e32 v4, v3
.LBB22_842:
	s_mov_b64 s[34:35], 0
	s_mov_b64 s[36:37], -1
.LBB22_843:
	s_andn2_b64 vcc, exec, s[34:35]
	s_mov_b64 s[34:35], 0
	s_cbranch_vccnz .LBB22_854
; %bb.844:
	s_cmp_gt_i32 s44, 14
	s_cbranch_scc0 .LBB22_847
; %bb.845:
	s_cmp_eq_u32 s44, 15
	s_cbranch_scc0 .LBB22_850
; %bb.846:
	global_load_ushort v3, v[0:1], off
	s_mov_b64 s[30:31], 0
	s_mov_b64 s[36:37], -1
	s_waitcnt vmcnt(0)
	v_lshlrev_b32_e32 v3, 16, v3
	v_cvt_f16_f32_e32 v4, v3
	s_branch .LBB22_851
.LBB22_847:
	s_mov_b64 s[38:39], -1
                                        ; implicit-def: $vgpr4
	s_branch .LBB22_852
.LBB22_848:
	s_or_saveexec_b64 s[36:37], s[36:37]
	v_mov_b32_e32 v4, 0x7e00
	s_xor_b64 exec, exec, s[36:37]
	s_cbranch_execz .LBB22_829
.LBB22_849:
	v_cmp_ne_u16_e32 vcc, 0, v3
	s_andn2_b64 s[34:35], s[34:35], exec
	s_and_b64 s[38:39], vcc, exec
	s_or_b64 s[34:35], s[34:35], s[38:39]
	v_mov_b32_e32 v4, v3
	s_or_b64 exec, exec, s[36:37]
	s_and_saveexec_b64 s[36:37], s[34:35]
	s_cbranch_execnz .LBB22_830
	s_branch .LBB22_831
.LBB22_850:
	s_mov_b64 s[30:31], -1
                                        ; implicit-def: $vgpr4
.LBB22_851:
	s_mov_b64 s[38:39], 0
.LBB22_852:
	s_and_b64 vcc, exec, s[38:39]
	s_cbranch_vccz .LBB22_854
; %bb.853:
	s_cmp_lg_u32 s44, 11
	s_cselect_b64 s[38:39], -1, 0
	s_andn2_b64 s[30:31], s[30:31], exec
	s_and_b64 s[38:39], s[38:39], exec
	s_mov_b64 s[34:35], -1
	s_or_b64 s[30:31], s[30:31], s[38:39]
.LBB22_854:
	s_mov_b64 s[38:39], 0
.LBB22_855:
	s_and_b64 s[40:41], s[38:39], exec
	s_andn2_b64 s[38:39], s[0:1], exec
	s_and_b64 s[30:31], s[30:31], exec
	s_and_b64 s[36:37], s[36:37], exec
	s_and_b64 s[34:35], s[34:35], exec
	s_or_b64 s[38:39], s[38:39], s[30:31]
.LBB22_856:
	s_or_b64 exec, exec, s[26:27]
	s_and_b64 s[30:31], s[34:35], exec
	s_andn2_b64 s[0:1], s[0:1], exec
	s_and_b64 s[34:35], s[38:39], exec
	s_and_b64 s[36:37], s[36:37], exec
	;; [unrolled: 1-line block ×3, first 2 shown]
	s_or_b64 s[0:1], s[0:1], s[34:35]
.LBB22_857:
	s_or_b64 exec, exec, s[24:25]
	s_andn2_b64 s[20:21], s[20:21], exec
	s_and_b64 s[24:25], s[28:29], exec
	s_andn2_b64 s[18:19], s[18:19], exec
	s_and_b64 s[0:1], s[0:1], exec
	s_or_b64 s[20:21], s[20:21], s[24:25]
	s_and_b64 s[28:29], s[36:37], exec
	s_and_b64 s[26:27], s[26:27], exec
	;; [unrolled: 1-line block ×3, first 2 shown]
	s_or_b64 s[18:19], s[18:19], s[0:1]
.LBB22_858:
	s_or_b64 exec, exec, s[22:23]
	s_andn2_b64 s[0:1], s[12:13], exec
	s_and_b64 s[12:13], s[20:21], exec
	s_andn2_b64 s[14:15], s[14:15], exec
	s_and_b64 s[18:19], s[18:19], exec
	s_or_b64 s[12:13], s[0:1], s[12:13]
	s_and_b64 s[0:1], s[28:29], exec
	s_and_b64 s[22:23], s[26:27], exec
	;; [unrolled: 1-line block ×3, first 2 shown]
	s_or_b64 s[14:15], s[14:15], s[18:19]
	s_or_b64 exec, exec, s[16:17]
	s_mov_b64 s[16:17], 0
	s_and_saveexec_b64 s[18:19], s[14:15]
	s_cbranch_execz .LBB22_262
.LBB22_859:
	s_mov_b64 s[16:17], exec
	s_andn2_b64 s[20:21], s[20:21], exec
	s_trap 2
	s_or_b64 exec, exec, s[18:19]
	s_and_saveexec_b64 s[14:15], s[20:21]
	s_xor_b64 s[14:15], exec, s[14:15]
	s_cbranch_execnz .LBB22_263
.LBB22_860:
	s_or_b64 exec, exec, s[14:15]
	s_and_saveexec_b64 s[14:15], s[22:23]
	s_cbranch_execz .LBB22_906
.LBB22_861:
	s_sext_i32_i16 s18, s43
	s_cmp_lt_i32 s18, 5
	s_cbranch_scc1 .LBB22_866
; %bb.862:
	s_cmp_lt_i32 s18, 8
	s_cbranch_scc1 .LBB22_867
; %bb.863:
	;; [unrolled: 3-line block ×3, first 2 shown]
	s_cmp_gt_i32 s18, 9
	s_cbranch_scc0 .LBB22_869
; %bb.865:
	global_load_dwordx2 v[3:4], v[0:1], off
	s_movk_i32 s18, 0x1ff
	s_movk_i32 s19, 0xffe
	v_mov_b32_e32 v5, 0x7c00
	v_mov_b32_e32 v6, 0x7e00
	s_movk_i32 s20, 0x40f
	s_mov_b32 s21, 0x8000
	s_waitcnt vmcnt(0)
	v_and_or_b32 v3, v4, s18, v3
	v_cmp_ne_u32_e32 vcc, 0, v3
	v_lshrrev_b32_e32 v7, 8, v4
	v_bfe_u32 v8, v4, 20, 11
	v_cndmask_b32_e64 v3, 0, 1, vcc
	v_sub_u32_e32 v9, 0x3f1, v8
	v_and_or_b32 v3, v7, s19, v3
	v_add_u32_e32 v8, 0xfffffc10, v8
	v_med3_i32 v7, v9, 0, 13
	v_or_b32_e32 v9, 0x1000, v3
	v_cmp_ne_u32_e32 vcc, 0, v3
	v_lshl_or_b32 v10, v8, 12, v3
	v_cndmask_b32_e32 v3, v5, v6, vcc
	v_lshrrev_b32_e32 v6, v7, v9
	v_lshlrev_b32_e32 v7, v7, v6
	v_cmp_ne_u32_e32 vcc, v7, v9
	v_cndmask_b32_e64 v7, 0, 1, vcc
	v_or_b32_e32 v6, v6, v7
	v_cmp_gt_i32_e32 vcc, 1, v8
	v_cndmask_b32_e32 v6, v10, v6, vcc
	v_and_b32_e32 v7, 7, v6
	v_cmp_lt_i32_e32 vcc, 5, v7
	v_cndmask_b32_e64 v9, 0, 1, vcc
	v_cmp_eq_u32_e32 vcc, 3, v7
	v_cndmask_b32_e64 v7, 0, 1, vcc
	v_lshrrev_b32_e32 v6, 2, v6
	v_or_b32_e32 v7, v7, v9
	v_add_u32_e32 v6, v6, v7
	v_cmp_gt_i32_e32 vcc, 31, v8
	v_cndmask_b32_e32 v5, v5, v6, vcc
	v_cmp_eq_u32_e32 vcc, s20, v8
	v_lshrrev_b32_e32 v4, 16, v4
	v_cndmask_b32_e32 v3, v5, v3, vcc
	v_and_or_b32 v4, v4, s21, v3
	s_mov_b64 s[18:19], 0
	s_branch .LBB22_870
.LBB22_866:
                                        ; implicit-def: $vgpr4
	s_branch .LBB22_887
.LBB22_867:
                                        ; implicit-def: $vgpr4
	s_branch .LBB22_876
.LBB22_868:
	s_mov_b64 s[18:19], -1
                                        ; implicit-def: $vgpr4
	s_branch .LBB22_873
.LBB22_869:
	s_mov_b64 s[18:19], -1
                                        ; implicit-def: $vgpr4
.LBB22_870:
	s_andn2_b64 vcc, exec, s[18:19]
	s_cbranch_vccnz .LBB22_872
; %bb.871:
	global_load_dword v3, v[0:1], off
	s_waitcnt vmcnt(0)
	v_cvt_f16_f32_e32 v4, v3
.LBB22_872:
	s_mov_b64 s[18:19], 0
.LBB22_873:
	s_andn2_b64 vcc, exec, s[18:19]
	s_cbranch_vccnz .LBB22_875
; %bb.874:
	global_load_dword v4, v[0:1], off
.LBB22_875:
	s_cbranch_execnz .LBB22_886
.LBB22_876:
	s_sext_i32_i16 s18, s43
	s_cmp_lt_i32 s18, 6
	s_cbranch_scc1 .LBB22_879
; %bb.877:
	s_cmp_gt_i32 s18, 6
	s_cbranch_scc0 .LBB22_880
; %bb.878:
	global_load_dwordx2 v[3:4], v[0:1], off
	s_movk_i32 s18, 0x1ff
	s_movk_i32 s19, 0xffe
	v_mov_b32_e32 v5, 0x7c00
	v_mov_b32_e32 v6, 0x7e00
	s_movk_i32 s20, 0x40f
	s_mov_b32 s21, 0x8000
	s_waitcnt vmcnt(0)
	v_and_or_b32 v3, v4, s18, v3
	v_cmp_ne_u32_e32 vcc, 0, v3
	v_lshrrev_b32_e32 v7, 8, v4
	v_bfe_u32 v8, v4, 20, 11
	v_cndmask_b32_e64 v3, 0, 1, vcc
	v_sub_u32_e32 v9, 0x3f1, v8
	v_and_or_b32 v3, v7, s19, v3
	v_add_u32_e32 v8, 0xfffffc10, v8
	v_med3_i32 v7, v9, 0, 13
	v_or_b32_e32 v9, 0x1000, v3
	v_cmp_ne_u32_e32 vcc, 0, v3
	v_lshl_or_b32 v10, v8, 12, v3
	v_cndmask_b32_e32 v3, v5, v6, vcc
	v_lshrrev_b32_e32 v6, v7, v9
	v_lshlrev_b32_e32 v7, v7, v6
	v_cmp_ne_u32_e32 vcc, v7, v9
	v_cndmask_b32_e64 v7, 0, 1, vcc
	v_or_b32_e32 v6, v6, v7
	v_cmp_gt_i32_e32 vcc, 1, v8
	v_cndmask_b32_e32 v6, v10, v6, vcc
	v_and_b32_e32 v7, 7, v6
	v_cmp_lt_i32_e32 vcc, 5, v7
	v_cndmask_b32_e64 v9, 0, 1, vcc
	v_cmp_eq_u32_e32 vcc, 3, v7
	v_cndmask_b32_e64 v7, 0, 1, vcc
	v_lshrrev_b32_e32 v6, 2, v6
	v_or_b32_e32 v7, v7, v9
	v_add_u32_e32 v6, v6, v7
	v_cmp_gt_i32_e32 vcc, 31, v8
	v_cndmask_b32_e32 v5, v5, v6, vcc
	v_cmp_eq_u32_e32 vcc, s20, v8
	v_lshrrev_b32_e32 v4, 16, v4
	v_cndmask_b32_e32 v3, v5, v3, vcc
	v_and_or_b32 v4, v4, s21, v3
	s_mov_b64 s[18:19], 0
	s_branch .LBB22_881
.LBB22_879:
	s_mov_b64 s[18:19], -1
                                        ; implicit-def: $vgpr4
	s_branch .LBB22_884
.LBB22_880:
	s_mov_b64 s[18:19], -1
                                        ; implicit-def: $vgpr4
.LBB22_881:
	s_andn2_b64 vcc, exec, s[18:19]
	s_cbranch_vccnz .LBB22_883
; %bb.882:
	global_load_dword v3, v[0:1], off
	s_waitcnt vmcnt(0)
	v_cvt_f16_f32_e32 v4, v3
.LBB22_883:
	s_mov_b64 s[18:19], 0
.LBB22_884:
	s_andn2_b64 vcc, exec, s[18:19]
	s_cbranch_vccnz .LBB22_886
; %bb.885:
	global_load_ushort v4, v[0:1], off
.LBB22_886:
	s_cbranch_execnz .LBB22_905
.LBB22_887:
	s_sext_i32_i16 s18, s43
	s_cmp_lt_i32 s18, 2
	s_cbranch_scc1 .LBB22_891
; %bb.888:
	s_cmp_lt_i32 s18, 3
	s_cbranch_scc1 .LBB22_892
; %bb.889:
	s_cmp_gt_i32 s18, 3
	s_cbranch_scc0 .LBB22_893
; %bb.890:
	global_load_dwordx2 v[3:4], v[0:1], off
	s_mov_b64 s[18:19], 0
	s_waitcnt vmcnt(0)
	v_xor_b32_e32 v6, v3, v4
	v_ffbh_i32_e32 v5, v4
	v_ashrrev_i32_e32 v6, 31, v6
	v_add_u32_e32 v5, -1, v5
	v_add_u32_e32 v6, 32, v6
	v_min_u32_e32 v5, v5, v6
	v_lshlrev_b64 v[3:4], v5, v[3:4]
	v_min_u32_e32 v3, 1, v3
	v_or_b32_e32 v3, v4, v3
	v_cvt_f32_i32_e32 v3, v3
	v_sub_u32_e32 v4, 32, v5
	v_ldexp_f32 v3, v3, v4
	v_cvt_f16_f32_e32 v4, v3
	s_branch .LBB22_894
.LBB22_891:
                                        ; implicit-def: $vgpr4
	s_branch .LBB22_900
.LBB22_892:
	s_mov_b64 s[18:19], -1
                                        ; implicit-def: $vgpr4
	s_branch .LBB22_897
.LBB22_893:
	s_mov_b64 s[18:19], -1
                                        ; implicit-def: $vgpr4
.LBB22_894:
	s_andn2_b64 vcc, exec, s[18:19]
	s_cbranch_vccnz .LBB22_896
; %bb.895:
	global_load_dword v3, v[0:1], off
	s_waitcnt vmcnt(0)
	v_cvt_f32_i32_e32 v3, v3
	v_cvt_f16_f32_e32 v4, v3
.LBB22_896:
	s_mov_b64 s[18:19], 0
.LBB22_897:
	s_andn2_b64 vcc, exec, s[18:19]
	s_cbranch_vccnz .LBB22_899
; %bb.898:
	global_load_ushort v3, v[0:1], off
	s_waitcnt vmcnt(0)
	v_cvt_f16_i16_e32 v4, v3
.LBB22_899:
	s_cbranch_execnz .LBB22_905
.LBB22_900:
	s_sext_i32_i16 s18, s43
	s_cmp_gt_i32 s18, 0
	s_cbranch_scc0 .LBB22_902
; %bb.901:
	global_load_sbyte v3, v[0:1], off
	s_mov_b64 s[18:19], 0
	s_waitcnt vmcnt(0)
	v_cvt_f16_i16_e32 v4, v3
	s_branch .LBB22_903
.LBB22_902:
	s_mov_b64 s[18:19], -1
                                        ; implicit-def: $vgpr4
.LBB22_903:
	s_andn2_b64 vcc, exec, s[18:19]
	s_cbranch_vccnz .LBB22_905
; %bb.904:
	global_load_ubyte v0, v[0:1], off
	s_waitcnt vmcnt(0)
	v_cvt_f16_u16_e32 v4, v0
.LBB22_905:
	s_or_b64 s[0:1], s[0:1], exec
.LBB22_906:
	s_or_b64 exec, exec, s[14:15]
	s_mov_b64 s[20:21], 0
	s_mov_b64 s[18:19], 0
                                        ; implicit-def: $sgpr26
                                        ; implicit-def: $vgpr0_vgpr1
                                        ; implicit-def: $vgpr3
	s_and_saveexec_b64 s[14:15], s[0:1]
	s_cbranch_execz .LBB22_924
; %bb.907:
	v_mul_lo_u32 v0, v2, s2
	s_waitcnt vmcnt(0)
	v_cmp_nge_f16_e64 s[0:1], v4, -s33
	v_cmp_nge_f16_e32 vcc, s33, v4
	s_or_b64 vcc, s[0:1], vcc
	v_cndmask_b32_e32 v3, 0, v4, vcc
	v_ashrrev_i32_e32 v1, 31, v0
	v_mov_b32_e32 v2, s9
	s_and_b32 s26, s42, 0xff
	v_add_co_u32_e32 v0, vcc, s8, v0
	s_cmp_lt_i32 s26, 11
	v_addc_co_u32_e32 v1, vcc, v2, v1, vcc
	s_cbranch_scc1 .LBB22_927
; %bb.908:
	s_and_b32 s27, 0xffff, s26
	s_mov_b64 s[20:21], -1
	s_cmp_gt_i32 s27, 25
	s_mov_b64 s[0:1], s[12:13]
	s_cbranch_scc0 .LBB22_945
; %bb.909:
	s_mov_b64 s[18:19], -1
	s_cmp_gt_i32 s27, 28
	s_mov_b64 s[0:1], s[12:13]
	s_cbranch_scc0 .LBB22_929
; %bb.910:
	s_cmp_gt_i32 s27, 43
	s_mov_b64 s[0:1], s[12:13]
	s_cbranch_scc0 .LBB22_921
; %bb.911:
	;; [unrolled: 4-line block ×3, first 2 shown]
	s_cmp_eq_u32 s27, 46
	s_mov_b64 s[0:1], -1
	s_cbranch_scc0 .LBB22_914
; %bb.913:
	v_cvt_f32_f16_e32 v2, v3
	s_movk_i32 s0, 0x7fff
	v_cmp_o_f16_e32 vcc, v3, v3
	v_mov_b32_e32 v4, 0x7fc0
	v_bfe_u32 v5, v2, 16, 1
	v_add3_u32 v2, v2, v5, s0
	v_cndmask_b32_sdwa v2, v4, v2, vcc dst_sel:DWORD dst_unused:UNUSED_PAD src0_sel:DWORD src1_sel:WORD_1
	global_store_dword v[0:1], v2, off
	s_mov_b64 s[0:1], 0
.LBB22_914:
	s_mov_b64 s[18:19], 0
.LBB22_915:
	s_and_b64 vcc, exec, s[18:19]
	s_cbranch_vccz .LBB22_920
; %bb.916:
	s_cmp_eq_u32 s27, 44
	s_mov_b64 s[0:1], -1
	s_cbranch_scc0 .LBB22_920
; %bb.917:
	v_cvt_f32_f16_e32 v2, v3
	s_movk_i32 s0, 0xff
	v_mov_b32_e32 v5, 0xff
	v_bfe_u32 v4, v2, 23, 8
	v_cmp_ne_u32_e32 vcc, s0, v4
	s_and_saveexec_b64 s[18:19], vcc
; %bb.918:
	s_mov_b32 s0, 0x3fffff
	v_lshrrev_b32_e32 v5, 23, v2
	v_and_b32_e32 v6, 0x400000, v2
	v_and_or_b32 v2, v2, s0, v4
	v_cmp_ne_u32_e32 vcc, 0, v6
	v_cmp_ne_u32_e64 s[0:1], 0, v2
	s_and_b64 s[0:1], vcc, s[0:1]
	v_cndmask_b32_e64 v2, 0, 1, s[0:1]
	v_add_u32_e32 v5, v5, v2
; %bb.919:
	s_or_b64 exec, exec, s[18:19]
	s_mov_b64 s[0:1], 0
	global_store_byte v[0:1], v5, off
.LBB22_920:
	s_mov_b64 s[18:19], 0
.LBB22_921:
	s_and_b64 vcc, exec, s[18:19]
	s_cbranch_vccz .LBB22_928
; %bb.922:
	s_cmp_eq_u32 s27, 29
	s_mov_b64 s[0:1], -1
	s_cbranch_scc0 .LBB22_928
; %bb.923:
	v_cvt_f32_f16_e32 v2, v3
	v_mov_b32_e32 v5, 0
	s_mov_b64 s[0:1], 0
	s_mov_b64 s[18:19], 0
	v_cvt_u32_f32_e32 v4, v2
	global_store_dwordx2 v[0:1], v[4:5], off
	s_branch .LBB22_929
.LBB22_924:
	s_or_b64 exec, exec, s[14:15]
	s_and_saveexec_b64 s[0:1], s[12:13]
	s_cbranch_execnz .LBB22_987
.LBB22_925:
	s_or_b64 exec, exec, s[0:1]
	s_and_saveexec_b64 s[0:1], s[20:21]
	s_xor_b64 s[0:1], exec, s[0:1]
	s_cbranch_execz .LBB22_988
.LBB22_926:
	s_waitcnt vmcnt(0)
	v_and_b32_e32 v2, 0x7fff, v3
	v_cmp_ne_u16_e32 vcc, 0, v2
	v_cndmask_b32_e64 v2, 0, 1, vcc
	global_store_byte v[0:1], v2, off
	s_or_b64 exec, exec, s[0:1]
	s_and_saveexec_b64 s[0:1], s[18:19]
	s_xor_b64 s[0:1], exec, s[0:1]
	s_cbranch_execz .LBB22_1026
	s_branch .LBB22_989
.LBB22_927:
	s_mov_b64 s[18:19], -1
	s_mov_b64 s[0:1], s[12:13]
	s_branch .LBB22_986
.LBB22_928:
	s_mov_b64 s[18:19], 0
.LBB22_929:
	s_and_b64 vcc, exec, s[18:19]
	s_cbranch_vccz .LBB22_944
; %bb.930:
	s_cmp_lt_i32 s27, 27
	s_mov_b64 s[18:19], -1
	s_cbranch_scc1 .LBB22_936
; %bb.931:
	s_cmp_gt_i32 s27, 27
	s_cbranch_scc0 .LBB22_933
; %bb.932:
	v_cvt_f32_f16_e32 v2, v3
	s_mov_b64 s[18:19], 0
	v_cvt_u32_f32_e32 v2, v2
	global_store_dword v[0:1], v2, off
.LBB22_933:
	s_andn2_b64 vcc, exec, s[18:19]
	s_cbranch_vccnz .LBB22_935
; %bb.934:
	v_cvt_u16_f16_e32 v2, v3
	global_store_short v[0:1], v2, off
.LBB22_935:
	s_mov_b64 s[18:19], 0
.LBB22_936:
	s_andn2_b64 vcc, exec, s[18:19]
	s_cbranch_vccnz .LBB22_944
; %bb.937:
	v_cvt_f32_f16_e32 v2, v3
	s_mov_b32 s18, 0x43800000
	v_mov_b32_e32 v5, 0x80
	v_and_b32_e32 v4, 0x7fffffff, v2
	v_cmp_gt_u32_e32 vcc, s18, v4
	s_and_saveexec_b64 s[18:19], vcc
	s_cbranch_execz .LBB22_943
; %bb.938:
	s_mov_b32 s20, 0x3bffffff
	v_cmp_lt_u32_e32 vcc, s20, v4
	s_mov_b64 s[20:21], 0
                                        ; implicit-def: $vgpr4
	s_and_saveexec_b64 s[22:23], vcc
	s_xor_b64 s[22:23], exec, s[22:23]
	s_cbranch_execz .LBB22_1041
; %bb.939:
	v_bfe_u32 v4, v2, 20, 1
	s_mov_b32 s24, 0x487ffff
	v_add3_u32 v4, v2, v4, s24
	s_mov_b64 s[20:21], exec
	v_lshrrev_b32_e32 v4, 20, v4
	s_andn2_saveexec_b64 s[22:23], s[22:23]
	s_cbranch_execnz .LBB22_1042
.LBB22_940:
	s_or_b64 exec, exec, s[22:23]
	v_mov_b32_e32 v5, 0
	s_and_saveexec_b64 s[22:23], s[20:21]
.LBB22_941:
	v_lshrrev_b32_e32 v2, 24, v2
	s_movk_i32 s20, 0x80
	v_and_or_b32 v5, v2, s20, v4
.LBB22_942:
	s_or_b64 exec, exec, s[22:23]
.LBB22_943:
	s_or_b64 exec, exec, s[18:19]
	global_store_byte v[0:1], v5, off
.LBB22_944:
	s_mov_b64 s[20:21], 0
.LBB22_945:
	s_mov_b64 s[18:19], 0
	s_and_b64 vcc, exec, s[20:21]
	s_cbranch_vccz .LBB22_985
; %bb.946:
	s_cmp_gt_i32 s27, 22
	s_mov_b64 s[20:21], -1
	s_cbranch_scc0 .LBB22_978
; %bb.947:
	s_cmp_lt_i32 s27, 24
	s_cbranch_scc1 .LBB22_967
; %bb.948:
	s_cmp_gt_i32 s27, 24
	s_cbranch_scc0 .LBB22_956
; %bb.949:
	v_cvt_f32_f16_e32 v2, v3
	s_mov_b32 s20, 0x47800000
	v_mov_b32_e32 v5, 0x80
	v_and_b32_e32 v4, 0x7fffffff, v2
	v_cmp_gt_u32_e32 vcc, s20, v4
	s_and_saveexec_b64 s[20:21], vcc
	s_cbranch_execz .LBB22_955
; %bb.950:
	s_mov_b32 s22, 0x37ffffff
	v_cmp_lt_u32_e32 vcc, s22, v4
	s_mov_b64 s[22:23], 0
                                        ; implicit-def: $vgpr4
	s_and_saveexec_b64 s[24:25], vcc
	s_xor_b64 s[24:25], exec, s[24:25]
	s_cbranch_execz .LBB22_1166
; %bb.951:
	v_bfe_u32 v4, v2, 21, 1
	s_mov_b32 s28, 0x88fffff
	v_add3_u32 v4, v2, v4, s28
	s_mov_b64 s[22:23], exec
	v_lshrrev_b32_e32 v4, 21, v4
	s_andn2_saveexec_b64 s[24:25], s[24:25]
	s_cbranch_execnz .LBB22_1167
.LBB22_952:
	s_or_b64 exec, exec, s[24:25]
	v_mov_b32_e32 v5, 0
	s_and_saveexec_b64 s[24:25], s[22:23]
.LBB22_953:
	v_lshrrev_b32_e32 v2, 24, v2
	s_movk_i32 s22, 0x80
	v_and_or_b32 v5, v2, s22, v4
.LBB22_954:
	s_or_b64 exec, exec, s[24:25]
.LBB22_955:
	s_or_b64 exec, exec, s[20:21]
	s_mov_b64 s[20:21], 0
	global_store_byte v[0:1], v5, off
.LBB22_956:
	s_and_b64 vcc, exec, s[20:21]
	s_cbranch_vccz .LBB22_966
; %bb.957:
	v_cvt_f32_f16_e32 v2, v3
	s_mov_b32 s20, 0x43f00000
                                        ; implicit-def: $vgpr4
	v_and_b32_e32 v5, 0x7fffffff, v2
	v_cmp_gt_u32_e32 vcc, s20, v5
	s_and_saveexec_b64 s[20:21], vcc
	s_xor_b64 s[20:21], exec, s[20:21]
	s_cbranch_execz .LBB22_963
; %bb.958:
	s_mov_b32 s22, 0x3c7fffff
	v_cmp_lt_u32_e32 vcc, s22, v5
                                        ; implicit-def: $vgpr4
	s_and_saveexec_b64 s[22:23], vcc
	s_xor_b64 s[22:23], exec, s[22:23]
; %bb.959:
	v_bfe_u32 v4, v2, 20, 1
	s_mov_b32 s24, 0x407ffff
	v_add3_u32 v4, v2, v4, s24
	v_lshrrev_b32_e32 v5, 20, v4
	v_and_b32_e32 v4, 0xff00000, v4
	s_mov_b32 s24, 0x7f00000
	v_mov_b32_e32 v6, 0x7e
	v_cmp_ne_u32_e32 vcc, s24, v4
	v_cndmask_b32_e32 v4, v6, v5, vcc
; %bb.960:
	s_andn2_saveexec_b64 s[22:23], s[22:23]
; %bb.961:
	s_mov_b32 s24, 0x46800000
	v_add_f32_e64 v4, |v2|, s24
; %bb.962:
	s_or_b64 exec, exec, s[22:23]
                                        ; implicit-def: $vgpr5
.LBB22_963:
	s_andn2_saveexec_b64 s[20:21], s[20:21]
; %bb.964:
	s_mov_b32 s22, 0x7f800000
	v_mov_b32_e32 v4, 0x7e
	v_mov_b32_e32 v6, 0x7f
	v_cmp_lt_u32_e32 vcc, s22, v5
	v_cndmask_b32_e32 v4, v4, v6, vcc
; %bb.965:
	s_or_b64 exec, exec, s[20:21]
	v_lshrrev_b32_e32 v2, 24, v2
	s_movk_i32 s20, 0x80
	v_and_or_b32 v2, v2, s20, v4
	global_store_byte v[0:1], v2, off
.LBB22_966:
	s_mov_b64 s[20:21], 0
.LBB22_967:
	s_andn2_b64 vcc, exec, s[20:21]
	s_cbranch_vccnz .LBB22_977
; %bb.968:
	v_cvt_f32_f16_e32 v2, v3
	s_mov_b32 s20, 0x47800000
                                        ; implicit-def: $vgpr4
	v_and_b32_e32 v5, 0x7fffffff, v2
	v_cmp_gt_u32_e32 vcc, s20, v5
	s_and_saveexec_b64 s[20:21], vcc
	s_xor_b64 s[20:21], exec, s[20:21]
	s_cbranch_execz .LBB22_974
; %bb.969:
	s_mov_b32 s22, 0x387fffff
	v_cmp_lt_u32_e32 vcc, s22, v5
                                        ; implicit-def: $vgpr4
	s_and_saveexec_b64 s[22:23], vcc
	s_xor_b64 s[22:23], exec, s[22:23]
; %bb.970:
	v_bfe_u32 v4, v2, 21, 1
	s_mov_b32 s24, 0x80fffff
	v_add3_u32 v4, v2, v4, s24
	v_lshrrev_b32_e32 v4, 21, v4
; %bb.971:
	s_andn2_saveexec_b64 s[22:23], s[22:23]
; %bb.972:
	s_mov_b32 s24, 0x43000000
	v_add_f32_e64 v4, |v2|, s24
; %bb.973:
	s_or_b64 exec, exec, s[22:23]
                                        ; implicit-def: $vgpr5
.LBB22_974:
	s_andn2_saveexec_b64 s[20:21], s[20:21]
; %bb.975:
	s_mov_b32 s22, 0x7f800000
	v_mov_b32_e32 v4, 0x7c
	v_mov_b32_e32 v6, 0x7f
	v_cmp_lt_u32_e32 vcc, s22, v5
	v_cndmask_b32_e32 v4, v4, v6, vcc
; %bb.976:
	s_or_b64 exec, exec, s[20:21]
	v_lshrrev_b32_e32 v2, 24, v2
	s_movk_i32 s20, 0x80
	v_and_or_b32 v2, v2, s20, v4
	global_store_byte v[0:1], v2, off
.LBB22_977:
	s_mov_b64 s[20:21], 0
.LBB22_978:
	s_andn2_b64 vcc, exec, s[20:21]
	s_mov_b64 s[20:21], 0
	s_cbranch_vccnz .LBB22_986
; %bb.979:
	s_cmp_gt_i32 s27, 14
	s_mov_b64 s[22:23], -1
	s_cbranch_scc0 .LBB22_983
; %bb.980:
	s_cmp_eq_u32 s27, 15
	s_mov_b64 s[0:1], -1
	s_cbranch_scc0 .LBB22_982
; %bb.981:
	v_cvt_f32_f16_e32 v2, v3
	s_movk_i32 s0, 0x7fff
	v_cmp_o_f16_e32 vcc, v3, v3
	v_mov_b32_e32 v4, 0x7fc0
	v_bfe_u32 v5, v2, 16, 1
	v_add3_u32 v2, v2, v5, s0
	v_cndmask_b32_sdwa v2, v4, v2, vcc dst_sel:DWORD dst_unused:UNUSED_PAD src0_sel:DWORD src1_sel:WORD_1
	global_store_short v[0:1], v2, off
	s_mov_b64 s[0:1], 0
.LBB22_982:
	s_mov_b64 s[22:23], 0
.LBB22_983:
	s_and_b64 vcc, exec, s[22:23]
	s_cbranch_vccz .LBB22_986
; %bb.984:
	s_cmp_lg_u32 s27, 11
	s_cselect_b64 s[22:23], -1, 0
	s_andn2_b64 s[0:1], s[0:1], exec
	s_and_b64 s[22:23], s[22:23], exec
	s_mov_b64 s[20:21], -1
	s_or_b64 s[0:1], s[0:1], s[22:23]
	s_branch .LBB22_986
.LBB22_985:
	s_mov_b64 s[20:21], 0
.LBB22_986:
	s_andn2_b64 s[12:13], s[12:13], exec
	s_and_b64 s[0:1], s[0:1], exec
	s_and_b64 s[18:19], s[18:19], exec
	;; [unrolled: 1-line block ×3, first 2 shown]
	s_or_b64 s[12:13], s[12:13], s[0:1]
	s_or_b64 exec, exec, s[14:15]
	s_and_saveexec_b64 s[0:1], s[12:13]
	s_cbranch_execz .LBB22_925
.LBB22_987:
	s_or_b64 s[16:17], s[16:17], exec
	s_andn2_b64 s[20:21], s[20:21], exec
	s_trap 2
	s_or_b64 exec, exec, s[0:1]
	s_and_saveexec_b64 s[0:1], s[20:21]
	s_xor_b64 s[0:1], exec, s[0:1]
	s_cbranch_execnz .LBB22_926
.LBB22_988:
	s_or_b64 exec, exec, s[0:1]
	s_and_saveexec_b64 s[0:1], s[18:19]
	s_xor_b64 s[0:1], exec, s[0:1]
	s_cbranch_execz .LBB22_1026
.LBB22_989:
	s_sext_i32_i16 s14, s26
	s_cmp_lt_i32 s14, 5
	s_mov_b64 s[12:13], -1
	s_cbranch_scc1 .LBB22_1010
; %bb.990:
	s_cmp_lt_i32 s14, 8
	s_cbranch_scc1 .LBB22_1000
; %bb.991:
	s_cmp_lt_i32 s14, 9
	s_cbranch_scc1 .LBB22_997
; %bb.992:
	s_cmp_gt_i32 s14, 9
	s_cbranch_scc0 .LBB22_994
; %bb.993:
	s_waitcnt vmcnt(0)
	v_cvt_f32_f16_e32 v2, v3
	v_mov_b32_e32 v6, 0
	v_mov_b32_e32 v7, v6
	s_mov_b64 s[12:13], 0
	v_cvt_f64_f32_e32 v[4:5], v2
	global_store_dwordx4 v[0:1], v[4:7], off
.LBB22_994:
	s_andn2_b64 vcc, exec, s[12:13]
	s_cbranch_vccnz .LBB22_996
; %bb.995:
	s_waitcnt vmcnt(0)
	v_cvt_f32_f16_e32 v4, v3
	v_mov_b32_e32 v5, 0
	global_store_dwordx2 v[0:1], v[4:5], off
.LBB22_996:
	s_mov_b64 s[12:13], 0
.LBB22_997:
	s_andn2_b64 vcc, exec, s[12:13]
	s_cbranch_vccnz .LBB22_999
; %bb.998:
	s_waitcnt vmcnt(0)
	v_and_b32_e32 v2, 0xffff, v3
	global_store_dword v[0:1], v2, off
.LBB22_999:
	s_mov_b64 s[12:13], 0
.LBB22_1000:
	s_andn2_b64 vcc, exec, s[12:13]
	s_cbranch_vccnz .LBB22_1009
; %bb.1001:
	s_sext_i32_i16 s14, s26
	s_cmp_lt_i32 s14, 6
	s_mov_b64 s[12:13], -1
	s_cbranch_scc1 .LBB22_1007
; %bb.1002:
	s_cmp_gt_i32 s14, 6
	s_cbranch_scc0 .LBB22_1004
; %bb.1003:
	s_waitcnt vmcnt(0)
	v_cvt_f32_f16_e32 v2, v3
	s_mov_b64 s[12:13], 0
	v_cvt_f64_f32_e32 v[4:5], v2
	global_store_dwordx2 v[0:1], v[4:5], off
.LBB22_1004:
	s_andn2_b64 vcc, exec, s[12:13]
	s_cbranch_vccnz .LBB22_1006
; %bb.1005:
	s_waitcnt vmcnt(0)
	v_cvt_f32_f16_e32 v2, v3
	global_store_dword v[0:1], v2, off
.LBB22_1006:
	s_mov_b64 s[12:13], 0
.LBB22_1007:
	s_andn2_b64 vcc, exec, s[12:13]
	s_cbranch_vccnz .LBB22_1009
; %bb.1008:
	s_waitcnt vmcnt(0)
	global_store_short v[0:1], v3, off
.LBB22_1009:
	s_mov_b64 s[12:13], 0
.LBB22_1010:
	s_andn2_b64 vcc, exec, s[12:13]
	s_cbranch_vccnz .LBB22_1026
; %bb.1011:
	s_sext_i32_i16 s14, s26
	s_cmp_lt_i32 s14, 2
	s_mov_b64 s[12:13], -1
	s_cbranch_scc1 .LBB22_1021
; %bb.1012:
	s_cmp_lt_i32 s14, 3
	s_cbranch_scc1 .LBB22_1018
; %bb.1013:
	s_cmp_gt_i32 s14, 3
	s_cbranch_scc0 .LBB22_1015
; %bb.1014:
	s_waitcnt vmcnt(0)
	v_cvt_f32_f16_e32 v2, v3
	s_mov_b64 s[12:13], 0
	v_cvt_i32_f32_e32 v4, v2
	v_ashrrev_i32_e32 v5, 31, v4
	global_store_dwordx2 v[0:1], v[4:5], off
.LBB22_1015:
	s_andn2_b64 vcc, exec, s[12:13]
	s_cbranch_vccnz .LBB22_1017
; %bb.1016:
	s_waitcnt vmcnt(0)
	v_cvt_f32_f16_e32 v2, v3
	v_cvt_i32_f32_e32 v2, v2
	global_store_dword v[0:1], v2, off
.LBB22_1017:
	s_mov_b64 s[12:13], 0
.LBB22_1018:
	s_andn2_b64 vcc, exec, s[12:13]
	s_cbranch_vccnz .LBB22_1020
; %bb.1019:
	s_waitcnt vmcnt(0)
	v_cvt_i16_f16_e32 v2, v3
	global_store_short v[0:1], v2, off
.LBB22_1020:
	s_mov_b64 s[12:13], 0
.LBB22_1021:
	s_andn2_b64 vcc, exec, s[12:13]
	s_cbranch_vccnz .LBB22_1026
; %bb.1022:
	s_sext_i32_i16 s12, s26
	s_cmp_gt_i32 s12, 0
	s_mov_b64 s[12:13], -1
	s_cbranch_scc0 .LBB22_1024
; %bb.1023:
	s_waitcnt vmcnt(0)
	v_cvt_i16_f16_e32 v2, v3
	s_mov_b64 s[12:13], 0
	global_store_byte v[0:1], v2, off
.LBB22_1024:
	s_andn2_b64 vcc, exec, s[12:13]
	s_cbranch_vccnz .LBB22_1026
; %bb.1025:
	s_waitcnt vmcnt(0)
	v_cvt_f32_f16_e32 v2, v3
	v_cvt_i32_f32_e32 v2, v2
	global_store_byte v[0:1], v2, off
.LBB22_1026:
	s_or_b64 exec, exec, s[0:1]
	s_and_b64 s[12:13], s[16:17], exec
                                        ; implicit-def: $vgpr2
.LBB22_1027:
	s_or_saveexec_b64 s[6:7], s[6:7]
	s_mov_b64 s[0:1], 0
                                        ; implicit-def: $sgpr20
                                        ; implicit-def: $vgpr0_vgpr1
                                        ; implicit-def: $vgpr3
	s_xor_b64 exec, exec, s[6:7]
	s_cbranch_execz .LBB22_1975
; %bb.1028:
	s_waitcnt vmcnt(0)
	v_mul_lo_u32 v4, s3, v2
	v_mov_b32_e32 v1, s11
	s_and_b32 s22, 0xffff, s43
	s_cmp_lt_i32 s22, 11
	v_ashrrev_i32_e32 v3, 31, v4
	v_add_co_u32_e32 v0, vcc, s10, v4
	v_addc_co_u32_e32 v1, vcc, v1, v3, vcc
	s_cbranch_scc1 .LBB22_1035
; %bb.1029:
	s_cmp_gt_i32 s22, 25
	s_cbranch_scc0 .LBB22_1037
; %bb.1030:
	s_cmp_gt_i32 s22, 28
	s_cbranch_scc0 .LBB22_1038
	;; [unrolled: 3-line block ×4, first 2 shown]
; %bb.1033:
	s_cmp_eq_u32 s22, 46
	s_mov_b64 s[14:15], 0
	s_cbranch_scc0 .LBB22_1043
; %bb.1034:
	global_load_dword v3, v[0:1], off
	s_mov_b64 s[16:17], -1
	s_waitcnt vmcnt(0)
	v_lshlrev_b32_e32 v3, 16, v3
	v_cvt_f16_f32_e32 v3, v3
	s_branch .LBB22_1044
.LBB22_1035:
	s_mov_b64 s[16:17], 0
                                        ; implicit-def: $vgpr3
	s_mov_b64 s[14:15], s[12:13]
	s_cbranch_execnz .LBB22_1107
.LBB22_1036:
	s_andn2_b64 vcc, exec, s[16:17]
	s_cbranch_vccz .LBB22_1152
	s_branch .LBB22_1973
.LBB22_1037:
	s_mov_b64 s[16:17], 0
                                        ; implicit-def: $vgpr3
	s_cbranch_execnz .LBB22_1072
	s_branch .LBB22_1103
.LBB22_1038:
	s_mov_b64 s[14:15], -1
	s_mov_b64 s[16:17], 0
                                        ; implicit-def: $vgpr3
	s_branch .LBB22_1053
.LBB22_1039:
	s_mov_b64 s[16:17], 0
                                        ; implicit-def: $vgpr3
	s_cbranch_execnz .LBB22_1049
	s_branch .LBB22_1052
.LBB22_1040:
	s_mov_b64 s[14:15], -1
	s_mov_b64 s[16:17], 0
                                        ; implicit-def: $vgpr3
	s_branch .LBB22_1044
.LBB22_1041:
	s_andn2_saveexec_b64 s[22:23], s[22:23]
	s_cbranch_execz .LBB22_940
.LBB22_1042:
	s_mov_b32 s24, 0x46000000
	v_add_f32_e64 v4, |v2|, s24
	v_and_b32_e32 v4, 0xff, v4
	v_cmp_ne_u32_e32 vcc, 0, v4
	s_andn2_b64 s[20:21], s[20:21], exec
	s_and_b64 s[24:25], vcc, exec
	s_or_b64 s[20:21], s[20:21], s[24:25]
	s_or_b64 exec, exec, s[22:23]
	v_mov_b32_e32 v5, 0
	s_and_saveexec_b64 s[22:23], s[20:21]
	s_cbranch_execnz .LBB22_941
	s_branch .LBB22_942
.LBB22_1043:
	s_mov_b64 s[0:1], -1
                                        ; implicit-def: $vgpr3
	s_mov_b64 s[16:17], 0
.LBB22_1044:
	s_and_b64 vcc, exec, s[14:15]
	s_cbranch_vccz .LBB22_1047
; %bb.1045:
	s_cmp_eq_u32 s22, 44
	s_cbranch_scc0 .LBB22_1048
; %bb.1046:
	global_load_ubyte v3, v[0:1], off
	s_movk_i32 s14, 0xff
	v_mov_b32_e32 v6, 0x7e00
	s_mov_b64 s[0:1], 0
	s_mov_b64 s[16:17], -1
	s_waitcnt vmcnt(0)
	v_lshlrev_b32_e32 v5, 23, v3
	v_cvt_f16_f32_e32 v5, v5
	v_cmp_ne_u32_e32 vcc, s14, v3
	v_cndmask_b32_e32 v5, v6, v5, vcc
	v_cmp_ne_u32_e32 vcc, 0, v3
	v_cndmask_b32_e32 v3, 0, v5, vcc
.LBB22_1047:
	s_branch .LBB22_1052
.LBB22_1048:
	s_mov_b64 s[0:1], -1
                                        ; implicit-def: $vgpr3
	s_branch .LBB22_1052
.LBB22_1049:
	s_cmp_eq_u32 s22, 29
	s_cbranch_scc0 .LBB22_1051
; %bb.1050:
	global_load_dwordx2 v[5:6], v[0:1], off
	s_mov_b64 s[0:1], 0
	s_mov_b64 s[16:17], -1
	s_mov_b64 s[14:15], 0
	s_waitcnt vmcnt(0)
	v_ffbh_u32_e32 v3, v6
	v_min_u32_e32 v3, 32, v3
	v_lshlrev_b64 v[5:6], v3, v[5:6]
	v_sub_u32_e32 v3, 32, v3
	v_min_u32_e32 v5, 1, v5
	v_or_b32_e32 v5, v6, v5
	v_cvt_f32_u32_e32 v5, v5
	v_ldexp_f32 v3, v5, v3
	v_cvt_f16_f32_e32 v3, v3
	s_branch .LBB22_1053
.LBB22_1051:
	s_mov_b64 s[0:1], -1
                                        ; implicit-def: $vgpr3
.LBB22_1052:
	s_mov_b64 s[14:15], 0
.LBB22_1053:
	s_and_b64 vcc, exec, s[14:15]
	s_cbranch_vccz .LBB22_1071
; %bb.1054:
	s_cmp_lt_i32 s22, 27
	s_cbranch_scc1 .LBB22_1057
; %bb.1055:
	s_cmp_gt_i32 s22, 27
	s_cbranch_scc0 .LBB22_1058
; %bb.1056:
	global_load_dword v3, v[0:1], off
	s_mov_b64 s[14:15], 0
	s_waitcnt vmcnt(0)
	v_cvt_f32_u32_e32 v3, v3
	v_cvt_f16_f32_e32 v3, v3
	s_branch .LBB22_1059
.LBB22_1057:
	s_mov_b64 s[14:15], -1
                                        ; implicit-def: $vgpr3
	s_branch .LBB22_1062
.LBB22_1058:
	s_mov_b64 s[14:15], -1
                                        ; implicit-def: $vgpr3
.LBB22_1059:
	s_andn2_b64 vcc, exec, s[14:15]
	s_cbranch_vccnz .LBB22_1061
; %bb.1060:
	global_load_ushort v3, v[0:1], off
	s_waitcnt vmcnt(0)
	v_cvt_f16_u16_e32 v3, v3
.LBB22_1061:
	s_mov_b64 s[14:15], 0
.LBB22_1062:
	s_andn2_b64 vcc, exec, s[14:15]
	s_cbranch_vccnz .LBB22_1070
; %bb.1063:
	global_load_ubyte v5, v[0:1], off
	s_movk_i32 s14, 0x7f
	s_waitcnt vmcnt(0)
	v_cmp_lt_i16_e32 vcc, s14, v5
	s_mov_b64 s[14:15], 0
	s_and_saveexec_b64 s[16:17], vcc
	s_xor_b64 s[16:17], exec, s[16:17]
	s_cbranch_execz .LBB22_1083
; %bb.1064:
	s_movk_i32 s14, 0x80
	v_cmp_eq_u16_e32 vcc, s14, v5
	s_mov_b64 s[14:15], -1
	s_and_saveexec_b64 s[18:19], vcc
; %bb.1065:
	s_xor_b64 s[14:15], exec, -1
; %bb.1066:
	s_or_b64 exec, exec, s[18:19]
	s_and_b64 s[14:15], s[14:15], exec
	s_or_saveexec_b64 s[16:17], s[16:17]
	v_mov_b32_e32 v3, 0x7e00
	s_xor_b64 exec, exec, s[16:17]
	s_cbranch_execnz .LBB22_1084
.LBB22_1067:
	s_or_b64 exec, exec, s[16:17]
	s_and_saveexec_b64 s[16:17], s[14:15]
	s_cbranch_execz .LBB22_1069
.LBB22_1068:
	v_lshlrev_b32_e32 v3, 24, v5
	v_and_b32_e32 v5, 0xffff, v5
	v_and_b32_e32 v6, 7, v5
	v_ffbh_u32_e32 v8, v6
	v_min_u32_e32 v8, 32, v8
	v_subrev_u32_e32 v9, 28, v8
	v_bfe_u32 v7, v5, 3, 4
	v_lshlrev_b32_e32 v5, v9, v5
	v_sub_u32_e32 v8, 29, v8
	v_and_b32_e32 v5, 7, v5
	v_cmp_eq_u32_e32 vcc, 0, v7
	v_cndmask_b32_e32 v7, v7, v8, vcc
	v_cndmask_b32_e32 v5, v6, v5, vcc
	v_mov_b32_e32 v6, 0x3b800000
	v_lshlrev_b32_e32 v5, 20, v5
	v_and_b32_e32 v3, 0x80000000, v3
	v_lshl_add_u32 v6, v7, 23, v6
	v_or3_b32 v3, v3, v6, v5
	v_cvt_f16_f32_e32 v3, v3
.LBB22_1069:
	s_or_b64 exec, exec, s[16:17]
.LBB22_1070:
	s_mov_b64 s[16:17], -1
.LBB22_1071:
	s_branch .LBB22_1103
.LBB22_1072:
	s_cmp_gt_i32 s22, 22
	s_cbranch_scc0 .LBB22_1082
; %bb.1073:
	s_cmp_lt_i32 s22, 24
	s_cbranch_scc1 .LBB22_1085
; %bb.1074:
	s_cmp_gt_i32 s22, 24
	s_cbranch_scc0 .LBB22_1086
; %bb.1075:
	global_load_ubyte v5, v[0:1], off
	s_movk_i32 s4, 0x7f
	s_waitcnt vmcnt(0)
	v_cmp_lt_i16_e32 vcc, s4, v5
	s_mov_b64 s[4:5], 0
	s_and_saveexec_b64 s[14:15], vcc
	s_xor_b64 s[14:15], exec, s[14:15]
	s_cbranch_execz .LBB22_1097
; %bb.1076:
	s_movk_i32 s4, 0x80
	v_cmp_eq_u16_e32 vcc, s4, v5
	s_mov_b64 s[4:5], -1
	s_and_saveexec_b64 s[16:17], vcc
; %bb.1077:
	s_xor_b64 s[4:5], exec, -1
; %bb.1078:
	s_or_b64 exec, exec, s[16:17]
	s_and_b64 s[4:5], s[4:5], exec
	s_or_saveexec_b64 s[14:15], s[14:15]
	v_mov_b32_e32 v3, 0x7e00
	s_xor_b64 exec, exec, s[14:15]
	s_cbranch_execnz .LBB22_1098
.LBB22_1079:
	s_or_b64 exec, exec, s[14:15]
	s_and_saveexec_b64 s[14:15], s[4:5]
	s_cbranch_execz .LBB22_1081
.LBB22_1080:
	v_lshlrev_b32_e32 v3, 24, v5
	v_and_b32_e32 v5, 0xffff, v5
	v_and_b32_e32 v6, 3, v5
	v_ffbh_u32_e32 v8, v6
	v_min_u32_e32 v8, 32, v8
	v_subrev_u32_e32 v9, 29, v8
	v_bfe_u32 v7, v5, 2, 5
	v_lshlrev_b32_e32 v5, v9, v5
	v_sub_u32_e32 v8, 30, v8
	v_and_b32_e32 v5, 3, v5
	v_cmp_eq_u32_e32 vcc, 0, v7
	v_cndmask_b32_e32 v7, v7, v8, vcc
	v_cndmask_b32_e32 v5, v6, v5, vcc
	v_mov_b32_e32 v6, 0x37800000
	v_lshlrev_b32_e32 v5, 21, v5
	v_and_b32_e32 v3, 0x80000000, v3
	v_lshl_add_u32 v6, v7, 23, v6
	v_or3_b32 v3, v3, v6, v5
	v_cvt_f16_f32_e32 v3, v3
.LBB22_1081:
	s_or_b64 exec, exec, s[14:15]
	s_mov_b64 s[4:5], 0
	s_branch .LBB22_1087
.LBB22_1082:
                                        ; implicit-def: $vgpr3
	s_mov_b64 s[4:5], 0
	s_branch .LBB22_1093
.LBB22_1083:
	s_or_saveexec_b64 s[16:17], s[16:17]
	v_mov_b32_e32 v3, 0x7e00
	s_xor_b64 exec, exec, s[16:17]
	s_cbranch_execz .LBB22_1067
.LBB22_1084:
	v_cmp_ne_u16_e32 vcc, 0, v5
	s_andn2_b64 s[14:15], s[14:15], exec
	s_and_b64 s[18:19], vcc, exec
	s_or_b64 s[14:15], s[14:15], s[18:19]
	v_mov_b32_e32 v3, v5
	s_or_b64 exec, exec, s[16:17]
	s_and_saveexec_b64 s[16:17], s[14:15]
	s_cbranch_execnz .LBB22_1068
	s_branch .LBB22_1069
.LBB22_1085:
	s_mov_b64 s[4:5], -1
                                        ; implicit-def: $vgpr3
	s_branch .LBB22_1090
.LBB22_1086:
	s_mov_b64 s[4:5], -1
                                        ; implicit-def: $vgpr3
.LBB22_1087:
	s_and_b64 vcc, exec, s[4:5]
	s_cbranch_vccz .LBB22_1089
; %bb.1088:
	global_load_ubyte v3, v[0:1], off
	s_mov_b32 s4, 0x7f800000
	s_waitcnt vmcnt(0)
	v_lshlrev_b32_e32 v3, 24, v3
	v_and_b32_e32 v5, 0x7f000000, v3
	v_ffbh_u32_e32 v6, v5
	v_min_u32_e32 v6, 32, v6
	v_sub_u32_e64 v6, v6, 4 clamp
	v_lshlrev_b32_e32 v8, v6, v5
	v_lshlrev_b32_e32 v6, 23, v6
	v_lshrrev_b32_e32 v8, 4, v8
	v_add_u32_e32 v7, 0x1000000, v5
	v_sub_u32_e32 v6, v8, v6
	v_ashrrev_i32_e32 v7, 8, v7
	v_add_u32_e32 v6, 0x3c000000, v6
	v_and_or_b32 v6, v7, s4, v6
	v_cmp_ne_u32_e32 vcc, 0, v5
	v_cndmask_b32_e32 v5, 0, v6, vcc
	s_brev_b32 s4, 1
	v_and_or_b32 v3, v3, s4, v5
	v_cvt_f16_f32_e32 v3, v3
.LBB22_1089:
	s_mov_b64 s[4:5], 0
.LBB22_1090:
	s_andn2_b64 vcc, exec, s[4:5]
	s_cbranch_vccnz .LBB22_1092
; %bb.1091:
	global_load_ubyte v3, v[0:1], off
	s_movk_i32 s4, 0x7f00
	s_brev_b32 s5, 16
	s_waitcnt vmcnt(0)
	v_lshlrev_b16_e32 v5, 8, v3
	v_lshlrev_b32_e32 v3, 25, v3
	v_lshrrev_b32_e32 v6, 4, v3
	v_and_or_b32 v7, v5, s4, 0.5
	v_or_b32_e32 v6, 0x70000000, v6
	v_add_f32_e32 v7, -0.5, v7
	v_mul_f32_e32 v6, 0x7800000, v6
	v_cmp_gt_u32_e32 vcc, s5, v3
	v_bfe_i32 v5, v5, 0, 16
	v_cndmask_b32_e32 v3, v6, v7, vcc
	s_brev_b32 s4, 1
	v_and_or_b32 v3, v5, s4, v3
	v_cvt_f16_f32_e32 v3, v3
.LBB22_1092:
	s_mov_b64 s[16:17], -1
	s_mov_b64 s[4:5], 0
	s_cbranch_execnz .LBB22_1103
.LBB22_1093:
	s_cmp_gt_i32 s22, 14
	s_cbranch_scc0 .LBB22_1096
; %bb.1094:
	s_cmp_eq_u32 s22, 15
	s_cbranch_scc0 .LBB22_1099
; %bb.1095:
	global_load_ushort v3, v[0:1], off
	s_mov_b64 s[0:1], 0
	s_mov_b64 s[16:17], -1
	s_waitcnt vmcnt(0)
	v_lshlrev_b32_e32 v3, 16, v3
	v_cvt_f16_f32_e32 v3, v3
	s_branch .LBB22_1100
.LBB22_1096:
	s_mov_b64 s[14:15], -1
                                        ; implicit-def: $vgpr3
	s_branch .LBB22_1101
.LBB22_1097:
	s_or_saveexec_b64 s[14:15], s[14:15]
	v_mov_b32_e32 v3, 0x7e00
	s_xor_b64 exec, exec, s[14:15]
	s_cbranch_execz .LBB22_1079
.LBB22_1098:
	v_cmp_ne_u16_e32 vcc, 0, v5
	s_andn2_b64 s[4:5], s[4:5], exec
	s_and_b64 s[16:17], vcc, exec
	s_or_b64 s[4:5], s[4:5], s[16:17]
	v_mov_b32_e32 v3, v5
	s_or_b64 exec, exec, s[14:15]
	s_and_saveexec_b64 s[14:15], s[4:5]
	s_cbranch_execnz .LBB22_1080
	s_branch .LBB22_1081
.LBB22_1099:
	s_mov_b64 s[0:1], -1
                                        ; implicit-def: $vgpr3
.LBB22_1100:
	s_mov_b64 s[14:15], 0
.LBB22_1101:
	s_and_b64 vcc, exec, s[14:15]
	s_cbranch_vccz .LBB22_1103
; %bb.1102:
	s_cmp_lg_u32 s22, 11
	s_mov_b64 s[4:5], -1
	s_cselect_b64 s[0:1], -1, 0
.LBB22_1103:
	s_and_b64 vcc, exec, s[0:1]
	s_mov_b64 s[14:15], s[12:13]
	s_cbranch_vccnz .LBB22_1164
; %bb.1104:
	s_andn2_b64 vcc, exec, s[4:5]
	s_cbranch_vccnz .LBB22_1106
.LBB22_1105:
	global_load_ubyte v3, v[0:1], off
	v_mov_b32_e32 v5, 0x3c00
	s_mov_b64 s[16:17], -1
	s_waitcnt vmcnt(0)
	v_cmp_ne_u16_e32 vcc, 0, v3
	v_cndmask_b32_e32 v3, 0, v5, vcc
.LBB22_1106:
	s_branch .LBB22_1036
.LBB22_1107:
	s_cmp_lt_i32 s22, 5
	s_cbranch_scc1 .LBB22_1112
; %bb.1108:
	s_cmp_lt_i32 s22, 8
	s_cbranch_scc1 .LBB22_1113
; %bb.1109:
	;; [unrolled: 3-line block ×3, first 2 shown]
	s_cmp_gt_i32 s22, 9
	s_cbranch_scc0 .LBB22_1115
; %bb.1111:
	global_load_dwordx2 v[5:6], v[0:1], off
	s_movk_i32 s0, 0x1ff
	s_movk_i32 s1, 0xffe
	v_mov_b32_e32 v3, 0x7c00
	v_mov_b32_e32 v7, 0x7e00
	s_movk_i32 s4, 0x40f
	s_mov_b32 s5, 0x8000
	s_waitcnt vmcnt(0)
	v_and_or_b32 v5, v6, s0, v5
	v_cmp_ne_u32_e32 vcc, 0, v5
	v_lshrrev_b32_e32 v8, 8, v6
	v_bfe_u32 v9, v6, 20, 11
	v_cndmask_b32_e64 v5, 0, 1, vcc
	v_sub_u32_e32 v10, 0x3f1, v9
	v_and_or_b32 v5, v8, s1, v5
	v_add_u32_e32 v9, 0xfffffc10, v9
	v_med3_i32 v8, v10, 0, 13
	v_or_b32_e32 v10, 0x1000, v5
	v_cmp_ne_u32_e32 vcc, 0, v5
	v_lshl_or_b32 v11, v9, 12, v5
	v_cndmask_b32_e32 v5, v3, v7, vcc
	v_lshrrev_b32_e32 v7, v8, v10
	v_lshlrev_b32_e32 v8, v8, v7
	v_cmp_ne_u32_e32 vcc, v8, v10
	v_cndmask_b32_e64 v8, 0, 1, vcc
	v_or_b32_e32 v7, v7, v8
	v_cmp_gt_i32_e32 vcc, 1, v9
	v_cndmask_b32_e32 v7, v11, v7, vcc
	v_and_b32_e32 v8, 7, v7
	v_cmp_lt_i32_e32 vcc, 5, v8
	v_cndmask_b32_e64 v10, 0, 1, vcc
	v_cmp_eq_u32_e32 vcc, 3, v8
	v_cndmask_b32_e64 v8, 0, 1, vcc
	v_lshrrev_b32_e32 v7, 2, v7
	v_or_b32_e32 v8, v8, v10
	v_add_u32_e32 v7, v7, v8
	v_cmp_gt_i32_e32 vcc, 31, v9
	v_cndmask_b32_e32 v3, v3, v7, vcc
	v_cmp_eq_u32_e32 vcc, s4, v9
	v_lshrrev_b32_e32 v6, 16, v6
	v_cndmask_b32_e32 v3, v3, v5, vcc
	v_and_or_b32 v3, v6, s5, v3
	s_mov_b64 s[0:1], 0
	s_branch .LBB22_1116
.LBB22_1112:
                                        ; implicit-def: $vgpr3
	s_branch .LBB22_1133
.LBB22_1113:
                                        ; implicit-def: $vgpr3
	s_branch .LBB22_1122
.LBB22_1114:
	s_mov_b64 s[0:1], -1
                                        ; implicit-def: $vgpr3
	s_branch .LBB22_1119
.LBB22_1115:
	s_mov_b64 s[0:1], -1
                                        ; implicit-def: $vgpr3
.LBB22_1116:
	s_andn2_b64 vcc, exec, s[0:1]
	s_cbranch_vccnz .LBB22_1118
; %bb.1117:
	global_load_dword v3, v[0:1], off
	s_waitcnt vmcnt(0)
	v_cvt_f16_f32_e32 v3, v3
.LBB22_1118:
	s_mov_b64 s[0:1], 0
.LBB22_1119:
	s_andn2_b64 vcc, exec, s[0:1]
	s_cbranch_vccnz .LBB22_1121
; %bb.1120:
	global_load_dword v3, v[0:1], off
.LBB22_1121:
	s_cbranch_execnz .LBB22_1132
.LBB22_1122:
	s_cmp_lt_i32 s22, 6
	s_cbranch_scc1 .LBB22_1125
; %bb.1123:
	s_cmp_gt_i32 s22, 6
	s_cbranch_scc0 .LBB22_1126
; %bb.1124:
	global_load_dwordx2 v[5:6], v[0:1], off
	s_movk_i32 s0, 0x1ff
	s_movk_i32 s1, 0xffe
	s_waitcnt vmcnt(1)
	v_mov_b32_e32 v3, 0x7c00
	v_mov_b32_e32 v7, 0x7e00
	s_movk_i32 s4, 0x40f
	s_mov_b32 s5, 0x8000
	s_waitcnt vmcnt(0)
	v_and_or_b32 v5, v6, s0, v5
	v_cmp_ne_u32_e32 vcc, 0, v5
	v_lshrrev_b32_e32 v8, 8, v6
	v_bfe_u32 v9, v6, 20, 11
	v_cndmask_b32_e64 v5, 0, 1, vcc
	v_sub_u32_e32 v10, 0x3f1, v9
	v_and_or_b32 v5, v8, s1, v5
	v_add_u32_e32 v9, 0xfffffc10, v9
	v_med3_i32 v8, v10, 0, 13
	v_or_b32_e32 v10, 0x1000, v5
	v_cmp_ne_u32_e32 vcc, 0, v5
	v_lshl_or_b32 v11, v9, 12, v5
	v_cndmask_b32_e32 v5, v3, v7, vcc
	v_lshrrev_b32_e32 v7, v8, v10
	v_lshlrev_b32_e32 v8, v8, v7
	v_cmp_ne_u32_e32 vcc, v8, v10
	v_cndmask_b32_e64 v8, 0, 1, vcc
	v_or_b32_e32 v7, v7, v8
	v_cmp_gt_i32_e32 vcc, 1, v9
	v_cndmask_b32_e32 v7, v11, v7, vcc
	v_and_b32_e32 v8, 7, v7
	v_cmp_lt_i32_e32 vcc, 5, v8
	v_cndmask_b32_e64 v10, 0, 1, vcc
	v_cmp_eq_u32_e32 vcc, 3, v8
	v_cndmask_b32_e64 v8, 0, 1, vcc
	v_lshrrev_b32_e32 v7, 2, v7
	v_or_b32_e32 v8, v8, v10
	v_add_u32_e32 v7, v7, v8
	v_cmp_gt_i32_e32 vcc, 31, v9
	v_cndmask_b32_e32 v3, v3, v7, vcc
	v_cmp_eq_u32_e32 vcc, s4, v9
	v_lshrrev_b32_e32 v6, 16, v6
	v_cndmask_b32_e32 v3, v3, v5, vcc
	v_and_or_b32 v3, v6, s5, v3
	s_mov_b64 s[0:1], 0
	s_branch .LBB22_1127
.LBB22_1125:
	s_mov_b64 s[0:1], -1
                                        ; implicit-def: $vgpr3
	s_branch .LBB22_1130
.LBB22_1126:
	s_mov_b64 s[0:1], -1
                                        ; implicit-def: $vgpr3
.LBB22_1127:
	s_andn2_b64 vcc, exec, s[0:1]
	s_cbranch_vccnz .LBB22_1129
; %bb.1128:
	global_load_dword v3, v[0:1], off
	s_waitcnt vmcnt(0)
	v_cvt_f16_f32_e32 v3, v3
.LBB22_1129:
	s_mov_b64 s[0:1], 0
.LBB22_1130:
	s_andn2_b64 vcc, exec, s[0:1]
	s_cbranch_vccnz .LBB22_1132
; %bb.1131:
	global_load_ushort v3, v[0:1], off
.LBB22_1132:
	s_cbranch_execnz .LBB22_1151
.LBB22_1133:
	s_cmp_lt_i32 s22, 2
	s_cbranch_scc1 .LBB22_1137
; %bb.1134:
	s_cmp_lt_i32 s22, 3
	s_cbranch_scc1 .LBB22_1138
; %bb.1135:
	s_cmp_gt_i32 s22, 3
	s_cbranch_scc0 .LBB22_1139
; %bb.1136:
	global_load_dwordx2 v[5:6], v[0:1], off
	s_mov_b64 s[0:1], 0
	s_waitcnt vmcnt(0)
	v_xor_b32_e32 v7, v5, v6
	v_ffbh_i32_e32 v3, v6
	v_ashrrev_i32_e32 v7, 31, v7
	v_add_u32_e32 v3, -1, v3
	v_add_u32_e32 v7, 32, v7
	v_min_u32_e32 v3, v3, v7
	v_lshlrev_b64 v[5:6], v3, v[5:6]
	v_sub_u32_e32 v3, 32, v3
	v_min_u32_e32 v5, 1, v5
	v_or_b32_e32 v5, v6, v5
	v_cvt_f32_i32_e32 v5, v5
	v_ldexp_f32 v3, v5, v3
	v_cvt_f16_f32_e32 v3, v3
	s_branch .LBB22_1140
.LBB22_1137:
                                        ; implicit-def: $vgpr3
	s_branch .LBB22_1146
.LBB22_1138:
	s_mov_b64 s[0:1], -1
                                        ; implicit-def: $vgpr3
	s_branch .LBB22_1143
.LBB22_1139:
	s_mov_b64 s[0:1], -1
                                        ; implicit-def: $vgpr3
.LBB22_1140:
	s_andn2_b64 vcc, exec, s[0:1]
	s_cbranch_vccnz .LBB22_1142
; %bb.1141:
	global_load_dword v3, v[0:1], off
	s_waitcnt vmcnt(0)
	v_cvt_f32_i32_e32 v3, v3
	v_cvt_f16_f32_e32 v3, v3
.LBB22_1142:
	s_mov_b64 s[0:1], 0
.LBB22_1143:
	s_andn2_b64 vcc, exec, s[0:1]
	s_cbranch_vccnz .LBB22_1145
; %bb.1144:
	global_load_ushort v3, v[0:1], off
	s_waitcnt vmcnt(0)
	v_cvt_f16_i16_e32 v3, v3
.LBB22_1145:
	s_cbranch_execnz .LBB22_1151
.LBB22_1146:
	s_cmp_gt_i32 s22, 0
	s_cbranch_scc0 .LBB22_1148
; %bb.1147:
	global_load_sbyte v3, v[0:1], off
	s_mov_b64 s[0:1], 0
	s_waitcnt vmcnt(0)
	v_cvt_f16_i16_e32 v3, v3
	s_branch .LBB22_1149
.LBB22_1148:
	s_mov_b64 s[0:1], -1
                                        ; implicit-def: $vgpr3
.LBB22_1149:
	s_andn2_b64 vcc, exec, s[0:1]
	s_cbranch_vccnz .LBB22_1151
; %bb.1150:
	global_load_ubyte v0, v[0:1], off
	s_waitcnt vmcnt(0)
	v_cvt_f16_u16_e32 v3, v0
.LBB22_1151:
.LBB22_1152:
	s_lshl_b32 s3, s3, 7
	v_add_u32_e32 v5, s3, v4
	v_ashrrev_i32_e32 v1, 31, v5
	v_mov_b32_e32 v4, s11
	v_add_co_u32_e32 v0, vcc, s10, v5
	s_cmp_lt_i32 s22, 11
	v_addc_co_u32_e32 v1, vcc, v4, v1, vcc
	s_cbranch_scc1 .LBB22_1159
; %bb.1153:
	s_cmp_gt_i32 s22, 25
	s_mov_b64 s[4:5], 0
	s_cbranch_scc0 .LBB22_1161
; %bb.1154:
	s_cmp_gt_i32 s22, 28
	s_cbranch_scc0 .LBB22_1162
; %bb.1155:
	s_cmp_gt_i32 s22, 43
	;; [unrolled: 3-line block ×3, first 2 shown]
	s_cbranch_scc0 .LBB22_1165
; %bb.1157:
	s_cmp_eq_u32 s22, 46
	s_mov_b64 s[18:19], 0
	s_cbranch_scc0 .LBB22_1168
; %bb.1158:
	global_load_dword v4, v[0:1], off
	s_mov_b64 s[0:1], 0
	s_mov_b64 s[16:17], -1
	s_waitcnt vmcnt(0)
	v_lshlrev_b32_e32 v4, 16, v4
	v_cvt_f16_f32_e32 v4, v4
	s_branch .LBB22_1169
.LBB22_1159:
	s_mov_b64 s[16:17], 0
                                        ; implicit-def: $vgpr4
	s_cbranch_execnz .LBB22_1234
.LBB22_1160:
	s_andn2_b64 vcc, exec, s[16:17]
	s_cbranch_vccnz .LBB22_1973
	s_branch .LBB22_1281
.LBB22_1161:
	s_mov_b64 s[16:17], 0
	s_mov_b64 s[0:1], 0
                                        ; implicit-def: $vgpr4
	s_cbranch_execnz .LBB22_1198
	s_branch .LBB22_1230
.LBB22_1162:
	s_mov_b64 s[18:19], -1
	s_mov_b64 s[16:17], 0
	s_mov_b64 s[0:1], 0
                                        ; implicit-def: $vgpr4
	s_branch .LBB22_1179
.LBB22_1163:
	s_mov_b64 s[18:19], -1
	s_mov_b64 s[16:17], 0
	s_mov_b64 s[0:1], 0
                                        ; implicit-def: $vgpr4
	s_branch .LBB22_1174
.LBB22_1164:
	s_or_b64 s[14:15], s[12:13], exec
	s_trap 2
	s_cbranch_execz .LBB22_1105
	s_branch .LBB22_1106
.LBB22_1165:
	s_mov_b64 s[18:19], -1
	s_mov_b64 s[16:17], 0
	s_mov_b64 s[0:1], 0
                                        ; implicit-def: $vgpr4
	s_branch .LBB22_1169
.LBB22_1166:
	s_andn2_saveexec_b64 s[24:25], s[24:25]
	s_cbranch_execz .LBB22_952
.LBB22_1167:
	s_mov_b32 s28, 0x42800000
	v_add_f32_e64 v4, |v2|, s28
	v_and_b32_e32 v4, 0xff, v4
	v_cmp_ne_u32_e32 vcc, 0, v4
	s_andn2_b64 s[22:23], s[22:23], exec
	s_and_b64 s[28:29], vcc, exec
	s_or_b64 s[22:23], s[22:23], s[28:29]
	s_or_b64 exec, exec, s[24:25]
	v_mov_b32_e32 v5, 0
	s_and_saveexec_b64 s[24:25], s[22:23]
	s_cbranch_execnz .LBB22_953
	s_branch .LBB22_954
.LBB22_1168:
	s_mov_b64 s[0:1], -1
                                        ; implicit-def: $vgpr4
	s_mov_b64 s[16:17], 0
.LBB22_1169:
	s_and_b64 vcc, exec, s[18:19]
	s_cbranch_vccz .LBB22_1173
; %bb.1170:
	s_cmp_eq_u32 s22, 44
	s_cbranch_scc0 .LBB22_1172
; %bb.1171:
	global_load_ubyte v4, v[0:1], off
	s_movk_i32 s16, 0xff
	v_mov_b32_e32 v7, 0x7e00
	s_mov_b64 s[0:1], 0
	s_waitcnt vmcnt(0)
	v_lshlrev_b32_e32 v6, 23, v4
	v_cvt_f16_f32_e32 v6, v6
	v_cmp_ne_u32_e32 vcc, s16, v4
	s_mov_b64 s[16:17], -1
	v_cndmask_b32_e32 v6, v7, v6, vcc
	v_cmp_ne_u32_e32 vcc, 0, v4
	v_cndmask_b32_e32 v4, 0, v6, vcc
	s_branch .LBB22_1173
.LBB22_1172:
	s_mov_b64 s[0:1], -1
                                        ; implicit-def: $vgpr4
.LBB22_1173:
	s_mov_b64 s[18:19], 0
.LBB22_1174:
	s_and_b64 vcc, exec, s[18:19]
	s_cbranch_vccz .LBB22_1178
; %bb.1175:
	s_cmp_eq_u32 s22, 29
	s_cbranch_scc0 .LBB22_1177
; %bb.1176:
	global_load_dwordx2 v[6:7], v[0:1], off
	s_mov_b64 s[0:1], 0
	s_mov_b64 s[16:17], -1
	s_mov_b64 s[18:19], 0
	s_waitcnt vmcnt(0)
	v_ffbh_u32_e32 v4, v7
	v_min_u32_e32 v4, 32, v4
	v_lshlrev_b64 v[6:7], v4, v[6:7]
	v_sub_u32_e32 v4, 32, v4
	v_min_u32_e32 v6, 1, v6
	v_or_b32_e32 v6, v7, v6
	v_cvt_f32_u32_e32 v6, v6
	v_ldexp_f32 v4, v6, v4
	v_cvt_f16_f32_e32 v4, v4
	s_branch .LBB22_1179
.LBB22_1177:
	s_mov_b64 s[0:1], -1
                                        ; implicit-def: $vgpr4
.LBB22_1178:
	s_mov_b64 s[18:19], 0
.LBB22_1179:
	s_and_b64 vcc, exec, s[18:19]
	s_cbranch_vccz .LBB22_1197
; %bb.1180:
	s_cmp_lt_i32 s22, 27
	s_cbranch_scc1 .LBB22_1183
; %bb.1181:
	s_cmp_gt_i32 s22, 27
	s_cbranch_scc0 .LBB22_1184
; %bb.1182:
	global_load_dword v4, v[0:1], off
	s_mov_b64 s[16:17], 0
	s_waitcnt vmcnt(0)
	v_cvt_f32_u32_e32 v4, v4
	v_cvt_f16_f32_e32 v4, v4
	s_branch .LBB22_1185
.LBB22_1183:
	s_mov_b64 s[16:17], -1
                                        ; implicit-def: $vgpr4
	s_branch .LBB22_1188
.LBB22_1184:
	s_mov_b64 s[16:17], -1
                                        ; implicit-def: $vgpr4
.LBB22_1185:
	s_andn2_b64 vcc, exec, s[16:17]
	s_cbranch_vccnz .LBB22_1187
; %bb.1186:
	global_load_ushort v4, v[0:1], off
	s_waitcnt vmcnt(0)
	v_cvt_f16_u16_e32 v4, v4
.LBB22_1187:
	s_mov_b64 s[16:17], 0
.LBB22_1188:
	s_andn2_b64 vcc, exec, s[16:17]
	s_cbranch_vccnz .LBB22_1196
; %bb.1189:
	global_load_ubyte v6, v[0:1], off
	s_movk_i32 s16, 0x7f
	s_waitcnt vmcnt(0)
	v_cmp_lt_i16_e32 vcc, s16, v6
	s_mov_b64 s[16:17], 0
	s_and_saveexec_b64 s[18:19], vcc
	s_xor_b64 s[18:19], exec, s[18:19]
	s_cbranch_execz .LBB22_1209
; %bb.1190:
	s_movk_i32 s16, 0x80
	v_cmp_eq_u16_e32 vcc, s16, v6
	s_mov_b64 s[16:17], -1
	s_and_saveexec_b64 s[20:21], vcc
; %bb.1191:
	s_xor_b64 s[16:17], exec, -1
; %bb.1192:
	s_or_b64 exec, exec, s[20:21]
	s_and_b64 s[16:17], s[16:17], exec
	s_or_saveexec_b64 s[18:19], s[18:19]
	v_mov_b32_e32 v4, 0x7e00
	s_xor_b64 exec, exec, s[18:19]
	s_cbranch_execnz .LBB22_1210
.LBB22_1193:
	s_or_b64 exec, exec, s[18:19]
	s_and_saveexec_b64 s[18:19], s[16:17]
	s_cbranch_execz .LBB22_1195
.LBB22_1194:
	v_lshlrev_b32_e32 v4, 24, v6
	v_and_b32_e32 v6, 0xffff, v6
	v_and_b32_e32 v7, 7, v6
	v_ffbh_u32_e32 v9, v7
	v_min_u32_e32 v9, 32, v9
	v_subrev_u32_e32 v10, 28, v9
	v_bfe_u32 v8, v6, 3, 4
	v_lshlrev_b32_e32 v6, v10, v6
	v_sub_u32_e32 v9, 29, v9
	v_and_b32_e32 v6, 7, v6
	v_cmp_eq_u32_e32 vcc, 0, v8
	v_cndmask_b32_e32 v8, v8, v9, vcc
	v_cndmask_b32_e32 v6, v7, v6, vcc
	v_mov_b32_e32 v7, 0x3b800000
	v_lshlrev_b32_e32 v6, 20, v6
	v_and_b32_e32 v4, 0x80000000, v4
	v_lshl_add_u32 v7, v8, 23, v7
	v_or3_b32 v4, v4, v7, v6
	v_cvt_f16_f32_e32 v4, v4
.LBB22_1195:
	s_or_b64 exec, exec, s[18:19]
.LBB22_1196:
	s_mov_b64 s[16:17], -1
.LBB22_1197:
	s_branch .LBB22_1230
.LBB22_1198:
	s_cmp_gt_i32 s22, 22
	s_cbranch_scc0 .LBB22_1208
; %bb.1199:
	s_cmp_lt_i32 s22, 24
	s_cbranch_scc1 .LBB22_1211
; %bb.1200:
	s_cmp_gt_i32 s22, 24
	s_cbranch_scc0 .LBB22_1212
; %bb.1201:
	global_load_ubyte v6, v[0:1], off
	s_movk_i32 s4, 0x7f
	s_waitcnt vmcnt(0)
	v_cmp_lt_i16_e32 vcc, s4, v6
	s_mov_b64 s[4:5], 0
	s_and_saveexec_b64 s[16:17], vcc
	s_xor_b64 s[16:17], exec, s[16:17]
	s_cbranch_execz .LBB22_1224
; %bb.1202:
	s_movk_i32 s4, 0x80
	v_cmp_eq_u16_e32 vcc, s4, v6
	s_mov_b64 s[4:5], -1
	s_and_saveexec_b64 s[18:19], vcc
; %bb.1203:
	s_xor_b64 s[4:5], exec, -1
; %bb.1204:
	s_or_b64 exec, exec, s[18:19]
	s_and_b64 s[4:5], s[4:5], exec
	s_or_saveexec_b64 s[16:17], s[16:17]
	v_mov_b32_e32 v4, 0x7e00
	s_xor_b64 exec, exec, s[16:17]
	s_cbranch_execnz .LBB22_1225
.LBB22_1205:
	s_or_b64 exec, exec, s[16:17]
	s_and_saveexec_b64 s[16:17], s[4:5]
	s_cbranch_execz .LBB22_1207
.LBB22_1206:
	v_lshlrev_b32_e32 v4, 24, v6
	v_and_b32_e32 v6, 0xffff, v6
	v_and_b32_e32 v7, 3, v6
	v_ffbh_u32_e32 v9, v7
	v_min_u32_e32 v9, 32, v9
	v_subrev_u32_e32 v10, 29, v9
	v_bfe_u32 v8, v6, 2, 5
	v_lshlrev_b32_e32 v6, v10, v6
	v_sub_u32_e32 v9, 30, v9
	v_and_b32_e32 v6, 3, v6
	v_cmp_eq_u32_e32 vcc, 0, v8
	v_cndmask_b32_e32 v8, v8, v9, vcc
	v_cndmask_b32_e32 v6, v7, v6, vcc
	v_mov_b32_e32 v7, 0x37800000
	v_lshlrev_b32_e32 v6, 21, v6
	v_and_b32_e32 v4, 0x80000000, v4
	v_lshl_add_u32 v7, v8, 23, v7
	v_or3_b32 v4, v4, v7, v6
	v_cvt_f16_f32_e32 v4, v4
.LBB22_1207:
	s_or_b64 exec, exec, s[16:17]
	s_mov_b64 s[4:5], 0
	s_branch .LBB22_1213
.LBB22_1208:
	s_mov_b64 s[4:5], -1
                                        ; implicit-def: $vgpr4
	s_branch .LBB22_1219
.LBB22_1209:
	s_or_saveexec_b64 s[18:19], s[18:19]
	v_mov_b32_e32 v4, 0x7e00
	s_xor_b64 exec, exec, s[18:19]
	s_cbranch_execz .LBB22_1193
.LBB22_1210:
	v_cmp_ne_u16_e32 vcc, 0, v6
	s_andn2_b64 s[16:17], s[16:17], exec
	s_and_b64 s[20:21], vcc, exec
	s_or_b64 s[16:17], s[16:17], s[20:21]
	v_mov_b32_e32 v4, v6
	s_or_b64 exec, exec, s[18:19]
	s_and_saveexec_b64 s[18:19], s[16:17]
	s_cbranch_execnz .LBB22_1194
	s_branch .LBB22_1195
.LBB22_1211:
	s_mov_b64 s[4:5], -1
                                        ; implicit-def: $vgpr4
	s_branch .LBB22_1216
.LBB22_1212:
	s_mov_b64 s[4:5], -1
                                        ; implicit-def: $vgpr4
.LBB22_1213:
	s_and_b64 vcc, exec, s[4:5]
	s_cbranch_vccz .LBB22_1215
; %bb.1214:
	global_load_ubyte v4, v[0:1], off
	s_mov_b32 s4, 0x7f800000
	s_waitcnt vmcnt(0)
	v_lshlrev_b32_e32 v4, 24, v4
	v_and_b32_e32 v6, 0x7f000000, v4
	v_ffbh_u32_e32 v7, v6
	v_min_u32_e32 v7, 32, v7
	v_sub_u32_e64 v7, v7, 4 clamp
	v_lshlrev_b32_e32 v9, v7, v6
	v_lshlrev_b32_e32 v7, 23, v7
	v_lshrrev_b32_e32 v9, 4, v9
	v_add_u32_e32 v8, 0x1000000, v6
	v_sub_u32_e32 v7, v9, v7
	v_ashrrev_i32_e32 v8, 8, v8
	v_add_u32_e32 v7, 0x3c000000, v7
	v_and_or_b32 v7, v8, s4, v7
	v_cmp_ne_u32_e32 vcc, 0, v6
	v_cndmask_b32_e32 v6, 0, v7, vcc
	s_brev_b32 s4, 1
	v_and_or_b32 v4, v4, s4, v6
	v_cvt_f16_f32_e32 v4, v4
.LBB22_1215:
	s_mov_b64 s[4:5], 0
.LBB22_1216:
	s_andn2_b64 vcc, exec, s[4:5]
	s_cbranch_vccnz .LBB22_1218
; %bb.1217:
	global_load_ubyte v4, v[0:1], off
	s_movk_i32 s4, 0x7f00
	s_brev_b32 s5, 16
	s_waitcnt vmcnt(0)
	v_lshlrev_b16_e32 v6, 8, v4
	v_lshlrev_b32_e32 v4, 25, v4
	v_lshrrev_b32_e32 v7, 4, v4
	v_and_or_b32 v8, v6, s4, 0.5
	v_or_b32_e32 v7, 0x70000000, v7
	v_add_f32_e32 v8, -0.5, v8
	v_mul_f32_e32 v7, 0x7800000, v7
	v_cmp_gt_u32_e32 vcc, s5, v4
	v_bfe_i32 v6, v6, 0, 16
	v_cndmask_b32_e32 v4, v7, v8, vcc
	s_brev_b32 s4, 1
	v_and_or_b32 v4, v6, s4, v4
	v_cvt_f16_f32_e32 v4, v4
.LBB22_1218:
	s_mov_b64 s[4:5], 0
	s_mov_b64 s[16:17], -1
.LBB22_1219:
	s_andn2_b64 vcc, exec, s[4:5]
	s_mov_b64 s[4:5], 0
	s_cbranch_vccnz .LBB22_1230
; %bb.1220:
	s_cmp_gt_i32 s22, 14
	s_cbranch_scc0 .LBB22_1223
; %bb.1221:
	s_cmp_eq_u32 s22, 15
	s_cbranch_scc0 .LBB22_1226
; %bb.1222:
	global_load_ushort v4, v[0:1], off
	s_mov_b64 s[0:1], 0
	s_mov_b64 s[16:17], -1
	s_waitcnt vmcnt(0)
	v_lshlrev_b32_e32 v4, 16, v4
	v_cvt_f16_f32_e32 v4, v4
	s_branch .LBB22_1227
.LBB22_1223:
	s_mov_b64 s[18:19], -1
                                        ; implicit-def: $vgpr4
	s_branch .LBB22_1228
.LBB22_1224:
	s_or_saveexec_b64 s[16:17], s[16:17]
	v_mov_b32_e32 v4, 0x7e00
	s_xor_b64 exec, exec, s[16:17]
	s_cbranch_execz .LBB22_1205
.LBB22_1225:
	v_cmp_ne_u16_e32 vcc, 0, v6
	s_andn2_b64 s[4:5], s[4:5], exec
	s_and_b64 s[18:19], vcc, exec
	s_or_b64 s[4:5], s[4:5], s[18:19]
	v_mov_b32_e32 v4, v6
	s_or_b64 exec, exec, s[16:17]
	s_and_saveexec_b64 s[16:17], s[4:5]
	s_cbranch_execnz .LBB22_1206
	s_branch .LBB22_1207
.LBB22_1226:
	s_mov_b64 s[0:1], -1
                                        ; implicit-def: $vgpr4
.LBB22_1227:
	s_mov_b64 s[18:19], 0
.LBB22_1228:
	s_and_b64 vcc, exec, s[18:19]
	s_cbranch_vccz .LBB22_1230
; %bb.1229:
	s_cmp_lg_u32 s22, 11
	s_mov_b64 s[4:5], -1
	s_cselect_b64 s[0:1], -1, 0
.LBB22_1230:
	s_and_b64 vcc, exec, s[0:1]
	s_cbranch_vccnz .LBB22_1293
; %bb.1231:
	s_andn2_b64 vcc, exec, s[4:5]
	s_cbranch_vccnz .LBB22_1233
.LBB22_1232:
	global_load_ubyte v4, v[0:1], off
	v_mov_b32_e32 v6, 0x3c00
	s_mov_b64 s[16:17], -1
	s_waitcnt vmcnt(0)
	v_cmp_ne_u16_e32 vcc, 0, v4
	v_cndmask_b32_e32 v4, 0, v6, vcc
.LBB22_1233:
	s_branch .LBB22_1160
.LBB22_1234:
	s_cmp_lt_i32 s22, 5
	s_cbranch_scc1 .LBB22_1239
; %bb.1235:
	s_cmp_lt_i32 s22, 8
	s_cbranch_scc1 .LBB22_1240
; %bb.1236:
	;; [unrolled: 3-line block ×3, first 2 shown]
	s_cmp_gt_i32 s22, 9
	s_cbranch_scc0 .LBB22_1242
; %bb.1238:
	global_load_dwordx2 v[6:7], v[0:1], off
	s_movk_i32 s0, 0x1ff
	s_movk_i32 s1, 0xffe
	v_mov_b32_e32 v4, 0x7c00
	v_mov_b32_e32 v8, 0x7e00
	s_movk_i32 s4, 0x40f
	s_mov_b32 s5, 0x8000
	s_waitcnt vmcnt(0)
	v_and_or_b32 v6, v7, s0, v6
	v_cmp_ne_u32_e32 vcc, 0, v6
	v_lshrrev_b32_e32 v9, 8, v7
	v_bfe_u32 v10, v7, 20, 11
	v_cndmask_b32_e64 v6, 0, 1, vcc
	v_sub_u32_e32 v11, 0x3f1, v10
	v_and_or_b32 v6, v9, s1, v6
	v_add_u32_e32 v10, 0xfffffc10, v10
	v_med3_i32 v9, v11, 0, 13
	v_or_b32_e32 v11, 0x1000, v6
	v_cmp_ne_u32_e32 vcc, 0, v6
	v_lshl_or_b32 v12, v10, 12, v6
	v_cndmask_b32_e32 v6, v4, v8, vcc
	v_lshrrev_b32_e32 v8, v9, v11
	v_lshlrev_b32_e32 v9, v9, v8
	v_cmp_ne_u32_e32 vcc, v9, v11
	v_cndmask_b32_e64 v9, 0, 1, vcc
	v_or_b32_e32 v8, v8, v9
	v_cmp_gt_i32_e32 vcc, 1, v10
	v_cndmask_b32_e32 v8, v12, v8, vcc
	v_and_b32_e32 v9, 7, v8
	v_cmp_lt_i32_e32 vcc, 5, v9
	v_cndmask_b32_e64 v11, 0, 1, vcc
	v_cmp_eq_u32_e32 vcc, 3, v9
	v_cndmask_b32_e64 v9, 0, 1, vcc
	v_lshrrev_b32_e32 v8, 2, v8
	v_or_b32_e32 v9, v9, v11
	v_add_u32_e32 v8, v8, v9
	v_cmp_gt_i32_e32 vcc, 31, v10
	v_cndmask_b32_e32 v4, v4, v8, vcc
	v_cmp_eq_u32_e32 vcc, s4, v10
	v_lshrrev_b32_e32 v7, 16, v7
	v_cndmask_b32_e32 v4, v4, v6, vcc
	v_and_or_b32 v4, v7, s5, v4
	s_mov_b64 s[0:1], 0
	s_branch .LBB22_1243
.LBB22_1239:
                                        ; implicit-def: $vgpr4
	s_branch .LBB22_1261
.LBB22_1240:
	s_mov_b64 s[0:1], -1
                                        ; implicit-def: $vgpr4
	s_branch .LBB22_1249
.LBB22_1241:
	s_mov_b64 s[0:1], -1
                                        ; implicit-def: $vgpr4
	s_branch .LBB22_1246
.LBB22_1242:
	s_mov_b64 s[0:1], -1
                                        ; implicit-def: $vgpr4
.LBB22_1243:
	s_andn2_b64 vcc, exec, s[0:1]
	s_cbranch_vccnz .LBB22_1245
; %bb.1244:
	global_load_dword v4, v[0:1], off
	s_waitcnt vmcnt(0)
	v_cvt_f16_f32_e32 v4, v4
.LBB22_1245:
	s_mov_b64 s[0:1], 0
.LBB22_1246:
	s_andn2_b64 vcc, exec, s[0:1]
	s_cbranch_vccnz .LBB22_1248
; %bb.1247:
	global_load_dword v4, v[0:1], off
.LBB22_1248:
	s_mov_b64 s[0:1], 0
.LBB22_1249:
	s_andn2_b64 vcc, exec, s[0:1]
	s_cbranch_vccnz .LBB22_1260
; %bb.1250:
	s_cmp_lt_i32 s22, 6
	s_cbranch_scc1 .LBB22_1253
; %bb.1251:
	s_cmp_gt_i32 s22, 6
	s_cbranch_scc0 .LBB22_1254
; %bb.1252:
	global_load_dwordx2 v[6:7], v[0:1], off
	s_movk_i32 s0, 0x1ff
	s_movk_i32 s1, 0xffe
	s_waitcnt vmcnt(1)
	v_mov_b32_e32 v4, 0x7c00
	v_mov_b32_e32 v8, 0x7e00
	s_movk_i32 s4, 0x40f
	s_mov_b32 s5, 0x8000
	s_waitcnt vmcnt(0)
	v_and_or_b32 v6, v7, s0, v6
	v_cmp_ne_u32_e32 vcc, 0, v6
	v_lshrrev_b32_e32 v9, 8, v7
	v_bfe_u32 v10, v7, 20, 11
	v_cndmask_b32_e64 v6, 0, 1, vcc
	v_sub_u32_e32 v11, 0x3f1, v10
	v_and_or_b32 v6, v9, s1, v6
	v_add_u32_e32 v10, 0xfffffc10, v10
	v_med3_i32 v9, v11, 0, 13
	v_or_b32_e32 v11, 0x1000, v6
	v_cmp_ne_u32_e32 vcc, 0, v6
	v_lshl_or_b32 v12, v10, 12, v6
	v_cndmask_b32_e32 v6, v4, v8, vcc
	v_lshrrev_b32_e32 v8, v9, v11
	v_lshlrev_b32_e32 v9, v9, v8
	v_cmp_ne_u32_e32 vcc, v9, v11
	v_cndmask_b32_e64 v9, 0, 1, vcc
	v_or_b32_e32 v8, v8, v9
	v_cmp_gt_i32_e32 vcc, 1, v10
	v_cndmask_b32_e32 v8, v12, v8, vcc
	v_and_b32_e32 v9, 7, v8
	v_cmp_lt_i32_e32 vcc, 5, v9
	v_cndmask_b32_e64 v11, 0, 1, vcc
	v_cmp_eq_u32_e32 vcc, 3, v9
	v_cndmask_b32_e64 v9, 0, 1, vcc
	v_lshrrev_b32_e32 v8, 2, v8
	v_or_b32_e32 v9, v9, v11
	v_add_u32_e32 v8, v8, v9
	v_cmp_gt_i32_e32 vcc, 31, v10
	v_cndmask_b32_e32 v4, v4, v8, vcc
	v_cmp_eq_u32_e32 vcc, s4, v10
	v_lshrrev_b32_e32 v7, 16, v7
	v_cndmask_b32_e32 v4, v4, v6, vcc
	v_and_or_b32 v4, v7, s5, v4
	s_mov_b64 s[0:1], 0
	s_branch .LBB22_1255
.LBB22_1253:
	s_mov_b64 s[0:1], -1
                                        ; implicit-def: $vgpr4
	s_branch .LBB22_1258
.LBB22_1254:
	s_mov_b64 s[0:1], -1
                                        ; implicit-def: $vgpr4
.LBB22_1255:
	s_andn2_b64 vcc, exec, s[0:1]
	s_cbranch_vccnz .LBB22_1257
; %bb.1256:
	global_load_dword v4, v[0:1], off
	s_waitcnt vmcnt(0)
	v_cvt_f16_f32_e32 v4, v4
.LBB22_1257:
	s_mov_b64 s[0:1], 0
.LBB22_1258:
	s_andn2_b64 vcc, exec, s[0:1]
	s_cbranch_vccnz .LBB22_1260
; %bb.1259:
	global_load_ushort v4, v[0:1], off
.LBB22_1260:
	s_cbranch_execnz .LBB22_1280
.LBB22_1261:
	s_cmp_lt_i32 s22, 2
	s_cbranch_scc1 .LBB22_1265
; %bb.1262:
	s_cmp_lt_i32 s22, 3
	s_cbranch_scc1 .LBB22_1266
; %bb.1263:
	s_cmp_gt_i32 s22, 3
	s_cbranch_scc0 .LBB22_1267
; %bb.1264:
	global_load_dwordx2 v[6:7], v[0:1], off
	s_mov_b64 s[0:1], 0
	s_waitcnt vmcnt(0)
	v_xor_b32_e32 v8, v6, v7
	v_ffbh_i32_e32 v4, v7
	v_ashrrev_i32_e32 v8, 31, v8
	v_add_u32_e32 v4, -1, v4
	v_add_u32_e32 v8, 32, v8
	v_min_u32_e32 v4, v4, v8
	v_lshlrev_b64 v[6:7], v4, v[6:7]
	v_sub_u32_e32 v4, 32, v4
	v_min_u32_e32 v6, 1, v6
	v_or_b32_e32 v6, v7, v6
	v_cvt_f32_i32_e32 v6, v6
	v_ldexp_f32 v4, v6, v4
	v_cvt_f16_f32_e32 v4, v4
	s_branch .LBB22_1268
.LBB22_1265:
	s_mov_b64 s[0:1], -1
                                        ; implicit-def: $vgpr4
	s_branch .LBB22_1274
.LBB22_1266:
	s_mov_b64 s[0:1], -1
                                        ; implicit-def: $vgpr4
	s_branch .LBB22_1271
.LBB22_1267:
	s_mov_b64 s[0:1], -1
                                        ; implicit-def: $vgpr4
.LBB22_1268:
	s_andn2_b64 vcc, exec, s[0:1]
	s_cbranch_vccnz .LBB22_1270
; %bb.1269:
	global_load_dword v4, v[0:1], off
	s_waitcnt vmcnt(0)
	v_cvt_f32_i32_e32 v4, v4
	v_cvt_f16_f32_e32 v4, v4
.LBB22_1270:
	s_mov_b64 s[0:1], 0
.LBB22_1271:
	s_andn2_b64 vcc, exec, s[0:1]
	s_cbranch_vccnz .LBB22_1273
; %bb.1272:
	global_load_ushort v4, v[0:1], off
	s_waitcnt vmcnt(0)
	v_cvt_f16_i16_e32 v4, v4
.LBB22_1273:
	s_mov_b64 s[0:1], 0
.LBB22_1274:
	s_andn2_b64 vcc, exec, s[0:1]
	s_cbranch_vccnz .LBB22_1280
; %bb.1275:
	s_cmp_gt_i32 s22, 0
	s_cbranch_scc0 .LBB22_1277
; %bb.1276:
	global_load_sbyte v4, v[0:1], off
	s_mov_b64 s[0:1], 0
	s_waitcnt vmcnt(0)
	v_cvt_f16_i16_e32 v4, v4
	s_branch .LBB22_1278
.LBB22_1277:
	s_mov_b64 s[0:1], -1
                                        ; implicit-def: $vgpr4
.LBB22_1278:
	s_andn2_b64 vcc, exec, s[0:1]
	s_cbranch_vccnz .LBB22_1280
; %bb.1279:
	global_load_ubyte v0, v[0:1], off
	s_waitcnt vmcnt(0)
	v_cvt_f16_u16_e32 v4, v0
.LBB22_1280:
.LBB22_1281:
	v_add_u32_e32 v6, s3, v5
	v_ashrrev_i32_e32 v1, 31, v6
	v_mov_b32_e32 v5, s11
	v_add_co_u32_e32 v0, vcc, s10, v6
	s_cmp_lt_i32 s22, 11
	v_addc_co_u32_e32 v1, vcc, v5, v1, vcc
	s_cbranch_scc1 .LBB22_1288
; %bb.1282:
	s_cmp_gt_i32 s22, 25
	s_mov_b64 s[4:5], 0
	s_cbranch_scc0 .LBB22_1290
; %bb.1283:
	s_cmp_gt_i32 s22, 28
	s_cbranch_scc0 .LBB22_1291
; %bb.1284:
	s_cmp_gt_i32 s22, 43
	;; [unrolled: 3-line block ×3, first 2 shown]
	s_cbranch_scc0 .LBB22_1294
; %bb.1286:
	s_cmp_eq_u32 s22, 46
	s_mov_b64 s[18:19], 0
	s_cbranch_scc0 .LBB22_1295
; %bb.1287:
	global_load_dword v5, v[0:1], off
	s_mov_b64 s[0:1], 0
	s_mov_b64 s[16:17], -1
	s_waitcnt vmcnt(0)
	v_lshlrev_b32_e32 v5, 16, v5
	v_cvt_f16_f32_e32 v5, v5
	s_branch .LBB22_1296
.LBB22_1288:
	s_mov_b64 s[16:17], 0
                                        ; implicit-def: $vgpr5
	s_cbranch_execnz .LBB22_1362
.LBB22_1289:
	s_andn2_b64 vcc, exec, s[16:17]
	s_cbranch_vccnz .LBB22_1973
	s_branch .LBB22_1410
.LBB22_1290:
	s_mov_b64 s[18:19], -1
	s_mov_b64 s[16:17], 0
	s_mov_b64 s[0:1], 0
                                        ; implicit-def: $vgpr5
	s_branch .LBB22_1325
.LBB22_1291:
	s_mov_b64 s[18:19], -1
	s_mov_b64 s[16:17], 0
	s_mov_b64 s[0:1], 0
                                        ; implicit-def: $vgpr5
	s_branch .LBB22_1306
.LBB22_1292:
	s_mov_b64 s[18:19], -1
	s_mov_b64 s[16:17], 0
	s_mov_b64 s[0:1], 0
                                        ; implicit-def: $vgpr5
	s_branch .LBB22_1301
.LBB22_1293:
	s_trap 2
	s_or_b64 s[14:15], s[14:15], exec
	s_cbranch_execz .LBB22_1232
	s_branch .LBB22_1233
.LBB22_1294:
	s_mov_b64 s[18:19], -1
	s_mov_b64 s[16:17], 0
	s_mov_b64 s[0:1], 0
                                        ; implicit-def: $vgpr5
	s_branch .LBB22_1296
.LBB22_1295:
	s_mov_b64 s[0:1], -1
                                        ; implicit-def: $vgpr5
	s_mov_b64 s[16:17], 0
.LBB22_1296:
	s_and_b64 vcc, exec, s[18:19]
	s_cbranch_vccz .LBB22_1300
; %bb.1297:
	s_cmp_eq_u32 s22, 44
	s_cbranch_scc0 .LBB22_1299
; %bb.1298:
	global_load_ubyte v5, v[0:1], off
	s_movk_i32 s16, 0xff
	v_mov_b32_e32 v8, 0x7e00
	s_mov_b64 s[0:1], 0
	s_waitcnt vmcnt(0)
	v_lshlrev_b32_e32 v7, 23, v5
	v_cvt_f16_f32_e32 v7, v7
	v_cmp_ne_u32_e32 vcc, s16, v5
	s_mov_b64 s[16:17], -1
	v_cndmask_b32_e32 v7, v8, v7, vcc
	v_cmp_ne_u32_e32 vcc, 0, v5
	v_cndmask_b32_e32 v5, 0, v7, vcc
	s_branch .LBB22_1300
.LBB22_1299:
	s_mov_b64 s[0:1], -1
                                        ; implicit-def: $vgpr5
.LBB22_1300:
	s_mov_b64 s[18:19], 0
.LBB22_1301:
	s_and_b64 vcc, exec, s[18:19]
	s_cbranch_vccz .LBB22_1305
; %bb.1302:
	s_cmp_eq_u32 s22, 29
	s_cbranch_scc0 .LBB22_1304
; %bb.1303:
	global_load_dwordx2 v[7:8], v[0:1], off
	s_mov_b64 s[0:1], 0
	s_mov_b64 s[16:17], -1
	s_mov_b64 s[18:19], 0
	s_waitcnt vmcnt(0)
	v_ffbh_u32_e32 v5, v8
	v_min_u32_e32 v5, 32, v5
	v_lshlrev_b64 v[7:8], v5, v[7:8]
	v_sub_u32_e32 v5, 32, v5
	v_min_u32_e32 v7, 1, v7
	v_or_b32_e32 v7, v8, v7
	v_cvt_f32_u32_e32 v7, v7
	v_ldexp_f32 v5, v7, v5
	v_cvt_f16_f32_e32 v5, v5
	s_branch .LBB22_1306
.LBB22_1304:
	s_mov_b64 s[0:1], -1
                                        ; implicit-def: $vgpr5
.LBB22_1305:
	s_mov_b64 s[18:19], 0
.LBB22_1306:
	s_and_b64 vcc, exec, s[18:19]
	s_cbranch_vccz .LBB22_1324
; %bb.1307:
	s_cmp_lt_i32 s22, 27
	s_cbranch_scc1 .LBB22_1310
; %bb.1308:
	s_cmp_gt_i32 s22, 27
	s_cbranch_scc0 .LBB22_1311
; %bb.1309:
	global_load_dword v5, v[0:1], off
	s_mov_b64 s[16:17], 0
	s_waitcnt vmcnt(0)
	v_cvt_f32_u32_e32 v5, v5
	v_cvt_f16_f32_e32 v5, v5
	s_branch .LBB22_1312
.LBB22_1310:
	s_mov_b64 s[16:17], -1
                                        ; implicit-def: $vgpr5
	s_branch .LBB22_1315
.LBB22_1311:
	s_mov_b64 s[16:17], -1
                                        ; implicit-def: $vgpr5
.LBB22_1312:
	s_andn2_b64 vcc, exec, s[16:17]
	s_cbranch_vccnz .LBB22_1314
; %bb.1313:
	global_load_ushort v5, v[0:1], off
	s_waitcnt vmcnt(0)
	v_cvt_f16_u16_e32 v5, v5
.LBB22_1314:
	s_mov_b64 s[16:17], 0
.LBB22_1315:
	s_andn2_b64 vcc, exec, s[16:17]
	s_cbranch_vccnz .LBB22_1323
; %bb.1316:
	global_load_ubyte v7, v[0:1], off
	s_movk_i32 s16, 0x7f
	s_waitcnt vmcnt(0)
	v_cmp_lt_i16_e32 vcc, s16, v7
	s_mov_b64 s[16:17], 0
	s_and_saveexec_b64 s[18:19], vcc
	s_xor_b64 s[18:19], exec, s[18:19]
	s_cbranch_execz .LBB22_1337
; %bb.1317:
	s_movk_i32 s16, 0x80
	v_cmp_eq_u16_e32 vcc, s16, v7
	s_mov_b64 s[16:17], -1
	s_and_saveexec_b64 s[20:21], vcc
; %bb.1318:
	s_xor_b64 s[16:17], exec, -1
; %bb.1319:
	s_or_b64 exec, exec, s[20:21]
	s_and_b64 s[16:17], s[16:17], exec
	s_or_saveexec_b64 s[18:19], s[18:19]
	v_mov_b32_e32 v5, 0x7e00
	s_xor_b64 exec, exec, s[18:19]
	s_cbranch_execnz .LBB22_1338
.LBB22_1320:
	s_or_b64 exec, exec, s[18:19]
	s_and_saveexec_b64 s[18:19], s[16:17]
	s_cbranch_execz .LBB22_1322
.LBB22_1321:
	v_lshlrev_b32_e32 v5, 24, v7
	v_and_b32_e32 v7, 0xffff, v7
	v_and_b32_e32 v8, 7, v7
	v_ffbh_u32_e32 v10, v8
	v_min_u32_e32 v10, 32, v10
	v_subrev_u32_e32 v11, 28, v10
	v_bfe_u32 v9, v7, 3, 4
	v_lshlrev_b32_e32 v7, v11, v7
	v_sub_u32_e32 v10, 29, v10
	v_and_b32_e32 v7, 7, v7
	v_cmp_eq_u32_e32 vcc, 0, v9
	v_cndmask_b32_e32 v9, v9, v10, vcc
	v_cndmask_b32_e32 v7, v8, v7, vcc
	v_mov_b32_e32 v8, 0x3b800000
	v_lshlrev_b32_e32 v7, 20, v7
	v_and_b32_e32 v5, 0x80000000, v5
	v_lshl_add_u32 v8, v9, 23, v8
	v_or3_b32 v5, v5, v8, v7
	v_cvt_f16_f32_e32 v5, v5
.LBB22_1322:
	s_or_b64 exec, exec, s[18:19]
.LBB22_1323:
	s_mov_b64 s[16:17], -1
.LBB22_1324:
	s_mov_b64 s[18:19], 0
.LBB22_1325:
	s_and_b64 vcc, exec, s[18:19]
	s_cbranch_vccz .LBB22_1358
; %bb.1326:
	s_cmp_gt_i32 s22, 22
	s_cbranch_scc0 .LBB22_1336
; %bb.1327:
	s_cmp_lt_i32 s22, 24
	s_cbranch_scc1 .LBB22_1339
; %bb.1328:
	s_cmp_gt_i32 s22, 24
	s_cbranch_scc0 .LBB22_1340
; %bb.1329:
	global_load_ubyte v7, v[0:1], off
	s_movk_i32 s4, 0x7f
	s_waitcnt vmcnt(0)
	v_cmp_lt_i16_e32 vcc, s4, v7
	s_mov_b64 s[4:5], 0
	s_and_saveexec_b64 s[16:17], vcc
	s_xor_b64 s[16:17], exec, s[16:17]
	s_cbranch_execz .LBB22_1352
; %bb.1330:
	s_movk_i32 s4, 0x80
	v_cmp_eq_u16_e32 vcc, s4, v7
	s_mov_b64 s[4:5], -1
	s_and_saveexec_b64 s[18:19], vcc
; %bb.1331:
	s_xor_b64 s[4:5], exec, -1
; %bb.1332:
	s_or_b64 exec, exec, s[18:19]
	s_and_b64 s[4:5], s[4:5], exec
	s_or_saveexec_b64 s[16:17], s[16:17]
	v_mov_b32_e32 v5, 0x7e00
	s_xor_b64 exec, exec, s[16:17]
	s_cbranch_execnz .LBB22_1353
.LBB22_1333:
	s_or_b64 exec, exec, s[16:17]
	s_and_saveexec_b64 s[16:17], s[4:5]
	s_cbranch_execz .LBB22_1335
.LBB22_1334:
	v_lshlrev_b32_e32 v5, 24, v7
	v_and_b32_e32 v7, 0xffff, v7
	v_and_b32_e32 v8, 3, v7
	v_ffbh_u32_e32 v10, v8
	v_min_u32_e32 v10, 32, v10
	v_subrev_u32_e32 v11, 29, v10
	v_bfe_u32 v9, v7, 2, 5
	v_lshlrev_b32_e32 v7, v11, v7
	v_sub_u32_e32 v10, 30, v10
	v_and_b32_e32 v7, 3, v7
	v_cmp_eq_u32_e32 vcc, 0, v9
	v_cndmask_b32_e32 v9, v9, v10, vcc
	v_cndmask_b32_e32 v7, v8, v7, vcc
	v_mov_b32_e32 v8, 0x37800000
	v_lshlrev_b32_e32 v7, 21, v7
	v_and_b32_e32 v5, 0x80000000, v5
	v_lshl_add_u32 v8, v9, 23, v8
	v_or3_b32 v5, v5, v8, v7
	v_cvt_f16_f32_e32 v5, v5
.LBB22_1335:
	s_or_b64 exec, exec, s[16:17]
	s_mov_b64 s[4:5], 0
	s_branch .LBB22_1341
.LBB22_1336:
	s_mov_b64 s[4:5], -1
                                        ; implicit-def: $vgpr5
	s_branch .LBB22_1347
.LBB22_1337:
	s_or_saveexec_b64 s[18:19], s[18:19]
	v_mov_b32_e32 v5, 0x7e00
	s_xor_b64 exec, exec, s[18:19]
	s_cbranch_execz .LBB22_1320
.LBB22_1338:
	v_cmp_ne_u16_e32 vcc, 0, v7
	s_andn2_b64 s[16:17], s[16:17], exec
	s_and_b64 s[20:21], vcc, exec
	s_or_b64 s[16:17], s[16:17], s[20:21]
	v_mov_b32_e32 v5, v7
	s_or_b64 exec, exec, s[18:19]
	s_and_saveexec_b64 s[18:19], s[16:17]
	s_cbranch_execnz .LBB22_1321
	s_branch .LBB22_1322
.LBB22_1339:
	s_mov_b64 s[4:5], -1
                                        ; implicit-def: $vgpr5
	s_branch .LBB22_1344
.LBB22_1340:
	s_mov_b64 s[4:5], -1
                                        ; implicit-def: $vgpr5
.LBB22_1341:
	s_and_b64 vcc, exec, s[4:5]
	s_cbranch_vccz .LBB22_1343
; %bb.1342:
	global_load_ubyte v5, v[0:1], off
	s_mov_b32 s4, 0x7f800000
	s_waitcnt vmcnt(0)
	v_lshlrev_b32_e32 v5, 24, v5
	v_and_b32_e32 v7, 0x7f000000, v5
	v_ffbh_u32_e32 v8, v7
	v_min_u32_e32 v8, 32, v8
	v_sub_u32_e64 v8, v8, 4 clamp
	v_lshlrev_b32_e32 v10, v8, v7
	v_lshlrev_b32_e32 v8, 23, v8
	v_lshrrev_b32_e32 v10, 4, v10
	v_add_u32_e32 v9, 0x1000000, v7
	v_sub_u32_e32 v8, v10, v8
	v_ashrrev_i32_e32 v9, 8, v9
	v_add_u32_e32 v8, 0x3c000000, v8
	v_and_or_b32 v8, v9, s4, v8
	v_cmp_ne_u32_e32 vcc, 0, v7
	v_cndmask_b32_e32 v7, 0, v8, vcc
	s_brev_b32 s4, 1
	v_and_or_b32 v5, v5, s4, v7
	v_cvt_f16_f32_e32 v5, v5
.LBB22_1343:
	s_mov_b64 s[4:5], 0
.LBB22_1344:
	s_andn2_b64 vcc, exec, s[4:5]
	s_cbranch_vccnz .LBB22_1346
; %bb.1345:
	global_load_ubyte v5, v[0:1], off
	s_movk_i32 s4, 0x7f00
	s_brev_b32 s5, 16
	s_waitcnt vmcnt(0)
	v_lshlrev_b16_e32 v7, 8, v5
	v_lshlrev_b32_e32 v5, 25, v5
	v_lshrrev_b32_e32 v8, 4, v5
	v_and_or_b32 v9, v7, s4, 0.5
	v_or_b32_e32 v8, 0x70000000, v8
	v_add_f32_e32 v9, -0.5, v9
	v_mul_f32_e32 v8, 0x7800000, v8
	v_cmp_gt_u32_e32 vcc, s5, v5
	v_bfe_i32 v7, v7, 0, 16
	v_cndmask_b32_e32 v5, v8, v9, vcc
	s_brev_b32 s4, 1
	v_and_or_b32 v5, v7, s4, v5
	v_cvt_f16_f32_e32 v5, v5
.LBB22_1346:
	s_mov_b64 s[4:5], 0
	s_mov_b64 s[16:17], -1
.LBB22_1347:
	s_andn2_b64 vcc, exec, s[4:5]
	s_mov_b64 s[4:5], 0
	s_cbranch_vccnz .LBB22_1358
; %bb.1348:
	s_cmp_gt_i32 s22, 14
	s_cbranch_scc0 .LBB22_1351
; %bb.1349:
	s_cmp_eq_u32 s22, 15
	s_cbranch_scc0 .LBB22_1354
; %bb.1350:
	global_load_ushort v5, v[0:1], off
	s_mov_b64 s[0:1], 0
	s_mov_b64 s[16:17], -1
	s_waitcnt vmcnt(0)
	v_lshlrev_b32_e32 v5, 16, v5
	v_cvt_f16_f32_e32 v5, v5
	s_branch .LBB22_1355
.LBB22_1351:
	s_mov_b64 s[18:19], -1
                                        ; implicit-def: $vgpr5
	s_branch .LBB22_1356
.LBB22_1352:
	s_or_saveexec_b64 s[16:17], s[16:17]
	v_mov_b32_e32 v5, 0x7e00
	s_xor_b64 exec, exec, s[16:17]
	s_cbranch_execz .LBB22_1333
.LBB22_1353:
	v_cmp_ne_u16_e32 vcc, 0, v7
	s_andn2_b64 s[4:5], s[4:5], exec
	s_and_b64 s[18:19], vcc, exec
	s_or_b64 s[4:5], s[4:5], s[18:19]
	v_mov_b32_e32 v5, v7
	s_or_b64 exec, exec, s[16:17]
	s_and_saveexec_b64 s[16:17], s[4:5]
	s_cbranch_execnz .LBB22_1334
	s_branch .LBB22_1335
.LBB22_1354:
	s_mov_b64 s[0:1], -1
                                        ; implicit-def: $vgpr5
.LBB22_1355:
	s_mov_b64 s[18:19], 0
.LBB22_1356:
	s_and_b64 vcc, exec, s[18:19]
	s_cbranch_vccz .LBB22_1358
; %bb.1357:
	s_cmp_lg_u32 s22, 11
	s_mov_b64 s[4:5], -1
	s_cselect_b64 s[0:1], -1, 0
.LBB22_1358:
	s_and_b64 vcc, exec, s[0:1]
	s_cbranch_vccnz .LBB22_1421
; %bb.1359:
	s_andn2_b64 vcc, exec, s[4:5]
	s_cbranch_vccnz .LBB22_1361
.LBB22_1360:
	global_load_ubyte v5, v[0:1], off
	v_mov_b32_e32 v7, 0x3c00
	s_mov_b64 s[16:17], -1
	s_waitcnt vmcnt(0)
	v_cmp_ne_u16_e32 vcc, 0, v5
	v_cndmask_b32_e32 v5, 0, v7, vcc
.LBB22_1361:
	s_branch .LBB22_1289
.LBB22_1362:
	s_cmp_lt_i32 s22, 5
	s_cbranch_scc1 .LBB22_1367
; %bb.1363:
	s_cmp_lt_i32 s22, 8
	s_cbranch_scc1 .LBB22_1368
; %bb.1364:
	s_cmp_lt_i32 s22, 9
	s_cbranch_scc1 .LBB22_1369
; %bb.1365:
	s_cmp_gt_i32 s22, 9
	s_cbranch_scc0 .LBB22_1370
; %bb.1366:
	global_load_dwordx2 v[7:8], v[0:1], off
	s_movk_i32 s0, 0x1ff
	s_movk_i32 s1, 0xffe
	v_mov_b32_e32 v5, 0x7c00
	v_mov_b32_e32 v9, 0x7e00
	s_movk_i32 s4, 0x40f
	s_mov_b32 s5, 0x8000
	s_waitcnt vmcnt(0)
	v_and_or_b32 v7, v8, s0, v7
	v_cmp_ne_u32_e32 vcc, 0, v7
	v_lshrrev_b32_e32 v10, 8, v8
	v_bfe_u32 v11, v8, 20, 11
	v_cndmask_b32_e64 v7, 0, 1, vcc
	v_sub_u32_e32 v12, 0x3f1, v11
	v_and_or_b32 v7, v10, s1, v7
	v_add_u32_e32 v11, 0xfffffc10, v11
	v_med3_i32 v10, v12, 0, 13
	v_or_b32_e32 v12, 0x1000, v7
	v_cmp_ne_u32_e32 vcc, 0, v7
	v_lshl_or_b32 v13, v11, 12, v7
	v_cndmask_b32_e32 v7, v5, v9, vcc
	v_lshrrev_b32_e32 v9, v10, v12
	v_lshlrev_b32_e32 v10, v10, v9
	v_cmp_ne_u32_e32 vcc, v10, v12
	v_cndmask_b32_e64 v10, 0, 1, vcc
	v_or_b32_e32 v9, v9, v10
	v_cmp_gt_i32_e32 vcc, 1, v11
	v_cndmask_b32_e32 v9, v13, v9, vcc
	v_and_b32_e32 v10, 7, v9
	v_cmp_lt_i32_e32 vcc, 5, v10
	v_cndmask_b32_e64 v12, 0, 1, vcc
	v_cmp_eq_u32_e32 vcc, 3, v10
	v_cndmask_b32_e64 v10, 0, 1, vcc
	v_lshrrev_b32_e32 v9, 2, v9
	v_or_b32_e32 v10, v10, v12
	v_add_u32_e32 v9, v9, v10
	v_cmp_gt_i32_e32 vcc, 31, v11
	v_cndmask_b32_e32 v5, v5, v9, vcc
	v_cmp_eq_u32_e32 vcc, s4, v11
	v_lshrrev_b32_e32 v8, 16, v8
	v_cndmask_b32_e32 v5, v5, v7, vcc
	v_and_or_b32 v5, v8, s5, v5
	s_mov_b64 s[0:1], 0
	s_branch .LBB22_1371
.LBB22_1367:
	s_mov_b64 s[0:1], -1
                                        ; implicit-def: $vgpr5
	s_branch .LBB22_1389
.LBB22_1368:
	s_mov_b64 s[0:1], -1
                                        ; implicit-def: $vgpr5
	s_branch .LBB22_1377
.LBB22_1369:
	s_mov_b64 s[0:1], -1
                                        ; implicit-def: $vgpr5
	s_branch .LBB22_1374
.LBB22_1370:
	s_mov_b64 s[0:1], -1
                                        ; implicit-def: $vgpr5
.LBB22_1371:
	s_andn2_b64 vcc, exec, s[0:1]
	s_cbranch_vccnz .LBB22_1373
; %bb.1372:
	global_load_dword v5, v[0:1], off
	s_waitcnt vmcnt(0)
	v_cvt_f16_f32_e32 v5, v5
.LBB22_1373:
	s_mov_b64 s[0:1], 0
.LBB22_1374:
	s_andn2_b64 vcc, exec, s[0:1]
	s_cbranch_vccnz .LBB22_1376
; %bb.1375:
	global_load_dword v5, v[0:1], off
.LBB22_1376:
	s_mov_b64 s[0:1], 0
.LBB22_1377:
	s_andn2_b64 vcc, exec, s[0:1]
	s_cbranch_vccnz .LBB22_1388
; %bb.1378:
	s_cmp_lt_i32 s22, 6
	s_cbranch_scc1 .LBB22_1381
; %bb.1379:
	s_cmp_gt_i32 s22, 6
	s_cbranch_scc0 .LBB22_1382
; %bb.1380:
	global_load_dwordx2 v[7:8], v[0:1], off
	s_movk_i32 s0, 0x1ff
	s_movk_i32 s1, 0xffe
	s_waitcnt vmcnt(1)
	v_mov_b32_e32 v5, 0x7c00
	v_mov_b32_e32 v9, 0x7e00
	s_movk_i32 s4, 0x40f
	s_mov_b32 s5, 0x8000
	s_waitcnt vmcnt(0)
	v_and_or_b32 v7, v8, s0, v7
	v_cmp_ne_u32_e32 vcc, 0, v7
	v_lshrrev_b32_e32 v10, 8, v8
	v_bfe_u32 v11, v8, 20, 11
	v_cndmask_b32_e64 v7, 0, 1, vcc
	v_sub_u32_e32 v12, 0x3f1, v11
	v_and_or_b32 v7, v10, s1, v7
	v_add_u32_e32 v11, 0xfffffc10, v11
	v_med3_i32 v10, v12, 0, 13
	v_or_b32_e32 v12, 0x1000, v7
	v_cmp_ne_u32_e32 vcc, 0, v7
	v_lshl_or_b32 v13, v11, 12, v7
	v_cndmask_b32_e32 v7, v5, v9, vcc
	v_lshrrev_b32_e32 v9, v10, v12
	v_lshlrev_b32_e32 v10, v10, v9
	v_cmp_ne_u32_e32 vcc, v10, v12
	v_cndmask_b32_e64 v10, 0, 1, vcc
	v_or_b32_e32 v9, v9, v10
	v_cmp_gt_i32_e32 vcc, 1, v11
	v_cndmask_b32_e32 v9, v13, v9, vcc
	v_and_b32_e32 v10, 7, v9
	v_cmp_lt_i32_e32 vcc, 5, v10
	v_cndmask_b32_e64 v12, 0, 1, vcc
	v_cmp_eq_u32_e32 vcc, 3, v10
	v_cndmask_b32_e64 v10, 0, 1, vcc
	v_lshrrev_b32_e32 v9, 2, v9
	v_or_b32_e32 v10, v10, v12
	v_add_u32_e32 v9, v9, v10
	v_cmp_gt_i32_e32 vcc, 31, v11
	v_cndmask_b32_e32 v5, v5, v9, vcc
	v_cmp_eq_u32_e32 vcc, s4, v11
	v_lshrrev_b32_e32 v8, 16, v8
	v_cndmask_b32_e32 v5, v5, v7, vcc
	v_and_or_b32 v5, v8, s5, v5
	s_mov_b64 s[0:1], 0
	s_branch .LBB22_1383
.LBB22_1381:
	s_mov_b64 s[0:1], -1
                                        ; implicit-def: $vgpr5
	s_branch .LBB22_1386
.LBB22_1382:
	s_mov_b64 s[0:1], -1
                                        ; implicit-def: $vgpr5
.LBB22_1383:
	s_andn2_b64 vcc, exec, s[0:1]
	s_cbranch_vccnz .LBB22_1385
; %bb.1384:
	global_load_dword v5, v[0:1], off
	s_waitcnt vmcnt(0)
	v_cvt_f16_f32_e32 v5, v5
.LBB22_1385:
	s_mov_b64 s[0:1], 0
.LBB22_1386:
	s_andn2_b64 vcc, exec, s[0:1]
	s_cbranch_vccnz .LBB22_1388
; %bb.1387:
	global_load_ushort v5, v[0:1], off
.LBB22_1388:
	s_mov_b64 s[0:1], 0
.LBB22_1389:
	s_andn2_b64 vcc, exec, s[0:1]
	s_cbranch_vccnz .LBB22_1409
; %bb.1390:
	s_cmp_lt_i32 s22, 2
	s_cbranch_scc1 .LBB22_1394
; %bb.1391:
	s_cmp_lt_i32 s22, 3
	s_cbranch_scc1 .LBB22_1395
; %bb.1392:
	s_cmp_gt_i32 s22, 3
	s_cbranch_scc0 .LBB22_1396
; %bb.1393:
	global_load_dwordx2 v[7:8], v[0:1], off
	s_mov_b64 s[0:1], 0
	s_waitcnt vmcnt(0)
	v_xor_b32_e32 v9, v7, v8
	v_ffbh_i32_e32 v5, v8
	v_ashrrev_i32_e32 v9, 31, v9
	v_add_u32_e32 v5, -1, v5
	v_add_u32_e32 v9, 32, v9
	v_min_u32_e32 v5, v5, v9
	v_lshlrev_b64 v[7:8], v5, v[7:8]
	v_sub_u32_e32 v5, 32, v5
	v_min_u32_e32 v7, 1, v7
	v_or_b32_e32 v7, v8, v7
	v_cvt_f32_i32_e32 v7, v7
	v_ldexp_f32 v5, v7, v5
	v_cvt_f16_f32_e32 v5, v5
	s_branch .LBB22_1397
.LBB22_1394:
	s_mov_b64 s[0:1], -1
                                        ; implicit-def: $vgpr5
	s_branch .LBB22_1403
.LBB22_1395:
	s_mov_b64 s[0:1], -1
                                        ; implicit-def: $vgpr5
	s_branch .LBB22_1400
.LBB22_1396:
	s_mov_b64 s[0:1], -1
                                        ; implicit-def: $vgpr5
.LBB22_1397:
	s_andn2_b64 vcc, exec, s[0:1]
	s_cbranch_vccnz .LBB22_1399
; %bb.1398:
	global_load_dword v5, v[0:1], off
	s_waitcnt vmcnt(0)
	v_cvt_f32_i32_e32 v5, v5
	v_cvt_f16_f32_e32 v5, v5
.LBB22_1399:
	s_mov_b64 s[0:1], 0
.LBB22_1400:
	s_andn2_b64 vcc, exec, s[0:1]
	s_cbranch_vccnz .LBB22_1402
; %bb.1401:
	global_load_ushort v5, v[0:1], off
	s_waitcnt vmcnt(0)
	v_cvt_f16_i16_e32 v5, v5
.LBB22_1402:
	s_mov_b64 s[0:1], 0
.LBB22_1403:
	s_andn2_b64 vcc, exec, s[0:1]
	s_cbranch_vccnz .LBB22_1409
; %bb.1404:
	s_cmp_gt_i32 s22, 0
	s_cbranch_scc0 .LBB22_1406
; %bb.1405:
	global_load_sbyte v5, v[0:1], off
	s_mov_b64 s[0:1], 0
	s_waitcnt vmcnt(0)
	v_cvt_f16_i16_e32 v5, v5
	s_branch .LBB22_1407
.LBB22_1406:
	s_mov_b64 s[0:1], -1
                                        ; implicit-def: $vgpr5
.LBB22_1407:
	s_andn2_b64 vcc, exec, s[0:1]
	s_cbranch_vccnz .LBB22_1409
; %bb.1408:
	global_load_ubyte v0, v[0:1], off
	s_waitcnt vmcnt(0)
	v_cvt_f16_u16_e32 v5, v0
.LBB22_1409:
.LBB22_1410:
	v_add_u32_e32 v0, s3, v6
	v_ashrrev_i32_e32 v1, 31, v0
	v_mov_b32_e32 v6, s11
	v_add_co_u32_e32 v0, vcc, s10, v0
	s_cmp_lt_i32 s22, 11
	v_addc_co_u32_e32 v1, vcc, v6, v1, vcc
	s_cbranch_scc1 .LBB22_1417
; %bb.1411:
	s_cmp_gt_i32 s22, 25
	s_mov_b64 s[4:5], 0
	s_cbranch_scc0 .LBB22_1418
; %bb.1412:
	s_cmp_gt_i32 s22, 28
	s_cbranch_scc0 .LBB22_1419
; %bb.1413:
	s_cmp_gt_i32 s22, 43
	;; [unrolled: 3-line block ×3, first 2 shown]
	s_cbranch_scc0 .LBB22_1422
; %bb.1415:
	s_cmp_eq_u32 s22, 46
	s_mov_b64 s[16:17], 0
	s_cbranch_scc0 .LBB22_1423
; %bb.1416:
	global_load_dword v6, v[0:1], off
	s_mov_b64 s[0:1], 0
	s_mov_b64 s[10:11], -1
	s_waitcnt vmcnt(0)
	v_lshlrev_b32_e32 v6, 16, v6
	v_cvt_f16_f32_e32 v6, v6
	s_branch .LBB22_1424
.LBB22_1417:
	s_mov_b64 s[0:1], -1
	s_mov_b64 s[10:11], 0
                                        ; implicit-def: $vgpr6
	s_branch .LBB22_1490
.LBB22_1418:
	s_mov_b64 s[16:17], -1
	s_mov_b64 s[10:11], 0
	s_mov_b64 s[0:1], 0
                                        ; implicit-def: $vgpr6
	s_branch .LBB22_1453
.LBB22_1419:
	s_mov_b64 s[16:17], -1
	s_mov_b64 s[10:11], 0
	s_mov_b64 s[0:1], 0
                                        ; implicit-def: $vgpr6
	s_branch .LBB22_1434
.LBB22_1420:
	s_mov_b64 s[16:17], -1
	s_mov_b64 s[10:11], 0
	s_mov_b64 s[0:1], 0
                                        ; implicit-def: $vgpr6
	s_branch .LBB22_1429
.LBB22_1421:
	s_trap 2
	s_or_b64 s[14:15], s[14:15], exec
	s_cbranch_execz .LBB22_1360
	s_branch .LBB22_1361
.LBB22_1422:
	s_mov_b64 s[16:17], -1
	s_mov_b64 s[10:11], 0
	s_mov_b64 s[0:1], 0
                                        ; implicit-def: $vgpr6
	s_branch .LBB22_1424
.LBB22_1423:
	s_mov_b64 s[0:1], -1
                                        ; implicit-def: $vgpr6
	s_mov_b64 s[10:11], 0
.LBB22_1424:
	s_and_b64 vcc, exec, s[16:17]
	s_cbranch_vccz .LBB22_1428
; %bb.1425:
	s_cmp_eq_u32 s22, 44
	s_cbranch_scc0 .LBB22_1427
; %bb.1426:
	global_load_ubyte v6, v[0:1], off
	s_movk_i32 s3, 0xff
	v_mov_b32_e32 v8, 0x7e00
	s_mov_b64 s[0:1], 0
	s_mov_b64 s[10:11], -1
	s_waitcnt vmcnt(0)
	v_lshlrev_b32_e32 v7, 23, v6
	v_cvt_f16_f32_e32 v7, v7
	v_cmp_ne_u32_e32 vcc, s3, v6
	v_cndmask_b32_e32 v7, v8, v7, vcc
	v_cmp_ne_u32_e32 vcc, 0, v6
	v_cndmask_b32_e32 v6, 0, v7, vcc
	s_branch .LBB22_1428
.LBB22_1427:
	s_mov_b64 s[0:1], -1
                                        ; implicit-def: $vgpr6
.LBB22_1428:
	s_mov_b64 s[16:17], 0
.LBB22_1429:
	s_and_b64 vcc, exec, s[16:17]
	s_cbranch_vccz .LBB22_1433
; %bb.1430:
	s_cmp_eq_u32 s22, 29
	s_cbranch_scc0 .LBB22_1432
; %bb.1431:
	global_load_dwordx2 v[6:7], v[0:1], off
	s_mov_b64 s[0:1], 0
	s_mov_b64 s[10:11], -1
	s_mov_b64 s[16:17], 0
	s_waitcnt vmcnt(0)
	v_ffbh_u32_e32 v8, v7
	v_min_u32_e32 v8, 32, v8
	v_lshlrev_b64 v[6:7], v8, v[6:7]
	v_min_u32_e32 v6, 1, v6
	v_or_b32_e32 v6, v7, v6
	v_cvt_f32_u32_e32 v6, v6
	v_sub_u32_e32 v7, 32, v8
	v_ldexp_f32 v6, v6, v7
	v_cvt_f16_f32_e32 v6, v6
	s_branch .LBB22_1434
.LBB22_1432:
	s_mov_b64 s[0:1], -1
                                        ; implicit-def: $vgpr6
.LBB22_1433:
	s_mov_b64 s[16:17], 0
.LBB22_1434:
	s_and_b64 vcc, exec, s[16:17]
	s_cbranch_vccz .LBB22_1452
; %bb.1435:
	s_cmp_lt_i32 s22, 27
	s_cbranch_scc1 .LBB22_1438
; %bb.1436:
	s_cmp_gt_i32 s22, 27
	s_cbranch_scc0 .LBB22_1439
; %bb.1437:
	global_load_dword v6, v[0:1], off
	s_mov_b64 s[10:11], 0
	s_waitcnt vmcnt(0)
	v_cvt_f32_u32_e32 v6, v6
	v_cvt_f16_f32_e32 v6, v6
	s_branch .LBB22_1440
.LBB22_1438:
	s_mov_b64 s[10:11], -1
                                        ; implicit-def: $vgpr6
	s_branch .LBB22_1443
.LBB22_1439:
	s_mov_b64 s[10:11], -1
                                        ; implicit-def: $vgpr6
.LBB22_1440:
	s_andn2_b64 vcc, exec, s[10:11]
	s_cbranch_vccnz .LBB22_1442
; %bb.1441:
	global_load_ushort v6, v[0:1], off
	s_waitcnt vmcnt(0)
	v_cvt_f16_u16_e32 v6, v6
.LBB22_1442:
	s_mov_b64 s[10:11], 0
.LBB22_1443:
	s_andn2_b64 vcc, exec, s[10:11]
	s_cbranch_vccnz .LBB22_1451
; %bb.1444:
	global_load_ubyte v7, v[0:1], off
	s_movk_i32 s3, 0x7f
	s_mov_b64 s[10:11], 0
	s_waitcnt vmcnt(0)
	v_cmp_lt_i16_e32 vcc, s3, v7
	s_and_saveexec_b64 s[16:17], vcc
	s_xor_b64 s[16:17], exec, s[16:17]
	s_cbranch_execz .LBB22_1465
; %bb.1445:
	s_movk_i32 s3, 0x80
	v_cmp_eq_u16_e32 vcc, s3, v7
	s_mov_b64 s[10:11], -1
	s_and_saveexec_b64 s[18:19], vcc
; %bb.1446:
	s_xor_b64 s[10:11], exec, -1
; %bb.1447:
	s_or_b64 exec, exec, s[18:19]
	s_and_b64 s[10:11], s[10:11], exec
	s_or_saveexec_b64 s[16:17], s[16:17]
	v_mov_b32_e32 v6, 0x7e00
	s_xor_b64 exec, exec, s[16:17]
	s_cbranch_execnz .LBB22_1466
.LBB22_1448:
	s_or_b64 exec, exec, s[16:17]
	s_and_saveexec_b64 s[16:17], s[10:11]
	s_cbranch_execz .LBB22_1450
.LBB22_1449:
	v_lshlrev_b32_e32 v6, 24, v7
	v_and_b32_e32 v7, 0xffff, v7
	v_and_b32_e32 v8, 7, v7
	v_ffbh_u32_e32 v10, v8
	v_min_u32_e32 v10, 32, v10
	v_subrev_u32_e32 v11, 28, v10
	v_bfe_u32 v9, v7, 3, 4
	v_lshlrev_b32_e32 v7, v11, v7
	v_sub_u32_e32 v10, 29, v10
	v_and_b32_e32 v7, 7, v7
	v_cmp_eq_u32_e32 vcc, 0, v9
	v_cndmask_b32_e32 v9, v9, v10, vcc
	v_cndmask_b32_e32 v7, v8, v7, vcc
	v_mov_b32_e32 v8, 0x3b800000
	v_lshlrev_b32_e32 v7, 20, v7
	v_and_b32_e32 v6, 0x80000000, v6
	v_lshl_add_u32 v8, v9, 23, v8
	v_or3_b32 v6, v6, v8, v7
	v_cvt_f16_f32_e32 v6, v6
.LBB22_1450:
	s_or_b64 exec, exec, s[16:17]
.LBB22_1451:
	s_mov_b64 s[10:11], -1
.LBB22_1452:
	s_mov_b64 s[16:17], 0
.LBB22_1453:
	s_and_b64 vcc, exec, s[16:17]
	s_cbranch_vccz .LBB22_1486
; %bb.1454:
	s_cmp_gt_i32 s22, 22
	s_cbranch_scc0 .LBB22_1464
; %bb.1455:
	s_cmp_lt_i32 s22, 24
	s_cbranch_scc1 .LBB22_1467
; %bb.1456:
	s_cmp_gt_i32 s22, 24
	s_cbranch_scc0 .LBB22_1468
; %bb.1457:
	global_load_ubyte v7, v[0:1], off
	s_movk_i32 s3, 0x7f
	s_waitcnt vmcnt(0)
	v_cmp_lt_i16_e32 vcc, s3, v7
	s_and_saveexec_b64 s[10:11], vcc
	s_xor_b64 s[10:11], exec, s[10:11]
	s_cbranch_execz .LBB22_1480
; %bb.1458:
	s_movk_i32 s3, 0x80
	v_cmp_eq_u16_e32 vcc, s3, v7
	s_mov_b64 s[4:5], -1
	s_and_saveexec_b64 s[16:17], vcc
; %bb.1459:
	s_xor_b64 s[4:5], exec, -1
; %bb.1460:
	s_or_b64 exec, exec, s[16:17]
	s_and_b64 s[4:5], s[4:5], exec
	s_or_saveexec_b64 s[10:11], s[10:11]
	v_mov_b32_e32 v6, 0x7e00
	s_xor_b64 exec, exec, s[10:11]
	s_cbranch_execnz .LBB22_1481
.LBB22_1461:
	s_or_b64 exec, exec, s[10:11]
	s_and_saveexec_b64 s[10:11], s[4:5]
	s_cbranch_execz .LBB22_1463
.LBB22_1462:
	v_lshlrev_b32_e32 v6, 24, v7
	v_and_b32_e32 v7, 0xffff, v7
	v_and_b32_e32 v8, 3, v7
	v_ffbh_u32_e32 v10, v8
	v_min_u32_e32 v10, 32, v10
	v_subrev_u32_e32 v11, 29, v10
	v_bfe_u32 v9, v7, 2, 5
	v_lshlrev_b32_e32 v7, v11, v7
	v_sub_u32_e32 v10, 30, v10
	v_and_b32_e32 v7, 3, v7
	v_cmp_eq_u32_e32 vcc, 0, v9
	v_cndmask_b32_e32 v9, v9, v10, vcc
	v_cndmask_b32_e32 v7, v8, v7, vcc
	v_mov_b32_e32 v8, 0x37800000
	v_lshlrev_b32_e32 v7, 21, v7
	v_and_b32_e32 v6, 0x80000000, v6
	v_lshl_add_u32 v8, v9, 23, v8
	v_or3_b32 v6, v6, v8, v7
	v_cvt_f16_f32_e32 v6, v6
.LBB22_1463:
	s_or_b64 exec, exec, s[10:11]
	s_mov_b64 s[4:5], 0
	s_branch .LBB22_1469
.LBB22_1464:
	s_mov_b64 s[4:5], -1
                                        ; implicit-def: $vgpr6
	s_branch .LBB22_1475
.LBB22_1465:
	s_or_saveexec_b64 s[16:17], s[16:17]
	v_mov_b32_e32 v6, 0x7e00
	s_xor_b64 exec, exec, s[16:17]
	s_cbranch_execz .LBB22_1448
.LBB22_1466:
	v_cmp_ne_u16_e32 vcc, 0, v7
	s_andn2_b64 s[10:11], s[10:11], exec
	s_and_b64 s[18:19], vcc, exec
	s_or_b64 s[10:11], s[10:11], s[18:19]
	v_mov_b32_e32 v6, v7
	s_or_b64 exec, exec, s[16:17]
	s_and_saveexec_b64 s[16:17], s[10:11]
	s_cbranch_execnz .LBB22_1449
	s_branch .LBB22_1450
.LBB22_1467:
	s_mov_b64 s[4:5], -1
                                        ; implicit-def: $vgpr6
	s_branch .LBB22_1472
.LBB22_1468:
	s_mov_b64 s[4:5], -1
                                        ; implicit-def: $vgpr6
.LBB22_1469:
	s_and_b64 vcc, exec, s[4:5]
	s_cbranch_vccz .LBB22_1471
; %bb.1470:
	global_load_ubyte v6, v[0:1], off
	s_mov_b32 s3, 0x7f800000
	s_waitcnt vmcnt(0)
	v_lshlrev_b32_e32 v6, 24, v6
	v_and_b32_e32 v7, 0x7f000000, v6
	v_ffbh_u32_e32 v8, v7
	v_min_u32_e32 v8, 32, v8
	v_sub_u32_e64 v8, v8, 4 clamp
	v_lshlrev_b32_e32 v10, v8, v7
	v_lshlrev_b32_e32 v8, 23, v8
	v_lshrrev_b32_e32 v10, 4, v10
	v_add_u32_e32 v9, 0x1000000, v7
	v_sub_u32_e32 v8, v10, v8
	v_ashrrev_i32_e32 v9, 8, v9
	v_add_u32_e32 v8, 0x3c000000, v8
	v_and_or_b32 v8, v9, s3, v8
	v_cmp_ne_u32_e32 vcc, 0, v7
	v_cndmask_b32_e32 v7, 0, v8, vcc
	s_brev_b32 s3, 1
	v_and_or_b32 v6, v6, s3, v7
	v_cvt_f16_f32_e32 v6, v6
.LBB22_1471:
	s_mov_b64 s[4:5], 0
.LBB22_1472:
	s_andn2_b64 vcc, exec, s[4:5]
	s_cbranch_vccnz .LBB22_1474
; %bb.1473:
	global_load_ubyte v6, v[0:1], off
	s_movk_i32 s3, 0x7f00
	s_brev_b32 s4, 16
	s_waitcnt vmcnt(0)
	v_lshlrev_b16_e32 v7, 8, v6
	v_lshlrev_b32_e32 v6, 25, v6
	v_lshrrev_b32_e32 v8, 4, v6
	v_and_or_b32 v9, v7, s3, 0.5
	v_or_b32_e32 v8, 0x70000000, v8
	v_add_f32_e32 v9, -0.5, v9
	v_mul_f32_e32 v8, 0x7800000, v8
	v_cmp_gt_u32_e32 vcc, s4, v6
	v_bfe_i32 v7, v7, 0, 16
	v_cndmask_b32_e32 v6, v8, v9, vcc
	s_brev_b32 s3, 1
	v_and_or_b32 v6, v7, s3, v6
	v_cvt_f16_f32_e32 v6, v6
.LBB22_1474:
	s_mov_b64 s[4:5], 0
	s_mov_b64 s[10:11], -1
.LBB22_1475:
	s_andn2_b64 vcc, exec, s[4:5]
	s_mov_b64 s[4:5], 0
	s_cbranch_vccnz .LBB22_1486
; %bb.1476:
	s_cmp_gt_i32 s22, 14
	s_cbranch_scc0 .LBB22_1479
; %bb.1477:
	s_cmp_eq_u32 s22, 15
	s_cbranch_scc0 .LBB22_1482
; %bb.1478:
	global_load_ushort v6, v[0:1], off
	s_mov_b64 s[0:1], 0
	s_mov_b64 s[10:11], -1
	s_waitcnt vmcnt(0)
	v_lshlrev_b32_e32 v6, 16, v6
	v_cvt_f16_f32_e32 v6, v6
	s_branch .LBB22_1483
.LBB22_1479:
	s_mov_b64 s[16:17], -1
                                        ; implicit-def: $vgpr6
	s_branch .LBB22_1484
.LBB22_1480:
	s_or_saveexec_b64 s[10:11], s[10:11]
	v_mov_b32_e32 v6, 0x7e00
	s_xor_b64 exec, exec, s[10:11]
	s_cbranch_execz .LBB22_1461
.LBB22_1481:
	v_cmp_ne_u16_e32 vcc, 0, v7
	s_andn2_b64 s[4:5], s[4:5], exec
	s_and_b64 s[16:17], vcc, exec
	s_or_b64 s[4:5], s[4:5], s[16:17]
	v_mov_b32_e32 v6, v7
	s_or_b64 exec, exec, s[10:11]
	s_and_saveexec_b64 s[10:11], s[4:5]
	s_cbranch_execnz .LBB22_1462
	s_branch .LBB22_1463
.LBB22_1482:
	s_mov_b64 s[0:1], -1
                                        ; implicit-def: $vgpr6
.LBB22_1483:
	s_mov_b64 s[16:17], 0
.LBB22_1484:
	s_and_b64 vcc, exec, s[16:17]
	s_cbranch_vccz .LBB22_1486
; %bb.1485:
	s_cmp_lg_u32 s22, 11
	s_mov_b64 s[4:5], -1
	s_cselect_b64 s[0:1], -1, 0
.LBB22_1486:
	s_and_b64 vcc, exec, s[0:1]
	s_cbranch_vccnz .LBB22_2019
; %bb.1487:
	s_andn2_b64 vcc, exec, s[4:5]
	s_cbranch_vccnz .LBB22_1489
.LBB22_1488:
	global_load_ubyte v6, v[0:1], off
	v_mov_b32_e32 v7, 0x3c00
	s_mov_b64 s[10:11], -1
	s_waitcnt vmcnt(0)
	v_cmp_ne_u16_e32 vcc, 0, v6
	v_cndmask_b32_e32 v6, 0, v7, vcc
.LBB22_1489:
	s_mov_b64 s[0:1], 0
.LBB22_1490:
	s_and_b64 vcc, exec, s[0:1]
	s_cbranch_vccz .LBB22_1539
; %bb.1491:
	s_cmp_lt_i32 s22, 5
	s_cbranch_scc1 .LBB22_1496
; %bb.1492:
	s_cmp_lt_i32 s22, 8
	s_cbranch_scc1 .LBB22_1497
	;; [unrolled: 3-line block ×3, first 2 shown]
; %bb.1494:
	s_cmp_gt_i32 s22, 9
	s_cbranch_scc0 .LBB22_1499
; %bb.1495:
	global_load_dwordx2 v[6:7], v[0:1], off
	s_movk_i32 s0, 0x1ff
	s_movk_i32 s1, 0xffe
	v_mov_b32_e32 v8, 0x7c00
	v_mov_b32_e32 v9, 0x7e00
	s_movk_i32 s3, 0x40f
	s_mov_b32 s4, 0x8000
	s_waitcnt vmcnt(0)
	v_and_or_b32 v6, v7, s0, v6
	v_cmp_ne_u32_e32 vcc, 0, v6
	v_lshrrev_b32_e32 v10, 8, v7
	v_bfe_u32 v11, v7, 20, 11
	v_cndmask_b32_e64 v6, 0, 1, vcc
	v_sub_u32_e32 v12, 0x3f1, v11
	v_and_or_b32 v6, v10, s1, v6
	v_add_u32_e32 v11, 0xfffffc10, v11
	v_med3_i32 v10, v12, 0, 13
	v_or_b32_e32 v12, 0x1000, v6
	v_cmp_ne_u32_e32 vcc, 0, v6
	v_lshl_or_b32 v13, v11, 12, v6
	v_cndmask_b32_e32 v6, v8, v9, vcc
	v_lshrrev_b32_e32 v9, v10, v12
	v_lshlrev_b32_e32 v10, v10, v9
	v_cmp_ne_u32_e32 vcc, v10, v12
	v_cndmask_b32_e64 v10, 0, 1, vcc
	v_or_b32_e32 v9, v9, v10
	v_cmp_gt_i32_e32 vcc, 1, v11
	v_cndmask_b32_e32 v9, v13, v9, vcc
	v_and_b32_e32 v10, 7, v9
	v_cmp_lt_i32_e32 vcc, 5, v10
	v_cndmask_b32_e64 v12, 0, 1, vcc
	v_cmp_eq_u32_e32 vcc, 3, v10
	v_cndmask_b32_e64 v10, 0, 1, vcc
	v_lshrrev_b32_e32 v9, 2, v9
	v_or_b32_e32 v10, v10, v12
	v_add_u32_e32 v9, v9, v10
	v_cmp_gt_i32_e32 vcc, 31, v11
	v_cndmask_b32_e32 v8, v8, v9, vcc
	v_cmp_eq_u32_e32 vcc, s3, v11
	v_lshrrev_b32_e32 v7, 16, v7
	v_cndmask_b32_e32 v6, v8, v6, vcc
	v_and_or_b32 v6, v7, s4, v6
	s_mov_b64 s[0:1], 0
	s_branch .LBB22_1500
.LBB22_1496:
	s_mov_b64 s[0:1], -1
                                        ; implicit-def: $vgpr6
	s_branch .LBB22_1518
.LBB22_1497:
	s_mov_b64 s[0:1], -1
                                        ; implicit-def: $vgpr6
	s_branch .LBB22_1506
.LBB22_1498:
	s_mov_b64 s[0:1], -1
                                        ; implicit-def: $vgpr6
	s_branch .LBB22_1503
.LBB22_1499:
	s_mov_b64 s[0:1], -1
                                        ; implicit-def: $vgpr6
.LBB22_1500:
	s_andn2_b64 vcc, exec, s[0:1]
	s_cbranch_vccnz .LBB22_1502
; %bb.1501:
	global_load_dword v6, v[0:1], off
	s_waitcnt vmcnt(0)
	v_cvt_f16_f32_e32 v6, v6
.LBB22_1502:
	s_mov_b64 s[0:1], 0
.LBB22_1503:
	s_andn2_b64 vcc, exec, s[0:1]
	s_cbranch_vccnz .LBB22_1505
; %bb.1504:
	global_load_dword v6, v[0:1], off
.LBB22_1505:
	s_mov_b64 s[0:1], 0
.LBB22_1506:
	s_andn2_b64 vcc, exec, s[0:1]
	s_cbranch_vccnz .LBB22_1517
; %bb.1507:
	s_cmp_lt_i32 s22, 6
	s_cbranch_scc1 .LBB22_1510
; %bb.1508:
	s_cmp_gt_i32 s22, 6
	s_cbranch_scc0 .LBB22_1511
; %bb.1509:
	global_load_dwordx2 v[6:7], v[0:1], off
	s_movk_i32 s0, 0x1ff
	s_movk_i32 s1, 0xffe
	v_mov_b32_e32 v8, 0x7c00
	v_mov_b32_e32 v9, 0x7e00
	s_movk_i32 s3, 0x40f
	s_mov_b32 s4, 0x8000
	s_waitcnt vmcnt(0)
	v_and_or_b32 v6, v7, s0, v6
	v_cmp_ne_u32_e32 vcc, 0, v6
	v_lshrrev_b32_e32 v10, 8, v7
	v_bfe_u32 v11, v7, 20, 11
	v_cndmask_b32_e64 v6, 0, 1, vcc
	v_sub_u32_e32 v12, 0x3f1, v11
	v_and_or_b32 v6, v10, s1, v6
	v_add_u32_e32 v11, 0xfffffc10, v11
	v_med3_i32 v10, v12, 0, 13
	v_or_b32_e32 v12, 0x1000, v6
	v_cmp_ne_u32_e32 vcc, 0, v6
	v_lshl_or_b32 v13, v11, 12, v6
	v_cndmask_b32_e32 v6, v8, v9, vcc
	v_lshrrev_b32_e32 v9, v10, v12
	v_lshlrev_b32_e32 v10, v10, v9
	v_cmp_ne_u32_e32 vcc, v10, v12
	v_cndmask_b32_e64 v10, 0, 1, vcc
	v_or_b32_e32 v9, v9, v10
	v_cmp_gt_i32_e32 vcc, 1, v11
	v_cndmask_b32_e32 v9, v13, v9, vcc
	v_and_b32_e32 v10, 7, v9
	v_cmp_lt_i32_e32 vcc, 5, v10
	v_cndmask_b32_e64 v12, 0, 1, vcc
	v_cmp_eq_u32_e32 vcc, 3, v10
	v_cndmask_b32_e64 v10, 0, 1, vcc
	v_lshrrev_b32_e32 v9, 2, v9
	v_or_b32_e32 v10, v10, v12
	v_add_u32_e32 v9, v9, v10
	v_cmp_gt_i32_e32 vcc, 31, v11
	v_cndmask_b32_e32 v8, v8, v9, vcc
	v_cmp_eq_u32_e32 vcc, s3, v11
	v_lshrrev_b32_e32 v7, 16, v7
	v_cndmask_b32_e32 v6, v8, v6, vcc
	v_and_or_b32 v6, v7, s4, v6
	s_mov_b64 s[0:1], 0
	s_branch .LBB22_1512
.LBB22_1510:
	s_mov_b64 s[0:1], -1
                                        ; implicit-def: $vgpr6
	s_branch .LBB22_1515
.LBB22_1511:
	s_mov_b64 s[0:1], -1
                                        ; implicit-def: $vgpr6
.LBB22_1512:
	s_andn2_b64 vcc, exec, s[0:1]
	s_cbranch_vccnz .LBB22_1514
; %bb.1513:
	global_load_dword v6, v[0:1], off
	s_waitcnt vmcnt(0)
	v_cvt_f16_f32_e32 v6, v6
.LBB22_1514:
	s_mov_b64 s[0:1], 0
.LBB22_1515:
	s_andn2_b64 vcc, exec, s[0:1]
	s_cbranch_vccnz .LBB22_1517
; %bb.1516:
	global_load_ushort v6, v[0:1], off
.LBB22_1517:
	s_mov_b64 s[0:1], 0
.LBB22_1518:
	s_andn2_b64 vcc, exec, s[0:1]
	s_cbranch_vccnz .LBB22_1538
; %bb.1519:
	s_cmp_lt_i32 s22, 2
	s_cbranch_scc1 .LBB22_1523
; %bb.1520:
	s_cmp_lt_i32 s22, 3
	s_cbranch_scc1 .LBB22_1524
; %bb.1521:
	s_cmp_gt_i32 s22, 3
	s_cbranch_scc0 .LBB22_1525
; %bb.1522:
	global_load_dwordx2 v[6:7], v[0:1], off
	s_mov_b64 s[0:1], 0
	s_waitcnt vmcnt(0)
	v_xor_b32_e32 v9, v6, v7
	v_ffbh_i32_e32 v8, v7
	v_ashrrev_i32_e32 v9, 31, v9
	v_add_u32_e32 v8, -1, v8
	v_add_u32_e32 v9, 32, v9
	v_min_u32_e32 v8, v8, v9
	v_lshlrev_b64 v[6:7], v8, v[6:7]
	v_min_u32_e32 v6, 1, v6
	v_or_b32_e32 v6, v7, v6
	v_cvt_f32_i32_e32 v6, v6
	v_sub_u32_e32 v7, 32, v8
	v_ldexp_f32 v6, v6, v7
	v_cvt_f16_f32_e32 v6, v6
	s_branch .LBB22_1526
.LBB22_1523:
	s_mov_b64 s[0:1], -1
                                        ; implicit-def: $vgpr6
	s_branch .LBB22_1532
.LBB22_1524:
	s_mov_b64 s[0:1], -1
                                        ; implicit-def: $vgpr6
	s_branch .LBB22_1529
.LBB22_1525:
	s_mov_b64 s[0:1], -1
                                        ; implicit-def: $vgpr6
.LBB22_1526:
	s_andn2_b64 vcc, exec, s[0:1]
	s_cbranch_vccnz .LBB22_1528
; %bb.1527:
	global_load_dword v6, v[0:1], off
	s_waitcnt vmcnt(0)
	v_cvt_f32_i32_e32 v6, v6
	v_cvt_f16_f32_e32 v6, v6
.LBB22_1528:
	s_mov_b64 s[0:1], 0
.LBB22_1529:
	s_andn2_b64 vcc, exec, s[0:1]
	s_cbranch_vccnz .LBB22_1531
; %bb.1530:
	global_load_ushort v6, v[0:1], off
	s_waitcnt vmcnt(0)
	v_cvt_f16_i16_e32 v6, v6
.LBB22_1531:
	s_mov_b64 s[0:1], 0
.LBB22_1532:
	s_andn2_b64 vcc, exec, s[0:1]
	s_cbranch_vccnz .LBB22_1538
; %bb.1533:
	s_cmp_gt_i32 s22, 0
	s_cbranch_scc0 .LBB22_1535
; %bb.1534:
	global_load_sbyte v6, v[0:1], off
	s_mov_b64 s[0:1], 0
	s_waitcnt vmcnt(0)
	v_cvt_f16_i16_e32 v6, v6
	s_branch .LBB22_1536
.LBB22_1535:
	s_mov_b64 s[0:1], -1
                                        ; implicit-def: $vgpr6
.LBB22_1536:
	s_andn2_b64 vcc, exec, s[0:1]
	s_cbranch_vccnz .LBB22_1538
; %bb.1537:
	global_load_ubyte v0, v[0:1], off
	s_waitcnt vmcnt(0)
	v_cvt_f16_u16_e32 v6, v0
.LBB22_1538:
	s_mov_b64 s[10:11], -1
.LBB22_1539:
	s_andn2_b64 vcc, exec, s[10:11]
	s_cbranch_vccnz .LBB22_1973
; %bb.1540:
	v_mul_lo_u32 v2, s2, v2
	s_waitcnt vmcnt(0)
	v_cmp_nge_f16_e64 s[0:1], v3, -s33
	v_cmp_nge_f16_e32 vcc, s33, v3
	s_or_b64 vcc, s[0:1], vcc
	v_cndmask_b32_e32 v3, 0, v3, vcc
	v_ashrrev_i32_e32 v1, 31, v2
	v_mov_b32_e32 v7, s9
	s_and_b32 s20, s42, 0xff
	v_add_co_u32_e32 v0, vcc, s8, v2
	s_cmp_lt_i32 s20, 11
	v_addc_co_u32_e32 v1, vcc, v7, v1, vcc
	s_cbranch_scc1 .LBB22_1618
; %bb.1541:
	s_and_b32 s3, 0xffff, s20
	s_mov_b64 s[16:17], -1
	s_mov_b64 s[4:5], 0
	s_cmp_gt_i32 s3, 25
	s_mov_b64 s[10:11], 0
	s_mov_b64 s[0:1], 0
	s_cbranch_scc0 .LBB22_1574
; %bb.1542:
	s_cmp_gt_i32 s3, 28
	s_cbranch_scc0 .LBB22_1557
; %bb.1543:
	s_cmp_gt_i32 s3, 43
	;; [unrolled: 3-line block ×3, first 2 shown]
	s_cbranch_scc0 .LBB22_1547
; %bb.1545:
	s_mov_b64 s[0:1], -1
	s_mov_b64 s[16:17], 0
	s_cmp_eq_u32 s3, 46
	s_cbranch_scc0 .LBB22_1547
; %bb.1546:
	v_cvt_f32_f16_e32 v7, v3
	s_movk_i32 s0, 0x7fff
	v_cmp_o_f16_e32 vcc, v3, v3
	v_mov_b32_e32 v8, 0x7fc0
	v_bfe_u32 v9, v7, 16, 1
	v_add3_u32 v7, v7, v9, s0
	v_cndmask_b32_sdwa v7, v8, v7, vcc dst_sel:DWORD dst_unused:UNUSED_PAD src0_sel:DWORD src1_sel:WORD_1
	global_store_dword v[0:1], v7, off
	s_mov_b64 s[0:1], 0
	s_mov_b64 s[10:11], -1
.LBB22_1547:
	s_and_b64 vcc, exec, s[16:17]
	s_cbranch_vccz .LBB22_1552
; %bb.1548:
	s_cmp_eq_u32 s3, 44
	s_mov_b64 s[0:1], -1
	s_cbranch_scc0 .LBB22_1552
; %bb.1549:
	v_cvt_f32_f16_e32 v7, v3
	s_movk_i32 s0, 0xff
	v_mov_b32_e32 v9, 0xff
	v_bfe_u32 v8, v7, 23, 8
	v_cmp_ne_u32_e32 vcc, s0, v8
	s_and_saveexec_b64 s[10:11], vcc
; %bb.1550:
	s_mov_b32 s0, 0x3fffff
	v_lshrrev_b32_e32 v9, 23, v7
	v_and_b32_e32 v10, 0x400000, v7
	v_and_or_b32 v7, v7, s0, v8
	v_cmp_ne_u32_e32 vcc, 0, v10
	v_cmp_ne_u32_e64 s[0:1], 0, v7
	s_and_b64 s[0:1], vcc, s[0:1]
	v_cndmask_b32_e64 v7, 0, 1, s[0:1]
	v_add_u32_e32 v9, v9, v7
; %bb.1551:
	s_or_b64 exec, exec, s[10:11]
	s_mov_b64 s[0:1], 0
	s_mov_b64 s[10:11], -1
	global_store_byte v[0:1], v9, off
.LBB22_1552:
	s_mov_b64 s[16:17], 0
.LBB22_1553:
	s_and_b64 vcc, exec, s[16:17]
	s_cbranch_vccz .LBB22_1556
; %bb.1554:
	s_cmp_eq_u32 s3, 29
	s_mov_b64 s[0:1], -1
	s_cbranch_scc0 .LBB22_1556
; %bb.1555:
	v_cvt_f32_f16_e32 v7, v3
	v_mov_b32_e32 v8, 0
	s_mov_b64 s[0:1], 0
	s_mov_b64 s[10:11], -1
	v_cvt_u32_f32_e32 v7, v7
	global_store_dwordx2 v[0:1], v[7:8], off
.LBB22_1556:
	s_mov_b64 s[16:17], 0
.LBB22_1557:
	s_and_b64 vcc, exec, s[16:17]
	s_cbranch_vccz .LBB22_1573
; %bb.1558:
	s_cmp_lt_i32 s3, 27
	s_mov_b64 s[10:11], -1
	s_cbranch_scc1 .LBB22_1564
; %bb.1559:
	s_cmp_gt_i32 s3, 27
	s_cbranch_scc0 .LBB22_1561
; %bb.1560:
	v_cvt_f32_f16_e32 v7, v3
	s_mov_b64 s[10:11], 0
	v_cvt_u32_f32_e32 v7, v7
	global_store_dword v[0:1], v7, off
.LBB22_1561:
	s_andn2_b64 vcc, exec, s[10:11]
	s_cbranch_vccnz .LBB22_1563
; %bb.1562:
	v_cvt_u16_f16_e32 v7, v3
	global_store_short v[0:1], v7, off
.LBB22_1563:
	s_mov_b64 s[10:11], 0
.LBB22_1564:
	s_andn2_b64 vcc, exec, s[10:11]
	s_cbranch_vccnz .LBB22_1572
; %bb.1565:
	v_cvt_f32_f16_e32 v7, v3
	s_mov_b32 s10, 0x43800000
	v_mov_b32_e32 v9, 0x80
	v_and_b32_e32 v8, 0x7fffffff, v7
	v_cmp_gt_u32_e32 vcc, s10, v8
	s_and_saveexec_b64 s[10:11], vcc
	s_cbranch_execz .LBB22_1571
; %bb.1566:
	s_mov_b32 s16, 0x3bffffff
	v_cmp_lt_u32_e32 vcc, s16, v8
	s_mov_b64 s[16:17], 0
                                        ; implicit-def: $vgpr8
	s_and_saveexec_b64 s[18:19], vcc
	s_xor_b64 s[18:19], exec, s[18:19]
	s_cbranch_execz .LBB22_2020
; %bb.1567:
	v_bfe_u32 v8, v7, 20, 1
	s_mov_b32 s21, 0x487ffff
	v_add3_u32 v8, v7, v8, s21
	s_mov_b64 s[16:17], exec
	v_lshrrev_b32_e32 v8, 20, v8
	s_andn2_saveexec_b64 s[18:19], s[18:19]
	s_cbranch_execnz .LBB22_2021
.LBB22_1568:
	s_or_b64 exec, exec, s[18:19]
	v_mov_b32_e32 v9, 0
	s_and_saveexec_b64 s[18:19], s[16:17]
.LBB22_1569:
	v_lshrrev_b32_e32 v7, 24, v7
	s_movk_i32 s16, 0x80
	v_and_or_b32 v9, v7, s16, v8
.LBB22_1570:
	s_or_b64 exec, exec, s[18:19]
.LBB22_1571:
	s_or_b64 exec, exec, s[10:11]
	global_store_byte v[0:1], v9, off
.LBB22_1572:
	s_mov_b64 s[10:11], -1
.LBB22_1573:
	s_mov_b64 s[16:17], 0
.LBB22_1574:
	s_and_b64 vcc, exec, s[16:17]
	s_cbranch_vccz .LBB22_1614
; %bb.1575:
	s_cmp_gt_i32 s3, 22
	s_mov_b64 s[4:5], -1
	s_cbranch_scc0 .LBB22_1607
; %bb.1576:
	s_cmp_lt_i32 s3, 24
	s_cbranch_scc1 .LBB22_1596
; %bb.1577:
	s_cmp_gt_i32 s3, 24
	s_cbranch_scc0 .LBB22_1585
; %bb.1578:
	v_cvt_f32_f16_e32 v7, v3
	s_mov_b32 s4, 0x47800000
	v_mov_b32_e32 v9, 0x80
	v_and_b32_e32 v8, 0x7fffffff, v7
	v_cmp_gt_u32_e32 vcc, s4, v8
	s_and_saveexec_b64 s[4:5], vcc
	s_cbranch_execz .LBB22_1584
; %bb.1579:
	s_mov_b32 s10, 0x37ffffff
	v_cmp_lt_u32_e32 vcc, s10, v8
	s_mov_b64 s[10:11], 0
                                        ; implicit-def: $vgpr8
	s_and_saveexec_b64 s[16:17], vcc
	s_xor_b64 s[16:17], exec, s[16:17]
	s_cbranch_execz .LBB22_2023
; %bb.1580:
	v_bfe_u32 v8, v7, 21, 1
	s_mov_b32 s18, 0x88fffff
	v_add3_u32 v8, v7, v8, s18
	s_mov_b64 s[10:11], exec
	v_lshrrev_b32_e32 v8, 21, v8
	s_andn2_saveexec_b64 s[16:17], s[16:17]
	s_cbranch_execnz .LBB22_2024
.LBB22_1581:
	s_or_b64 exec, exec, s[16:17]
	v_mov_b32_e32 v9, 0
	s_and_saveexec_b64 s[16:17], s[10:11]
.LBB22_1582:
	v_lshrrev_b32_e32 v7, 24, v7
	s_movk_i32 s10, 0x80
	v_and_or_b32 v9, v7, s10, v8
.LBB22_1583:
	s_or_b64 exec, exec, s[16:17]
.LBB22_1584:
	s_or_b64 exec, exec, s[4:5]
	s_mov_b64 s[4:5], 0
	global_store_byte v[0:1], v9, off
.LBB22_1585:
	s_and_b64 vcc, exec, s[4:5]
	s_cbranch_vccz .LBB22_1595
; %bb.1586:
	v_cvt_f32_f16_e32 v7, v3
	s_mov_b32 s4, 0x43f00000
                                        ; implicit-def: $vgpr8
	v_and_b32_e32 v9, 0x7fffffff, v7
	v_cmp_gt_u32_e32 vcc, s4, v9
	s_and_saveexec_b64 s[4:5], vcc
	s_xor_b64 s[4:5], exec, s[4:5]
	s_cbranch_execz .LBB22_1592
; %bb.1587:
	s_mov_b32 s10, 0x3c7fffff
	v_cmp_lt_u32_e32 vcc, s10, v9
                                        ; implicit-def: $vgpr8
	s_and_saveexec_b64 s[10:11], vcc
	s_xor_b64 s[10:11], exec, s[10:11]
; %bb.1588:
	v_bfe_u32 v8, v7, 20, 1
	s_mov_b32 s16, 0x407ffff
	v_add3_u32 v8, v7, v8, s16
	v_lshrrev_b32_e32 v9, 20, v8
	v_and_b32_e32 v8, 0xff00000, v8
	s_mov_b32 s16, 0x7f00000
	v_mov_b32_e32 v10, 0x7e
	v_cmp_ne_u32_e32 vcc, s16, v8
	v_cndmask_b32_e32 v8, v10, v9, vcc
; %bb.1589:
	s_andn2_saveexec_b64 s[10:11], s[10:11]
; %bb.1590:
	s_mov_b32 s16, 0x46800000
	v_add_f32_e64 v8, |v7|, s16
; %bb.1591:
	s_or_b64 exec, exec, s[10:11]
                                        ; implicit-def: $vgpr9
.LBB22_1592:
	s_andn2_saveexec_b64 s[4:5], s[4:5]
; %bb.1593:
	s_mov_b32 s10, 0x7f800000
	v_mov_b32_e32 v8, 0x7e
	v_mov_b32_e32 v10, 0x7f
	v_cmp_lt_u32_e32 vcc, s10, v9
	v_cndmask_b32_e32 v8, v8, v10, vcc
; %bb.1594:
	s_or_b64 exec, exec, s[4:5]
	v_lshrrev_b32_e32 v7, 24, v7
	s_movk_i32 s4, 0x80
	v_and_or_b32 v7, v7, s4, v8
	global_store_byte v[0:1], v7, off
.LBB22_1595:
	s_mov_b64 s[4:5], 0
.LBB22_1596:
	s_andn2_b64 vcc, exec, s[4:5]
	s_cbranch_vccnz .LBB22_1606
; %bb.1597:
	v_cvt_f32_f16_e32 v7, v3
	s_mov_b32 s4, 0x47800000
                                        ; implicit-def: $vgpr8
	v_and_b32_e32 v9, 0x7fffffff, v7
	v_cmp_gt_u32_e32 vcc, s4, v9
	s_and_saveexec_b64 s[4:5], vcc
	s_xor_b64 s[4:5], exec, s[4:5]
	s_cbranch_execz .LBB22_1603
; %bb.1598:
	s_mov_b32 s10, 0x387fffff
	v_cmp_lt_u32_e32 vcc, s10, v9
                                        ; implicit-def: $vgpr8
	s_and_saveexec_b64 s[10:11], vcc
	s_xor_b64 s[10:11], exec, s[10:11]
; %bb.1599:
	v_bfe_u32 v8, v7, 21, 1
	s_mov_b32 s16, 0x80fffff
	v_add3_u32 v8, v7, v8, s16
	v_lshrrev_b32_e32 v8, 21, v8
; %bb.1600:
	s_andn2_saveexec_b64 s[10:11], s[10:11]
; %bb.1601:
	s_mov_b32 s16, 0x43000000
	v_add_f32_e64 v8, |v7|, s16
; %bb.1602:
	s_or_b64 exec, exec, s[10:11]
                                        ; implicit-def: $vgpr9
.LBB22_1603:
	s_andn2_saveexec_b64 s[4:5], s[4:5]
; %bb.1604:
	s_mov_b32 s10, 0x7f800000
	v_mov_b32_e32 v8, 0x7c
	v_mov_b32_e32 v10, 0x7f
	v_cmp_lt_u32_e32 vcc, s10, v9
	v_cndmask_b32_e32 v8, v8, v10, vcc
; %bb.1605:
	s_or_b64 exec, exec, s[4:5]
	v_lshrrev_b32_e32 v7, 24, v7
	s_movk_i32 s4, 0x80
	v_and_or_b32 v7, v7, s4, v8
	global_store_byte v[0:1], v7, off
.LBB22_1606:
	s_mov_b64 s[4:5], 0
	s_mov_b64 s[10:11], -1
.LBB22_1607:
	s_andn2_b64 vcc, exec, s[4:5]
	s_mov_b64 s[4:5], 0
	s_cbranch_vccnz .LBB22_1614
; %bb.1608:
	s_cmp_gt_i32 s3, 14
	s_mov_b64 s[16:17], -1
	s_cbranch_scc0 .LBB22_1612
; %bb.1609:
	s_cmp_eq_u32 s3, 15
	s_mov_b64 s[0:1], -1
	s_cbranch_scc0 .LBB22_1611
; %bb.1610:
	v_cvt_f32_f16_e32 v7, v3
	s_movk_i32 s0, 0x7fff
	v_cmp_o_f16_e32 vcc, v3, v3
	v_mov_b32_e32 v8, 0x7fc0
	v_bfe_u32 v9, v7, 16, 1
	v_add3_u32 v7, v7, v9, s0
	v_cndmask_b32_sdwa v7, v8, v7, vcc dst_sel:DWORD dst_unused:UNUSED_PAD src0_sel:DWORD src1_sel:WORD_1
	global_store_short v[0:1], v7, off
	s_mov_b64 s[0:1], 0
	s_mov_b64 s[10:11], -1
.LBB22_1611:
	s_mov_b64 s[16:17], 0
.LBB22_1612:
	s_and_b64 vcc, exec, s[16:17]
	s_cbranch_vccz .LBB22_1614
; %bb.1613:
	s_cmp_lg_u32 s3, 11
	s_mov_b64 s[4:5], -1
	s_cselect_b64 s[0:1], -1, 0
.LBB22_1614:
	s_and_b64 vcc, exec, s[0:1]
	s_cbranch_vccnz .LBB22_2022
; %bb.1615:
	s_andn2_b64 vcc, exec, s[4:5]
	s_cbranch_vccnz .LBB22_1617
.LBB22_1616:
	v_and_b32_e32 v7, 0x7fff, v3
	v_cmp_ne_u16_e32 vcc, 0, v7
	v_cndmask_b32_e64 v7, 0, 1, vcc
	s_mov_b64 s[10:11], -1
	global_store_byte v[0:1], v7, off
.LBB22_1617:
	s_mov_b64 s[0:1], 0
	s_branch .LBB22_1619
.LBB22_1618:
	s_mov_b64 s[0:1], -1
	s_mov_b64 s[10:11], 0
.LBB22_1619:
	s_and_b64 vcc, exec, s[0:1]
	s_cbranch_vccz .LBB22_1658
; %bb.1620:
	s_and_b32 s3, 0xffff, s20
	s_cmp_lt_i32 s3, 5
	s_mov_b64 s[0:1], -1
	s_cbranch_scc1 .LBB22_1641
; %bb.1621:
	s_cmp_lt_i32 s3, 8
	s_cbranch_scc1 .LBB22_1631
; %bb.1622:
	s_cmp_lt_i32 s3, 9
	s_cbranch_scc1 .LBB22_1628
; %bb.1623:
	s_cmp_gt_i32 s3, 9
	s_cbranch_scc0 .LBB22_1625
; %bb.1624:
	v_cvt_f32_f16_e32 v7, v3
	v_mov_b32_e32 v9, 0
	v_mov_b32_e32 v10, v9
	s_mov_b64 s[0:1], 0
	v_cvt_f64_f32_e32 v[7:8], v7
	global_store_dwordx4 v[0:1], v[7:10], off
.LBB22_1625:
	s_andn2_b64 vcc, exec, s[0:1]
	s_cbranch_vccnz .LBB22_1627
; %bb.1626:
	v_cvt_f32_f16_e32 v7, v3
	v_mov_b32_e32 v8, 0
	global_store_dwordx2 v[0:1], v[7:8], off
.LBB22_1627:
	s_mov_b64 s[0:1], 0
.LBB22_1628:
	s_andn2_b64 vcc, exec, s[0:1]
	s_cbranch_vccnz .LBB22_1630
; %bb.1629:
	v_and_b32_e32 v7, 0xffff, v3
	global_store_dword v[0:1], v7, off
.LBB22_1630:
	s_mov_b64 s[0:1], 0
.LBB22_1631:
	s_andn2_b64 vcc, exec, s[0:1]
	s_cbranch_vccnz .LBB22_1640
; %bb.1632:
	s_cmp_lt_i32 s3, 6
	s_mov_b64 s[0:1], -1
	s_cbranch_scc1 .LBB22_1638
; %bb.1633:
	s_cmp_gt_i32 s3, 6
	s_cbranch_scc0 .LBB22_1635
; %bb.1634:
	v_cvt_f32_f16_e32 v7, v3
	s_mov_b64 s[0:1], 0
	v_cvt_f64_f32_e32 v[7:8], v7
	global_store_dwordx2 v[0:1], v[7:8], off
.LBB22_1635:
	s_andn2_b64 vcc, exec, s[0:1]
	s_cbranch_vccnz .LBB22_1637
; %bb.1636:
	v_cvt_f32_f16_e32 v7, v3
	global_store_dword v[0:1], v7, off
.LBB22_1637:
	s_mov_b64 s[0:1], 0
.LBB22_1638:
	s_andn2_b64 vcc, exec, s[0:1]
	s_cbranch_vccnz .LBB22_1640
; %bb.1639:
	global_store_short v[0:1], v3, off
.LBB22_1640:
	s_mov_b64 s[0:1], 0
.LBB22_1641:
	s_andn2_b64 vcc, exec, s[0:1]
	s_cbranch_vccnz .LBB22_1657
; %bb.1642:
	s_cmp_lt_i32 s3, 2
	s_mov_b64 s[0:1], -1
	s_cbranch_scc1 .LBB22_1652
; %bb.1643:
	s_cmp_lt_i32 s3, 3
	s_cbranch_scc1 .LBB22_1649
; %bb.1644:
	s_cmp_gt_i32 s3, 3
	s_cbranch_scc0 .LBB22_1646
; %bb.1645:
	v_cvt_f32_f16_e32 v7, v3
	s_mov_b64 s[0:1], 0
	v_cvt_i32_f32_e32 v7, v7
	v_ashrrev_i32_e32 v8, 31, v7
	global_store_dwordx2 v[0:1], v[7:8], off
.LBB22_1646:
	s_andn2_b64 vcc, exec, s[0:1]
	s_cbranch_vccnz .LBB22_1648
; %bb.1647:
	v_cvt_f32_f16_e32 v7, v3
	v_cvt_i32_f32_e32 v7, v7
	global_store_dword v[0:1], v7, off
.LBB22_1648:
	s_mov_b64 s[0:1], 0
.LBB22_1649:
	s_andn2_b64 vcc, exec, s[0:1]
	s_cbranch_vccnz .LBB22_1651
; %bb.1650:
	v_cvt_i16_f16_e32 v7, v3
	global_store_short v[0:1], v7, off
.LBB22_1651:
	s_mov_b64 s[0:1], 0
.LBB22_1652:
	s_andn2_b64 vcc, exec, s[0:1]
	s_cbranch_vccnz .LBB22_1657
; %bb.1653:
	s_cmp_gt_i32 s3, 0
	s_mov_b64 s[0:1], -1
	s_cbranch_scc0 .LBB22_1655
; %bb.1654:
	v_cvt_i16_f16_e32 v7, v3
	global_store_byte v[0:1], v7, off
	s_mov_b64 s[0:1], 0
.LBB22_1655:
	s_andn2_b64 vcc, exec, s[0:1]
	s_cbranch_vccnz .LBB22_1657
; %bb.1656:
	v_cvt_f32_f16_e32 v3, v3
	v_cvt_i32_f32_e32 v3, v3
	global_store_byte v[0:1], v3, off
.LBB22_1657:
	s_mov_b64 s[10:11], -1
.LBB22_1658:
	s_andn2_b64 vcc, exec, s[10:11]
	s_cbranch_vccnz .LBB22_1973
; %bb.1659:
	v_cmp_nge_f16_e64 s[0:1], v4, -s33
	v_cmp_nge_f16_e32 vcc, s33, v4
	s_lshl_b32 s18, s2, 7
	s_or_b64 vcc, s[0:1], vcc
	v_add_u32_e32 v2, s18, v2
	v_cndmask_b32_e32 v3, 0, v4, vcc
	v_ashrrev_i32_e32 v1, 31, v2
	v_mov_b32_e32 v4, s9
	v_add_co_u32_e32 v0, vcc, s8, v2
	s_cmp_lt_i32 s20, 11
	v_addc_co_u32_e32 v1, vcc, v4, v1, vcc
	s_cbranch_scc1 .LBB22_1737
; %bb.1660:
	s_and_b32 s19, 0xffff, s20
	s_mov_b64 s[10:11], -1
	s_mov_b64 s[2:3], 0
	s_cmp_gt_i32 s19, 25
	s_mov_b64 s[4:5], 0
	s_mov_b64 s[0:1], 0
	s_cbranch_scc0 .LBB22_1693
; %bb.1661:
	s_cmp_gt_i32 s19, 28
	s_cbranch_scc0 .LBB22_1676
; %bb.1662:
	s_cmp_gt_i32 s19, 43
	s_cbranch_scc0 .LBB22_1672
; %bb.1663:
	s_cmp_gt_i32 s19, 45
	s_cbranch_scc0 .LBB22_1666
; %bb.1664:
	s_mov_b64 s[0:1], -1
	s_mov_b64 s[10:11], 0
	s_cmp_eq_u32 s19, 46
	s_cbranch_scc0 .LBB22_1666
; %bb.1665:
	v_cvt_f32_f16_e32 v4, v3
	s_movk_i32 s0, 0x7fff
	v_cmp_o_f16_e32 vcc, v3, v3
	v_mov_b32_e32 v7, 0x7fc0
	v_bfe_u32 v8, v4, 16, 1
	v_add3_u32 v4, v4, v8, s0
	v_cndmask_b32_sdwa v4, v7, v4, vcc dst_sel:DWORD dst_unused:UNUSED_PAD src0_sel:DWORD src1_sel:WORD_1
	global_store_dword v[0:1], v4, off
	s_mov_b64 s[0:1], 0
	s_mov_b64 s[4:5], -1
.LBB22_1666:
	s_and_b64 vcc, exec, s[10:11]
	s_cbranch_vccz .LBB22_1671
; %bb.1667:
	s_cmp_eq_u32 s19, 44
	s_mov_b64 s[0:1], -1
	s_cbranch_scc0 .LBB22_1671
; %bb.1668:
	v_cvt_f32_f16_e32 v4, v3
	s_movk_i32 s0, 0xff
	v_mov_b32_e32 v8, 0xff
	v_bfe_u32 v7, v4, 23, 8
	v_cmp_ne_u32_e32 vcc, s0, v7
	s_and_saveexec_b64 s[4:5], vcc
; %bb.1669:
	s_mov_b32 s0, 0x3fffff
	v_lshrrev_b32_e32 v8, 23, v4
	v_and_b32_e32 v9, 0x400000, v4
	v_and_or_b32 v4, v4, s0, v7
	v_cmp_ne_u32_e32 vcc, 0, v9
	v_cmp_ne_u32_e64 s[0:1], 0, v4
	s_and_b64 s[0:1], vcc, s[0:1]
	v_cndmask_b32_e64 v4, 0, 1, s[0:1]
	v_add_u32_e32 v8, v8, v4
; %bb.1670:
	s_or_b64 exec, exec, s[4:5]
	s_mov_b64 s[0:1], 0
	s_mov_b64 s[4:5], -1
	global_store_byte v[0:1], v8, off
.LBB22_1671:
	s_mov_b64 s[10:11], 0
.LBB22_1672:
	s_and_b64 vcc, exec, s[10:11]
	s_cbranch_vccz .LBB22_1675
; %bb.1673:
	s_cmp_eq_u32 s19, 29
	s_mov_b64 s[0:1], -1
	s_cbranch_scc0 .LBB22_1675
; %bb.1674:
	v_cvt_f32_f16_e32 v4, v3
	v_mov_b32_e32 v8, 0
	s_mov_b64 s[0:1], 0
	s_mov_b64 s[4:5], -1
	v_cvt_u32_f32_e32 v7, v4
	global_store_dwordx2 v[0:1], v[7:8], off
.LBB22_1675:
	s_mov_b64 s[10:11], 0
.LBB22_1676:
	s_and_b64 vcc, exec, s[10:11]
	s_cbranch_vccz .LBB22_1692
; %bb.1677:
	s_cmp_lt_i32 s19, 27
	s_mov_b64 s[4:5], -1
	s_cbranch_scc1 .LBB22_1683
; %bb.1678:
	s_cmp_gt_i32 s19, 27
	s_cbranch_scc0 .LBB22_1680
; %bb.1679:
	v_cvt_f32_f16_e32 v4, v3
	s_mov_b64 s[4:5], 0
	v_cvt_u32_f32_e32 v4, v4
	global_store_dword v[0:1], v4, off
.LBB22_1680:
	s_andn2_b64 vcc, exec, s[4:5]
	s_cbranch_vccnz .LBB22_1682
; %bb.1681:
	v_cvt_u16_f16_e32 v4, v3
	global_store_short v[0:1], v4, off
.LBB22_1682:
	s_mov_b64 s[4:5], 0
.LBB22_1683:
	s_andn2_b64 vcc, exec, s[4:5]
	s_cbranch_vccnz .LBB22_1691
; %bb.1684:
	v_cvt_f32_f16_e32 v4, v3
	s_mov_b32 s4, 0x43800000
	v_mov_b32_e32 v8, 0x80
	v_and_b32_e32 v7, 0x7fffffff, v4
	v_cmp_gt_u32_e32 vcc, s4, v7
	s_and_saveexec_b64 s[4:5], vcc
	s_cbranch_execz .LBB22_1690
; %bb.1685:
	s_mov_b32 s10, 0x3bffffff
	v_cmp_lt_u32_e32 vcc, s10, v7
	s_mov_b64 s[10:11], 0
                                        ; implicit-def: $vgpr7
	s_and_saveexec_b64 s[16:17], vcc
	s_xor_b64 s[16:17], exec, s[16:17]
	s_cbranch_execz .LBB22_2025
; %bb.1686:
	v_bfe_u32 v7, v4, 20, 1
	s_mov_b32 s21, 0x487ffff
	v_add3_u32 v7, v4, v7, s21
	s_mov_b64 s[10:11], exec
	v_lshrrev_b32_e32 v7, 20, v7
	s_andn2_saveexec_b64 s[16:17], s[16:17]
	s_cbranch_execnz .LBB22_2026
.LBB22_1687:
	s_or_b64 exec, exec, s[16:17]
	v_mov_b32_e32 v8, 0
	s_and_saveexec_b64 s[16:17], s[10:11]
.LBB22_1688:
	v_lshrrev_b32_e32 v4, 24, v4
	s_movk_i32 s10, 0x80
	v_and_or_b32 v8, v4, s10, v7
.LBB22_1689:
	s_or_b64 exec, exec, s[16:17]
.LBB22_1690:
	s_or_b64 exec, exec, s[4:5]
	global_store_byte v[0:1], v8, off
.LBB22_1691:
	s_mov_b64 s[4:5], -1
.LBB22_1692:
	s_mov_b64 s[10:11], 0
.LBB22_1693:
	s_and_b64 vcc, exec, s[10:11]
	s_cbranch_vccz .LBB22_1733
; %bb.1694:
	s_cmp_gt_i32 s19, 22
	s_mov_b64 s[2:3], -1
	s_cbranch_scc0 .LBB22_1726
; %bb.1695:
	s_cmp_lt_i32 s19, 24
	s_cbranch_scc1 .LBB22_1715
; %bb.1696:
	s_cmp_gt_i32 s19, 24
	s_cbranch_scc0 .LBB22_1704
; %bb.1697:
	v_cvt_f32_f16_e32 v4, v3
	s_mov_b32 s2, 0x47800000
	v_mov_b32_e32 v8, 0x80
	v_and_b32_e32 v7, 0x7fffffff, v4
	v_cmp_gt_u32_e32 vcc, s2, v7
	s_and_saveexec_b64 s[2:3], vcc
	s_cbranch_execz .LBB22_1703
; %bb.1698:
	s_mov_b32 s4, 0x37ffffff
	v_cmp_lt_u32_e32 vcc, s4, v7
	s_mov_b64 s[4:5], 0
                                        ; implicit-def: $vgpr7
	s_and_saveexec_b64 s[10:11], vcc
	s_xor_b64 s[10:11], exec, s[10:11]
	s_cbranch_execz .LBB22_2028
; %bb.1699:
	v_bfe_u32 v7, v4, 21, 1
	s_mov_b32 s16, 0x88fffff
	v_add3_u32 v7, v4, v7, s16
	s_mov_b64 s[4:5], exec
	v_lshrrev_b32_e32 v7, 21, v7
	s_andn2_saveexec_b64 s[10:11], s[10:11]
	s_cbranch_execnz .LBB22_2029
.LBB22_1700:
	s_or_b64 exec, exec, s[10:11]
	v_mov_b32_e32 v8, 0
	s_and_saveexec_b64 s[10:11], s[4:5]
.LBB22_1701:
	v_lshrrev_b32_e32 v4, 24, v4
	s_movk_i32 s4, 0x80
	v_and_or_b32 v8, v4, s4, v7
.LBB22_1702:
	s_or_b64 exec, exec, s[10:11]
.LBB22_1703:
	s_or_b64 exec, exec, s[2:3]
	s_mov_b64 s[2:3], 0
	global_store_byte v[0:1], v8, off
.LBB22_1704:
	s_and_b64 vcc, exec, s[2:3]
	s_cbranch_vccz .LBB22_1714
; %bb.1705:
	v_cvt_f32_f16_e32 v4, v3
	s_mov_b32 s2, 0x43f00000
                                        ; implicit-def: $vgpr7
	v_and_b32_e32 v8, 0x7fffffff, v4
	v_cmp_gt_u32_e32 vcc, s2, v8
	s_and_saveexec_b64 s[2:3], vcc
	s_xor_b64 s[2:3], exec, s[2:3]
	s_cbranch_execz .LBB22_1711
; %bb.1706:
	s_mov_b32 s4, 0x3c7fffff
	v_cmp_lt_u32_e32 vcc, s4, v8
                                        ; implicit-def: $vgpr7
	s_and_saveexec_b64 s[4:5], vcc
	s_xor_b64 s[4:5], exec, s[4:5]
; %bb.1707:
	v_bfe_u32 v7, v4, 20, 1
	s_mov_b32 s10, 0x407ffff
	v_add3_u32 v7, v4, v7, s10
	v_lshrrev_b32_e32 v8, 20, v7
	v_and_b32_e32 v7, 0xff00000, v7
	s_mov_b32 s10, 0x7f00000
	v_mov_b32_e32 v9, 0x7e
	v_cmp_ne_u32_e32 vcc, s10, v7
	v_cndmask_b32_e32 v7, v9, v8, vcc
; %bb.1708:
	s_andn2_saveexec_b64 s[4:5], s[4:5]
; %bb.1709:
	s_mov_b32 s10, 0x46800000
	v_add_f32_e64 v7, |v4|, s10
; %bb.1710:
	s_or_b64 exec, exec, s[4:5]
                                        ; implicit-def: $vgpr8
.LBB22_1711:
	s_andn2_saveexec_b64 s[2:3], s[2:3]
; %bb.1712:
	s_mov_b32 s4, 0x7f800000
	v_mov_b32_e32 v7, 0x7e
	v_mov_b32_e32 v9, 0x7f
	v_cmp_lt_u32_e32 vcc, s4, v8
	v_cndmask_b32_e32 v7, v7, v9, vcc
; %bb.1713:
	s_or_b64 exec, exec, s[2:3]
	v_lshrrev_b32_e32 v4, 24, v4
	s_movk_i32 s2, 0x80
	v_and_or_b32 v4, v4, s2, v7
	global_store_byte v[0:1], v4, off
.LBB22_1714:
	s_mov_b64 s[2:3], 0
.LBB22_1715:
	s_andn2_b64 vcc, exec, s[2:3]
	s_cbranch_vccnz .LBB22_1725
; %bb.1716:
	v_cvt_f32_f16_e32 v4, v3
	s_mov_b32 s2, 0x47800000
                                        ; implicit-def: $vgpr7
	v_and_b32_e32 v8, 0x7fffffff, v4
	v_cmp_gt_u32_e32 vcc, s2, v8
	s_and_saveexec_b64 s[2:3], vcc
	s_xor_b64 s[2:3], exec, s[2:3]
	s_cbranch_execz .LBB22_1722
; %bb.1717:
	s_mov_b32 s4, 0x387fffff
	v_cmp_lt_u32_e32 vcc, s4, v8
                                        ; implicit-def: $vgpr7
	s_and_saveexec_b64 s[4:5], vcc
	s_xor_b64 s[4:5], exec, s[4:5]
; %bb.1718:
	v_bfe_u32 v7, v4, 21, 1
	s_mov_b32 s10, 0x80fffff
	v_add3_u32 v7, v4, v7, s10
	v_lshrrev_b32_e32 v7, 21, v7
; %bb.1719:
	s_andn2_saveexec_b64 s[4:5], s[4:5]
; %bb.1720:
	s_mov_b32 s10, 0x43000000
	v_add_f32_e64 v7, |v4|, s10
; %bb.1721:
	s_or_b64 exec, exec, s[4:5]
                                        ; implicit-def: $vgpr8
.LBB22_1722:
	s_andn2_saveexec_b64 s[2:3], s[2:3]
; %bb.1723:
	s_mov_b32 s4, 0x7f800000
	v_mov_b32_e32 v7, 0x7c
	v_mov_b32_e32 v9, 0x7f
	v_cmp_lt_u32_e32 vcc, s4, v8
	v_cndmask_b32_e32 v7, v7, v9, vcc
; %bb.1724:
	s_or_b64 exec, exec, s[2:3]
	v_lshrrev_b32_e32 v4, 24, v4
	s_movk_i32 s2, 0x80
	v_and_or_b32 v4, v4, s2, v7
	global_store_byte v[0:1], v4, off
.LBB22_1725:
	s_mov_b64 s[2:3], 0
	s_mov_b64 s[4:5], -1
.LBB22_1726:
	s_andn2_b64 vcc, exec, s[2:3]
	s_mov_b64 s[2:3], 0
	s_cbranch_vccnz .LBB22_1733
; %bb.1727:
	s_cmp_gt_i32 s19, 14
	s_mov_b64 s[10:11], -1
	s_cbranch_scc0 .LBB22_1731
; %bb.1728:
	s_cmp_eq_u32 s19, 15
	s_mov_b64 s[0:1], -1
	s_cbranch_scc0 .LBB22_1730
; %bb.1729:
	v_cvt_f32_f16_e32 v4, v3
	s_movk_i32 s0, 0x7fff
	v_cmp_o_f16_e32 vcc, v3, v3
	v_mov_b32_e32 v7, 0x7fc0
	v_bfe_u32 v8, v4, 16, 1
	v_add3_u32 v4, v4, v8, s0
	v_cndmask_b32_sdwa v4, v7, v4, vcc dst_sel:DWORD dst_unused:UNUSED_PAD src0_sel:DWORD src1_sel:WORD_1
	global_store_short v[0:1], v4, off
	s_mov_b64 s[0:1], 0
	s_mov_b64 s[4:5], -1
.LBB22_1730:
	s_mov_b64 s[10:11], 0
.LBB22_1731:
	s_and_b64 vcc, exec, s[10:11]
	s_cbranch_vccz .LBB22_1733
; %bb.1732:
	s_cmp_lg_u32 s19, 11
	s_mov_b64 s[2:3], -1
	s_cselect_b64 s[0:1], -1, 0
.LBB22_1733:
	s_and_b64 vcc, exec, s[0:1]
	s_cbranch_vccnz .LBB22_2027
; %bb.1734:
	s_andn2_b64 vcc, exec, s[2:3]
	s_cbranch_vccnz .LBB22_1736
.LBB22_1735:
	v_and_b32_e32 v4, 0x7fff, v3
	v_cmp_ne_u16_e32 vcc, 0, v4
	v_cndmask_b32_e64 v4, 0, 1, vcc
	s_mov_b64 s[4:5], -1
	global_store_byte v[0:1], v4, off
.LBB22_1736:
	s_mov_b64 s[0:1], 0
	s_branch .LBB22_1738
.LBB22_1737:
	s_mov_b64 s[0:1], -1
	s_mov_b64 s[4:5], 0
.LBB22_1738:
	s_and_b64 vcc, exec, s[0:1]
	s_cbranch_vccz .LBB22_1777
; %bb.1739:
	s_and_b32 s2, 0xffff, s20
	s_cmp_lt_i32 s2, 5
	s_mov_b64 s[0:1], -1
	s_cbranch_scc1 .LBB22_1760
; %bb.1740:
	s_cmp_lt_i32 s2, 8
	s_cbranch_scc1 .LBB22_1750
; %bb.1741:
	s_cmp_lt_i32 s2, 9
	s_cbranch_scc1 .LBB22_1747
; %bb.1742:
	s_cmp_gt_i32 s2, 9
	s_cbranch_scc0 .LBB22_1744
; %bb.1743:
	v_cvt_f32_f16_e32 v4, v3
	v_mov_b32_e32 v9, 0
	v_mov_b32_e32 v10, v9
	s_mov_b64 s[0:1], 0
	v_cvt_f64_f32_e32 v[7:8], v4
	global_store_dwordx4 v[0:1], v[7:10], off
.LBB22_1744:
	s_andn2_b64 vcc, exec, s[0:1]
	s_cbranch_vccnz .LBB22_1746
; %bb.1745:
	v_cvt_f32_f16_e32 v7, v3
	v_mov_b32_e32 v8, 0
	global_store_dwordx2 v[0:1], v[7:8], off
.LBB22_1746:
	s_mov_b64 s[0:1], 0
.LBB22_1747:
	s_andn2_b64 vcc, exec, s[0:1]
	s_cbranch_vccnz .LBB22_1749
; %bb.1748:
	v_and_b32_e32 v4, 0xffff, v3
	global_store_dword v[0:1], v4, off
.LBB22_1749:
	s_mov_b64 s[0:1], 0
.LBB22_1750:
	s_andn2_b64 vcc, exec, s[0:1]
	s_cbranch_vccnz .LBB22_1759
; %bb.1751:
	s_cmp_lt_i32 s2, 6
	s_mov_b64 s[0:1], -1
	s_cbranch_scc1 .LBB22_1757
; %bb.1752:
	s_cmp_gt_i32 s2, 6
	s_cbranch_scc0 .LBB22_1754
; %bb.1753:
	v_cvt_f32_f16_e32 v4, v3
	s_mov_b64 s[0:1], 0
	v_cvt_f64_f32_e32 v[7:8], v4
	global_store_dwordx2 v[0:1], v[7:8], off
.LBB22_1754:
	s_andn2_b64 vcc, exec, s[0:1]
	s_cbranch_vccnz .LBB22_1756
; %bb.1755:
	v_cvt_f32_f16_e32 v4, v3
	global_store_dword v[0:1], v4, off
.LBB22_1756:
	s_mov_b64 s[0:1], 0
.LBB22_1757:
	s_andn2_b64 vcc, exec, s[0:1]
	s_cbranch_vccnz .LBB22_1759
; %bb.1758:
	global_store_short v[0:1], v3, off
.LBB22_1759:
	s_mov_b64 s[0:1], 0
.LBB22_1760:
	s_andn2_b64 vcc, exec, s[0:1]
	s_cbranch_vccnz .LBB22_1776
; %bb.1761:
	s_cmp_lt_i32 s2, 2
	s_mov_b64 s[0:1], -1
	s_cbranch_scc1 .LBB22_1771
; %bb.1762:
	s_cmp_lt_i32 s2, 3
	s_cbranch_scc1 .LBB22_1768
; %bb.1763:
	s_cmp_gt_i32 s2, 3
	s_cbranch_scc0 .LBB22_1765
; %bb.1764:
	v_cvt_f32_f16_e32 v4, v3
	s_mov_b64 s[0:1], 0
	v_cvt_i32_f32_e32 v7, v4
	v_ashrrev_i32_e32 v8, 31, v7
	global_store_dwordx2 v[0:1], v[7:8], off
.LBB22_1765:
	s_andn2_b64 vcc, exec, s[0:1]
	s_cbranch_vccnz .LBB22_1767
; %bb.1766:
	v_cvt_f32_f16_e32 v4, v3
	v_cvt_i32_f32_e32 v4, v4
	global_store_dword v[0:1], v4, off
.LBB22_1767:
	s_mov_b64 s[0:1], 0
.LBB22_1768:
	s_andn2_b64 vcc, exec, s[0:1]
	s_cbranch_vccnz .LBB22_1770
; %bb.1769:
	v_cvt_i16_f16_e32 v4, v3
	global_store_short v[0:1], v4, off
.LBB22_1770:
	s_mov_b64 s[0:1], 0
.LBB22_1771:
	s_andn2_b64 vcc, exec, s[0:1]
	s_cbranch_vccnz .LBB22_1776
; %bb.1772:
	s_cmp_gt_i32 s2, 0
	s_mov_b64 s[0:1], -1
	s_cbranch_scc0 .LBB22_1774
; %bb.1773:
	v_cvt_i16_f16_e32 v4, v3
	global_store_byte v[0:1], v4, off
	s_mov_b64 s[0:1], 0
.LBB22_1774:
	s_andn2_b64 vcc, exec, s[0:1]
	s_cbranch_vccnz .LBB22_1776
; %bb.1775:
	v_cvt_f32_f16_e32 v3, v3
	v_cvt_i32_f32_e32 v3, v3
	global_store_byte v[0:1], v3, off
.LBB22_1776:
	s_mov_b64 s[4:5], -1
.LBB22_1777:
	s_andn2_b64 vcc, exec, s[4:5]
	s_cbranch_vccnz .LBB22_1973
; %bb.1778:
	v_cmp_nge_f16_e64 s[0:1], v5, -s33
	v_cmp_nge_f16_e32 vcc, s33, v5
	s_or_b64 vcc, s[0:1], vcc
	v_add_u32_e32 v2, s18, v2
	v_cndmask_b32_e32 v3, 0, v5, vcc
	v_ashrrev_i32_e32 v1, 31, v2
	v_mov_b32_e32 v4, s9
	v_add_co_u32_e32 v0, vcc, s8, v2
	s_cmp_lt_i32 s20, 11
	v_addc_co_u32_e32 v1, vcc, v4, v1, vcc
	s_cbranch_scc1 .LBB22_1856
; %bb.1779:
	s_and_b32 s19, 0xffff, s20
	s_mov_b64 s[10:11], -1
	s_mov_b64 s[2:3], 0
	s_cmp_gt_i32 s19, 25
	s_mov_b64 s[4:5], 0
	s_mov_b64 s[0:1], 0
	s_cbranch_scc0 .LBB22_1812
; %bb.1780:
	s_cmp_gt_i32 s19, 28
	s_cbranch_scc0 .LBB22_1795
; %bb.1781:
	s_cmp_gt_i32 s19, 43
	;; [unrolled: 3-line block ×3, first 2 shown]
	s_cbranch_scc0 .LBB22_1785
; %bb.1783:
	s_mov_b64 s[0:1], -1
	s_mov_b64 s[10:11], 0
	s_cmp_eq_u32 s19, 46
	s_cbranch_scc0 .LBB22_1785
; %bb.1784:
	v_cvt_f32_f16_e32 v4, v3
	s_movk_i32 s0, 0x7fff
	v_cmp_o_f16_e32 vcc, v3, v3
	v_mov_b32_e32 v5, 0x7fc0
	v_bfe_u32 v7, v4, 16, 1
	v_add3_u32 v4, v4, v7, s0
	v_cndmask_b32_sdwa v4, v5, v4, vcc dst_sel:DWORD dst_unused:UNUSED_PAD src0_sel:DWORD src1_sel:WORD_1
	global_store_dword v[0:1], v4, off
	s_mov_b64 s[0:1], 0
	s_mov_b64 s[4:5], -1
.LBB22_1785:
	s_and_b64 vcc, exec, s[10:11]
	s_cbranch_vccz .LBB22_1790
; %bb.1786:
	s_cmp_eq_u32 s19, 44
	s_mov_b64 s[0:1], -1
	s_cbranch_scc0 .LBB22_1790
; %bb.1787:
	v_cvt_f32_f16_e32 v4, v3
	s_movk_i32 s0, 0xff
	v_mov_b32_e32 v7, 0xff
	v_bfe_u32 v5, v4, 23, 8
	v_cmp_ne_u32_e32 vcc, s0, v5
	s_and_saveexec_b64 s[4:5], vcc
; %bb.1788:
	s_mov_b32 s0, 0x3fffff
	v_lshrrev_b32_e32 v7, 23, v4
	v_and_b32_e32 v8, 0x400000, v4
	v_and_or_b32 v4, v4, s0, v5
	v_cmp_ne_u32_e32 vcc, 0, v8
	v_cmp_ne_u32_e64 s[0:1], 0, v4
	s_and_b64 s[0:1], vcc, s[0:1]
	v_cndmask_b32_e64 v4, 0, 1, s[0:1]
	v_add_u32_e32 v7, v7, v4
; %bb.1789:
	s_or_b64 exec, exec, s[4:5]
	s_mov_b64 s[0:1], 0
	s_mov_b64 s[4:5], -1
	global_store_byte v[0:1], v7, off
.LBB22_1790:
	s_mov_b64 s[10:11], 0
.LBB22_1791:
	s_and_b64 vcc, exec, s[10:11]
	s_cbranch_vccz .LBB22_1794
; %bb.1792:
	s_cmp_eq_u32 s19, 29
	s_mov_b64 s[0:1], -1
	s_cbranch_scc0 .LBB22_1794
; %bb.1793:
	v_cvt_f32_f16_e32 v4, v3
	v_mov_b32_e32 v5, 0
	s_mov_b64 s[0:1], 0
	s_mov_b64 s[4:5], -1
	v_cvt_u32_f32_e32 v4, v4
	global_store_dwordx2 v[0:1], v[4:5], off
.LBB22_1794:
	s_mov_b64 s[10:11], 0
.LBB22_1795:
	s_and_b64 vcc, exec, s[10:11]
	s_cbranch_vccz .LBB22_1811
; %bb.1796:
	s_cmp_lt_i32 s19, 27
	s_mov_b64 s[4:5], -1
	s_cbranch_scc1 .LBB22_1802
; %bb.1797:
	s_cmp_gt_i32 s19, 27
	s_cbranch_scc0 .LBB22_1799
; %bb.1798:
	v_cvt_f32_f16_e32 v4, v3
	s_mov_b64 s[4:5], 0
	v_cvt_u32_f32_e32 v4, v4
	global_store_dword v[0:1], v4, off
.LBB22_1799:
	s_andn2_b64 vcc, exec, s[4:5]
	s_cbranch_vccnz .LBB22_1801
; %bb.1800:
	v_cvt_u16_f16_e32 v4, v3
	global_store_short v[0:1], v4, off
.LBB22_1801:
	s_mov_b64 s[4:5], 0
.LBB22_1802:
	s_andn2_b64 vcc, exec, s[4:5]
	s_cbranch_vccnz .LBB22_1810
; %bb.1803:
	v_cvt_f32_f16_e32 v4, v3
	s_mov_b32 s4, 0x43800000
	v_mov_b32_e32 v7, 0x80
	v_and_b32_e32 v5, 0x7fffffff, v4
	v_cmp_gt_u32_e32 vcc, s4, v5
	s_and_saveexec_b64 s[4:5], vcc
	s_cbranch_execz .LBB22_1809
; %bb.1804:
	s_mov_b32 s10, 0x3bffffff
	v_cmp_lt_u32_e32 vcc, s10, v5
	s_mov_b64 s[10:11], 0
                                        ; implicit-def: $vgpr5
	s_and_saveexec_b64 s[16:17], vcc
	s_xor_b64 s[16:17], exec, s[16:17]
	s_cbranch_execz .LBB22_2030
; %bb.1805:
	v_bfe_u32 v5, v4, 20, 1
	s_mov_b32 s21, 0x487ffff
	v_add3_u32 v5, v4, v5, s21
	s_mov_b64 s[10:11], exec
	v_lshrrev_b32_e32 v5, 20, v5
	s_andn2_saveexec_b64 s[16:17], s[16:17]
	s_cbranch_execnz .LBB22_2031
.LBB22_1806:
	s_or_b64 exec, exec, s[16:17]
	v_mov_b32_e32 v7, 0
	s_and_saveexec_b64 s[16:17], s[10:11]
.LBB22_1807:
	v_lshrrev_b32_e32 v4, 24, v4
	s_movk_i32 s10, 0x80
	v_and_or_b32 v7, v4, s10, v5
.LBB22_1808:
	s_or_b64 exec, exec, s[16:17]
.LBB22_1809:
	s_or_b64 exec, exec, s[4:5]
	global_store_byte v[0:1], v7, off
.LBB22_1810:
	s_mov_b64 s[4:5], -1
.LBB22_1811:
	s_mov_b64 s[10:11], 0
.LBB22_1812:
	s_and_b64 vcc, exec, s[10:11]
	s_cbranch_vccz .LBB22_1852
; %bb.1813:
	s_cmp_gt_i32 s19, 22
	s_mov_b64 s[2:3], -1
	s_cbranch_scc0 .LBB22_1845
; %bb.1814:
	s_cmp_lt_i32 s19, 24
	s_cbranch_scc1 .LBB22_1834
; %bb.1815:
	s_cmp_gt_i32 s19, 24
	s_cbranch_scc0 .LBB22_1823
; %bb.1816:
	v_cvt_f32_f16_e32 v4, v3
	s_mov_b32 s2, 0x47800000
	v_mov_b32_e32 v7, 0x80
	v_and_b32_e32 v5, 0x7fffffff, v4
	v_cmp_gt_u32_e32 vcc, s2, v5
	s_and_saveexec_b64 s[2:3], vcc
	s_cbranch_execz .LBB22_1822
; %bb.1817:
	s_mov_b32 s4, 0x37ffffff
	v_cmp_lt_u32_e32 vcc, s4, v5
	s_mov_b64 s[4:5], 0
                                        ; implicit-def: $vgpr5
	s_and_saveexec_b64 s[10:11], vcc
	s_xor_b64 s[10:11], exec, s[10:11]
	s_cbranch_execz .LBB22_2033
; %bb.1818:
	v_bfe_u32 v5, v4, 21, 1
	s_mov_b32 s16, 0x88fffff
	v_add3_u32 v5, v4, v5, s16
	s_mov_b64 s[4:5], exec
	v_lshrrev_b32_e32 v5, 21, v5
	s_andn2_saveexec_b64 s[10:11], s[10:11]
	s_cbranch_execnz .LBB22_2034
.LBB22_1819:
	s_or_b64 exec, exec, s[10:11]
	v_mov_b32_e32 v7, 0
	s_and_saveexec_b64 s[10:11], s[4:5]
.LBB22_1820:
	v_lshrrev_b32_e32 v4, 24, v4
	s_movk_i32 s4, 0x80
	v_and_or_b32 v7, v4, s4, v5
.LBB22_1821:
	s_or_b64 exec, exec, s[10:11]
.LBB22_1822:
	s_or_b64 exec, exec, s[2:3]
	s_mov_b64 s[2:3], 0
	global_store_byte v[0:1], v7, off
.LBB22_1823:
	s_and_b64 vcc, exec, s[2:3]
	s_cbranch_vccz .LBB22_1833
; %bb.1824:
	v_cvt_f32_f16_e32 v4, v3
	s_mov_b32 s2, 0x43f00000
                                        ; implicit-def: $vgpr5
	v_and_b32_e32 v7, 0x7fffffff, v4
	v_cmp_gt_u32_e32 vcc, s2, v7
	s_and_saveexec_b64 s[2:3], vcc
	s_xor_b64 s[2:3], exec, s[2:3]
	s_cbranch_execz .LBB22_1830
; %bb.1825:
	s_mov_b32 s4, 0x3c7fffff
	v_cmp_lt_u32_e32 vcc, s4, v7
                                        ; implicit-def: $vgpr5
	s_and_saveexec_b64 s[4:5], vcc
	s_xor_b64 s[4:5], exec, s[4:5]
; %bb.1826:
	v_bfe_u32 v5, v4, 20, 1
	s_mov_b32 s10, 0x407ffff
	v_add3_u32 v5, v4, v5, s10
	v_lshrrev_b32_e32 v7, 20, v5
	v_and_b32_e32 v5, 0xff00000, v5
	s_mov_b32 s10, 0x7f00000
	v_mov_b32_e32 v8, 0x7e
	v_cmp_ne_u32_e32 vcc, s10, v5
	v_cndmask_b32_e32 v5, v8, v7, vcc
; %bb.1827:
	s_andn2_saveexec_b64 s[4:5], s[4:5]
; %bb.1828:
	s_mov_b32 s10, 0x46800000
	v_add_f32_e64 v5, |v4|, s10
; %bb.1829:
	s_or_b64 exec, exec, s[4:5]
                                        ; implicit-def: $vgpr7
.LBB22_1830:
	s_andn2_saveexec_b64 s[2:3], s[2:3]
; %bb.1831:
	s_mov_b32 s4, 0x7f800000
	v_mov_b32_e32 v5, 0x7e
	v_mov_b32_e32 v8, 0x7f
	v_cmp_lt_u32_e32 vcc, s4, v7
	v_cndmask_b32_e32 v5, v5, v8, vcc
; %bb.1832:
	s_or_b64 exec, exec, s[2:3]
	v_lshrrev_b32_e32 v4, 24, v4
	s_movk_i32 s2, 0x80
	v_and_or_b32 v4, v4, s2, v5
	global_store_byte v[0:1], v4, off
.LBB22_1833:
	s_mov_b64 s[2:3], 0
.LBB22_1834:
	s_andn2_b64 vcc, exec, s[2:3]
	s_cbranch_vccnz .LBB22_1844
; %bb.1835:
	v_cvt_f32_f16_e32 v4, v3
	s_mov_b32 s2, 0x47800000
                                        ; implicit-def: $vgpr5
	v_and_b32_e32 v7, 0x7fffffff, v4
	v_cmp_gt_u32_e32 vcc, s2, v7
	s_and_saveexec_b64 s[2:3], vcc
	s_xor_b64 s[2:3], exec, s[2:3]
	s_cbranch_execz .LBB22_1841
; %bb.1836:
	s_mov_b32 s4, 0x387fffff
	v_cmp_lt_u32_e32 vcc, s4, v7
                                        ; implicit-def: $vgpr5
	s_and_saveexec_b64 s[4:5], vcc
	s_xor_b64 s[4:5], exec, s[4:5]
; %bb.1837:
	v_bfe_u32 v5, v4, 21, 1
	s_mov_b32 s10, 0x80fffff
	v_add3_u32 v5, v4, v5, s10
	v_lshrrev_b32_e32 v5, 21, v5
; %bb.1838:
	s_andn2_saveexec_b64 s[4:5], s[4:5]
; %bb.1839:
	s_mov_b32 s10, 0x43000000
	v_add_f32_e64 v5, |v4|, s10
; %bb.1840:
	s_or_b64 exec, exec, s[4:5]
                                        ; implicit-def: $vgpr7
.LBB22_1841:
	s_andn2_saveexec_b64 s[2:3], s[2:3]
; %bb.1842:
	s_mov_b32 s4, 0x7f800000
	v_mov_b32_e32 v5, 0x7c
	v_mov_b32_e32 v8, 0x7f
	v_cmp_lt_u32_e32 vcc, s4, v7
	v_cndmask_b32_e32 v5, v5, v8, vcc
; %bb.1843:
	s_or_b64 exec, exec, s[2:3]
	v_lshrrev_b32_e32 v4, 24, v4
	s_movk_i32 s2, 0x80
	v_and_or_b32 v4, v4, s2, v5
	global_store_byte v[0:1], v4, off
.LBB22_1844:
	s_mov_b64 s[2:3], 0
	s_mov_b64 s[4:5], -1
.LBB22_1845:
	s_andn2_b64 vcc, exec, s[2:3]
	s_mov_b64 s[2:3], 0
	s_cbranch_vccnz .LBB22_1852
; %bb.1846:
	s_cmp_gt_i32 s19, 14
	s_mov_b64 s[10:11], -1
	s_cbranch_scc0 .LBB22_1850
; %bb.1847:
	s_cmp_eq_u32 s19, 15
	s_mov_b64 s[0:1], -1
	s_cbranch_scc0 .LBB22_1849
; %bb.1848:
	v_cvt_f32_f16_e32 v4, v3
	s_movk_i32 s0, 0x7fff
	v_cmp_o_f16_e32 vcc, v3, v3
	v_mov_b32_e32 v5, 0x7fc0
	v_bfe_u32 v7, v4, 16, 1
	v_add3_u32 v4, v4, v7, s0
	v_cndmask_b32_sdwa v4, v5, v4, vcc dst_sel:DWORD dst_unused:UNUSED_PAD src0_sel:DWORD src1_sel:WORD_1
	global_store_short v[0:1], v4, off
	s_mov_b64 s[0:1], 0
	s_mov_b64 s[4:5], -1
.LBB22_1849:
	s_mov_b64 s[10:11], 0
.LBB22_1850:
	s_and_b64 vcc, exec, s[10:11]
	s_cbranch_vccz .LBB22_1852
; %bb.1851:
	s_cmp_lg_u32 s19, 11
	s_mov_b64 s[2:3], -1
	s_cselect_b64 s[0:1], -1, 0
.LBB22_1852:
	s_and_b64 vcc, exec, s[0:1]
	s_cbranch_vccnz .LBB22_2032
; %bb.1853:
	s_andn2_b64 vcc, exec, s[2:3]
	s_cbranch_vccnz .LBB22_1855
.LBB22_1854:
	v_and_b32_e32 v4, 0x7fff, v3
	v_cmp_ne_u16_e32 vcc, 0, v4
	v_cndmask_b32_e64 v4, 0, 1, vcc
	s_mov_b64 s[4:5], -1
	global_store_byte v[0:1], v4, off
.LBB22_1855:
	s_mov_b64 s[0:1], 0
	s_branch .LBB22_1857
.LBB22_1856:
	s_mov_b64 s[0:1], -1
	s_mov_b64 s[4:5], 0
.LBB22_1857:
	s_and_b64 vcc, exec, s[0:1]
	s_cbranch_vccz .LBB22_1896
; %bb.1858:
	s_and_b32 s2, 0xffff, s20
	s_cmp_lt_i32 s2, 5
	s_mov_b64 s[0:1], -1
	s_cbranch_scc1 .LBB22_1879
; %bb.1859:
	s_cmp_lt_i32 s2, 8
	s_cbranch_scc1 .LBB22_1869
; %bb.1860:
	s_cmp_lt_i32 s2, 9
	s_cbranch_scc1 .LBB22_1866
; %bb.1861:
	s_cmp_gt_i32 s2, 9
	s_cbranch_scc0 .LBB22_1863
; %bb.1862:
	v_cvt_f32_f16_e32 v4, v3
	v_mov_b32_e32 v9, 0
	v_mov_b32_e32 v10, v9
	s_mov_b64 s[0:1], 0
	v_cvt_f64_f32_e32 v[7:8], v4
	global_store_dwordx4 v[0:1], v[7:10], off
.LBB22_1863:
	s_andn2_b64 vcc, exec, s[0:1]
	s_cbranch_vccnz .LBB22_1865
; %bb.1864:
	v_cvt_f32_f16_e32 v4, v3
	v_mov_b32_e32 v5, 0
	global_store_dwordx2 v[0:1], v[4:5], off
.LBB22_1865:
	s_mov_b64 s[0:1], 0
.LBB22_1866:
	s_andn2_b64 vcc, exec, s[0:1]
	s_cbranch_vccnz .LBB22_1868
; %bb.1867:
	v_and_b32_e32 v4, 0xffff, v3
	global_store_dword v[0:1], v4, off
.LBB22_1868:
	s_mov_b64 s[0:1], 0
.LBB22_1869:
	s_andn2_b64 vcc, exec, s[0:1]
	s_cbranch_vccnz .LBB22_1878
; %bb.1870:
	s_cmp_lt_i32 s2, 6
	s_mov_b64 s[0:1], -1
	s_cbranch_scc1 .LBB22_1876
; %bb.1871:
	s_cmp_gt_i32 s2, 6
	s_cbranch_scc0 .LBB22_1873
; %bb.1872:
	v_cvt_f32_f16_e32 v4, v3
	s_mov_b64 s[0:1], 0
	v_cvt_f64_f32_e32 v[4:5], v4
	global_store_dwordx2 v[0:1], v[4:5], off
.LBB22_1873:
	s_andn2_b64 vcc, exec, s[0:1]
	s_cbranch_vccnz .LBB22_1875
; %bb.1874:
	v_cvt_f32_f16_e32 v4, v3
	global_store_dword v[0:1], v4, off
.LBB22_1875:
	s_mov_b64 s[0:1], 0
.LBB22_1876:
	s_andn2_b64 vcc, exec, s[0:1]
	s_cbranch_vccnz .LBB22_1878
; %bb.1877:
	global_store_short v[0:1], v3, off
.LBB22_1878:
	s_mov_b64 s[0:1], 0
.LBB22_1879:
	s_andn2_b64 vcc, exec, s[0:1]
	s_cbranch_vccnz .LBB22_1895
; %bb.1880:
	s_cmp_lt_i32 s2, 2
	s_mov_b64 s[0:1], -1
	s_cbranch_scc1 .LBB22_1890
; %bb.1881:
	s_cmp_lt_i32 s2, 3
	s_cbranch_scc1 .LBB22_1887
; %bb.1882:
	s_cmp_gt_i32 s2, 3
	s_cbranch_scc0 .LBB22_1884
; %bb.1883:
	v_cvt_f32_f16_e32 v4, v3
	s_mov_b64 s[0:1], 0
	v_cvt_i32_f32_e32 v4, v4
	v_ashrrev_i32_e32 v5, 31, v4
	global_store_dwordx2 v[0:1], v[4:5], off
.LBB22_1884:
	s_andn2_b64 vcc, exec, s[0:1]
	s_cbranch_vccnz .LBB22_1886
; %bb.1885:
	v_cvt_f32_f16_e32 v4, v3
	v_cvt_i32_f32_e32 v4, v4
	global_store_dword v[0:1], v4, off
.LBB22_1886:
	s_mov_b64 s[0:1], 0
.LBB22_1887:
	s_andn2_b64 vcc, exec, s[0:1]
	s_cbranch_vccnz .LBB22_1889
; %bb.1888:
	v_cvt_i16_f16_e32 v4, v3
	global_store_short v[0:1], v4, off
.LBB22_1889:
	s_mov_b64 s[0:1], 0
.LBB22_1890:
	s_andn2_b64 vcc, exec, s[0:1]
	s_cbranch_vccnz .LBB22_1895
; %bb.1891:
	s_cmp_gt_i32 s2, 0
	s_mov_b64 s[0:1], -1
	s_cbranch_scc0 .LBB22_1893
; %bb.1892:
	v_cvt_i16_f16_e32 v4, v3
	global_store_byte v[0:1], v4, off
	s_mov_b64 s[0:1], 0
.LBB22_1893:
	s_andn2_b64 vcc, exec, s[0:1]
	s_cbranch_vccnz .LBB22_1895
; %bb.1894:
	v_cvt_f32_f16_e32 v3, v3
	v_cvt_i32_f32_e32 v3, v3
	global_store_byte v[0:1], v3, off
.LBB22_1895:
	s_mov_b64 s[4:5], -1
.LBB22_1896:
	s_andn2_b64 vcc, exec, s[4:5]
	s_cbranch_vccnz .LBB22_1973
; %bb.1897:
	v_cmp_nge_f16_e64 s[0:1], v6, -s33
	v_cmp_nge_f16_e32 vcc, s33, v6
	s_or_b64 vcc, s[0:1], vcc
	v_add_u32_e32 v0, s18, v2
	v_cndmask_b32_e32 v3, 0, v6, vcc
	v_ashrrev_i32_e32 v1, 31, v0
	v_mov_b32_e32 v2, s9
	v_add_co_u32_e32 v0, vcc, s8, v0
	s_cmp_lt_i32 s20, 11
	v_addc_co_u32_e32 v1, vcc, v2, v1, vcc
	s_cbranch_scc1 .LBB22_2018
; %bb.1898:
	s_and_b32 s16, 0xffff, s20
	s_mov_b64 s[4:5], -1
	s_mov_b64 s[2:3], 0
	s_cmp_gt_i32 s16, 25
	s_mov_b64 s[0:1], 0
	s_cbranch_scc0 .LBB22_1931
; %bb.1899:
	s_cmp_gt_i32 s16, 28
	s_cbranch_scc0 .LBB22_1915
; %bb.1900:
	s_cmp_gt_i32 s16, 43
	;; [unrolled: 3-line block ×3, first 2 shown]
	s_cbranch_scc0 .LBB22_1905
; %bb.1902:
	s_cmp_eq_u32 s16, 46
	s_mov_b64 s[0:1], -1
	s_cbranch_scc0 .LBB22_1904
; %bb.1903:
	v_cvt_f32_f16_e32 v2, v3
	s_movk_i32 s0, 0x7fff
	v_cmp_o_f16_e32 vcc, v3, v3
	v_mov_b32_e32 v4, 0x7fc0
	v_bfe_u32 v5, v2, 16, 1
	v_add3_u32 v2, v2, v5, s0
	v_cndmask_b32_sdwa v2, v4, v2, vcc dst_sel:DWORD dst_unused:UNUSED_PAD src0_sel:DWORD src1_sel:WORD_1
	global_store_dword v[0:1], v2, off
	s_mov_b64 s[0:1], 0
.LBB22_1904:
	s_mov_b64 s[4:5], 0
.LBB22_1905:
	s_and_b64 vcc, exec, s[4:5]
	s_cbranch_vccz .LBB22_1910
; %bb.1906:
	s_cmp_eq_u32 s16, 44
	s_mov_b64 s[0:1], -1
	s_cbranch_scc0 .LBB22_1910
; %bb.1907:
	v_cvt_f32_f16_e32 v2, v3
	s_movk_i32 s0, 0xff
	v_mov_b32_e32 v5, 0xff
	v_bfe_u32 v4, v2, 23, 8
	v_cmp_ne_u32_e32 vcc, s0, v4
	s_and_saveexec_b64 s[4:5], vcc
; %bb.1908:
	s_mov_b32 s0, 0x3fffff
	v_lshrrev_b32_e32 v5, 23, v2
	v_and_b32_e32 v6, 0x400000, v2
	v_and_or_b32 v2, v2, s0, v4
	v_cmp_ne_u32_e32 vcc, 0, v6
	v_cmp_ne_u32_e64 s[0:1], 0, v2
	s_and_b64 s[0:1], vcc, s[0:1]
	v_cndmask_b32_e64 v2, 0, 1, s[0:1]
	v_add_u32_e32 v5, v5, v2
; %bb.1909:
	s_or_b64 exec, exec, s[4:5]
	s_mov_b64 s[0:1], 0
	global_store_byte v[0:1], v5, off
.LBB22_1910:
	s_mov_b64 s[4:5], 0
.LBB22_1911:
	s_and_b64 vcc, exec, s[4:5]
	s_cbranch_vccz .LBB22_1914
; %bb.1912:
	s_cmp_eq_u32 s16, 29
	s_mov_b64 s[0:1], -1
	s_cbranch_scc0 .LBB22_1914
; %bb.1913:
	v_cvt_f32_f16_e32 v2, v3
	v_mov_b32_e32 v5, 0
	s_mov_b64 s[0:1], 0
	v_cvt_u32_f32_e32 v4, v2
	global_store_dwordx2 v[0:1], v[4:5], off
.LBB22_1914:
	s_mov_b64 s[4:5], 0
.LBB22_1915:
	s_and_b64 vcc, exec, s[4:5]
	s_cbranch_vccz .LBB22_1930
; %bb.1916:
	s_cmp_lt_i32 s16, 27
	s_mov_b64 s[4:5], -1
	s_cbranch_scc1 .LBB22_1922
; %bb.1917:
	s_cmp_gt_i32 s16, 27
	s_cbranch_scc0 .LBB22_1919
; %bb.1918:
	v_cvt_f32_f16_e32 v2, v3
	s_mov_b64 s[4:5], 0
	v_cvt_u32_f32_e32 v2, v2
	global_store_dword v[0:1], v2, off
.LBB22_1919:
	s_andn2_b64 vcc, exec, s[4:5]
	s_cbranch_vccnz .LBB22_1921
; %bb.1920:
	v_cvt_u16_f16_e32 v2, v3
	global_store_short v[0:1], v2, off
.LBB22_1921:
	s_mov_b64 s[4:5], 0
.LBB22_1922:
	s_andn2_b64 vcc, exec, s[4:5]
	s_cbranch_vccnz .LBB22_1930
; %bb.1923:
	v_cvt_f32_f16_e32 v2, v3
	s_mov_b32 s4, 0x43800000
	v_mov_b32_e32 v5, 0x80
	v_and_b32_e32 v4, 0x7fffffff, v2
	v_cmp_gt_u32_e32 vcc, s4, v4
	s_and_saveexec_b64 s[4:5], vcc
	s_cbranch_execz .LBB22_1929
; %bb.1924:
	s_mov_b32 s8, 0x3bffffff
	v_cmp_lt_u32_e32 vcc, s8, v4
	s_mov_b64 s[8:9], 0
                                        ; implicit-def: $vgpr4
	s_and_saveexec_b64 s[10:11], vcc
	s_xor_b64 s[10:11], exec, s[10:11]
	s_cbranch_execz .LBB22_2035
; %bb.1925:
	v_bfe_u32 v4, v2, 20, 1
	s_mov_b32 s17, 0x487ffff
	v_add3_u32 v4, v2, v4, s17
	s_mov_b64 s[8:9], exec
	v_lshrrev_b32_e32 v4, 20, v4
	s_andn2_saveexec_b64 s[10:11], s[10:11]
	s_cbranch_execnz .LBB22_2036
.LBB22_1926:
	s_or_b64 exec, exec, s[10:11]
	v_mov_b32_e32 v5, 0
	s_and_saveexec_b64 s[10:11], s[8:9]
.LBB22_1927:
	v_lshrrev_b32_e32 v2, 24, v2
	s_movk_i32 s8, 0x80
	v_and_or_b32 v5, v2, s8, v4
.LBB22_1928:
	s_or_b64 exec, exec, s[10:11]
.LBB22_1929:
	s_or_b64 exec, exec, s[4:5]
	global_store_byte v[0:1], v5, off
.LBB22_1930:
	s_mov_b64 s[4:5], 0
.LBB22_1931:
	s_and_b64 vcc, exec, s[4:5]
	s_cbranch_vccz .LBB22_1971
; %bb.1932:
	s_cmp_gt_i32 s16, 22
	s_mov_b64 s[2:3], -1
	s_cbranch_scc0 .LBB22_1964
; %bb.1933:
	s_cmp_lt_i32 s16, 24
	s_cbranch_scc1 .LBB22_1953
; %bb.1934:
	s_cmp_gt_i32 s16, 24
	s_cbranch_scc0 .LBB22_1942
; %bb.1935:
	v_cvt_f32_f16_e32 v2, v3
	s_mov_b32 s2, 0x47800000
	v_mov_b32_e32 v5, 0x80
	v_and_b32_e32 v4, 0x7fffffff, v2
	v_cmp_gt_u32_e32 vcc, s2, v4
	s_and_saveexec_b64 s[2:3], vcc
	s_cbranch_execz .LBB22_1941
; %bb.1936:
	s_mov_b32 s4, 0x37ffffff
	v_cmp_lt_u32_e32 vcc, s4, v4
	s_mov_b64 s[4:5], 0
                                        ; implicit-def: $vgpr4
	s_and_saveexec_b64 s[8:9], vcc
	s_xor_b64 s[8:9], exec, s[8:9]
	s_cbranch_execz .LBB22_2038
; %bb.1937:
	v_bfe_u32 v4, v2, 21, 1
	s_mov_b32 s10, 0x88fffff
	v_add3_u32 v4, v2, v4, s10
	s_mov_b64 s[4:5], exec
	v_lshrrev_b32_e32 v4, 21, v4
	s_andn2_saveexec_b64 s[8:9], s[8:9]
	s_cbranch_execnz .LBB22_2039
.LBB22_1938:
	s_or_b64 exec, exec, s[8:9]
	v_mov_b32_e32 v5, 0
	s_and_saveexec_b64 s[8:9], s[4:5]
.LBB22_1939:
	v_lshrrev_b32_e32 v2, 24, v2
	s_movk_i32 s4, 0x80
	v_and_or_b32 v5, v2, s4, v4
.LBB22_1940:
	s_or_b64 exec, exec, s[8:9]
.LBB22_1941:
	s_or_b64 exec, exec, s[2:3]
	s_mov_b64 s[2:3], 0
	global_store_byte v[0:1], v5, off
.LBB22_1942:
	s_and_b64 vcc, exec, s[2:3]
	s_cbranch_vccz .LBB22_1952
; %bb.1943:
	v_cvt_f32_f16_e32 v2, v3
	s_mov_b32 s2, 0x43f00000
                                        ; implicit-def: $vgpr4
	v_and_b32_e32 v5, 0x7fffffff, v2
	v_cmp_gt_u32_e32 vcc, s2, v5
	s_and_saveexec_b64 s[2:3], vcc
	s_xor_b64 s[2:3], exec, s[2:3]
	s_cbranch_execz .LBB22_1949
; %bb.1944:
	s_mov_b32 s4, 0x3c7fffff
	v_cmp_lt_u32_e32 vcc, s4, v5
                                        ; implicit-def: $vgpr4
	s_and_saveexec_b64 s[4:5], vcc
	s_xor_b64 s[4:5], exec, s[4:5]
; %bb.1945:
	v_bfe_u32 v4, v2, 20, 1
	s_mov_b32 s8, 0x407ffff
	v_add3_u32 v4, v2, v4, s8
	v_lshrrev_b32_e32 v5, 20, v4
	v_and_b32_e32 v4, 0xff00000, v4
	s_mov_b32 s8, 0x7f00000
	v_mov_b32_e32 v6, 0x7e
	v_cmp_ne_u32_e32 vcc, s8, v4
	v_cndmask_b32_e32 v4, v6, v5, vcc
; %bb.1946:
	s_andn2_saveexec_b64 s[4:5], s[4:5]
; %bb.1947:
	s_mov_b32 s8, 0x46800000
	v_add_f32_e64 v4, |v2|, s8
; %bb.1948:
	s_or_b64 exec, exec, s[4:5]
                                        ; implicit-def: $vgpr5
.LBB22_1949:
	s_andn2_saveexec_b64 s[2:3], s[2:3]
; %bb.1950:
	s_mov_b32 s4, 0x7f800000
	v_mov_b32_e32 v4, 0x7e
	v_mov_b32_e32 v6, 0x7f
	v_cmp_lt_u32_e32 vcc, s4, v5
	v_cndmask_b32_e32 v4, v4, v6, vcc
; %bb.1951:
	s_or_b64 exec, exec, s[2:3]
	v_lshrrev_b32_e32 v2, 24, v2
	s_movk_i32 s2, 0x80
	v_and_or_b32 v2, v2, s2, v4
	global_store_byte v[0:1], v2, off
.LBB22_1952:
	s_mov_b64 s[2:3], 0
.LBB22_1953:
	s_andn2_b64 vcc, exec, s[2:3]
	s_cbranch_vccnz .LBB22_1963
; %bb.1954:
	v_cvt_f32_f16_e32 v2, v3
	s_mov_b32 s2, 0x47800000
                                        ; implicit-def: $vgpr4
	v_and_b32_e32 v5, 0x7fffffff, v2
	v_cmp_gt_u32_e32 vcc, s2, v5
	s_and_saveexec_b64 s[2:3], vcc
	s_xor_b64 s[2:3], exec, s[2:3]
	s_cbranch_execz .LBB22_1960
; %bb.1955:
	s_mov_b32 s4, 0x387fffff
	v_cmp_lt_u32_e32 vcc, s4, v5
                                        ; implicit-def: $vgpr4
	s_and_saveexec_b64 s[4:5], vcc
	s_xor_b64 s[4:5], exec, s[4:5]
; %bb.1956:
	v_bfe_u32 v4, v2, 21, 1
	s_mov_b32 s8, 0x80fffff
	v_add3_u32 v4, v2, v4, s8
	v_lshrrev_b32_e32 v4, 21, v4
; %bb.1957:
	s_andn2_saveexec_b64 s[4:5], s[4:5]
; %bb.1958:
	s_mov_b32 s8, 0x43000000
	v_add_f32_e64 v4, |v2|, s8
; %bb.1959:
	s_or_b64 exec, exec, s[4:5]
                                        ; implicit-def: $vgpr5
.LBB22_1960:
	s_andn2_saveexec_b64 s[2:3], s[2:3]
; %bb.1961:
	s_mov_b32 s4, 0x7f800000
	v_mov_b32_e32 v4, 0x7c
	v_mov_b32_e32 v6, 0x7f
	v_cmp_lt_u32_e32 vcc, s4, v5
	v_cndmask_b32_e32 v4, v4, v6, vcc
; %bb.1962:
	s_or_b64 exec, exec, s[2:3]
	v_lshrrev_b32_e32 v2, 24, v2
	s_movk_i32 s2, 0x80
	v_and_or_b32 v2, v2, s2, v4
	global_store_byte v[0:1], v2, off
.LBB22_1963:
	s_mov_b64 s[2:3], 0
.LBB22_1964:
	s_andn2_b64 vcc, exec, s[2:3]
	s_mov_b64 s[2:3], 0
	s_cbranch_vccnz .LBB22_1971
; %bb.1965:
	s_cmp_gt_i32 s16, 14
	s_mov_b64 s[4:5], -1
	s_cbranch_scc0 .LBB22_1969
; %bb.1966:
	s_cmp_eq_u32 s16, 15
	s_mov_b64 s[0:1], -1
	s_cbranch_scc0 .LBB22_1968
; %bb.1967:
	v_cvt_f32_f16_e32 v2, v3
	s_movk_i32 s0, 0x7fff
	v_cmp_o_f16_e32 vcc, v3, v3
	v_mov_b32_e32 v4, 0x7fc0
	v_bfe_u32 v5, v2, 16, 1
	v_add3_u32 v2, v2, v5, s0
	v_cndmask_b32_sdwa v2, v4, v2, vcc dst_sel:DWORD dst_unused:UNUSED_PAD src0_sel:DWORD src1_sel:WORD_1
	global_store_short v[0:1], v2, off
	s_mov_b64 s[0:1], 0
.LBB22_1968:
	s_mov_b64 s[4:5], 0
.LBB22_1969:
	s_and_b64 vcc, exec, s[4:5]
	s_cbranch_vccz .LBB22_1971
; %bb.1970:
	s_cmp_lg_u32 s16, 11
	s_mov_b64 s[2:3], -1
	s_cselect_b64 s[0:1], -1, 0
.LBB22_1971:
	s_and_b64 vcc, exec, s[0:1]
	s_cbranch_vccnz .LBB22_2037
.LBB22_1972:
	s_mov_b64 s[0:1], 0
	s_branch .LBB22_1974
.LBB22_1973:
	s_mov_b64 s[0:1], 0
	s_mov_b64 s[2:3], 0
                                        ; implicit-def: $sgpr20
                                        ; implicit-def: $vgpr0_vgpr1
                                        ; implicit-def: $vgpr3
.LBB22_1974:
	s_and_b64 s[4:5], s[2:3], exec
	s_andn2_b64 s[2:3], s[12:13], exec
	s_and_b64 s[8:9], s[14:15], exec
	s_and_b64 s[0:1], s[0:1], exec
	s_or_b64 s[12:13], s[2:3], s[8:9]
.LBB22_1975:
	s_or_b64 exec, exec, s[6:7]
	s_and_saveexec_b64 s[2:3], s[12:13]
	s_cbranch_execz .LBB22_1978
; %bb.1976:
	; divergent unreachable
	s_or_b64 exec, exec, s[2:3]
	s_and_saveexec_b64 s[2:3], s[4:5]
	s_xor_b64 s[2:3], exec, s[2:3]
	s_cbranch_execnz .LBB22_1979
.LBB22_1977:
	s_or_b64 exec, exec, s[2:3]
	s_and_saveexec_b64 s[2:3], s[0:1]
	s_cbranch_execnz .LBB22_1980
	s_branch .LBB22_2017
.LBB22_1978:
	s_or_b64 exec, exec, s[2:3]
	s_and_saveexec_b64 s[2:3], s[4:5]
	s_xor_b64 s[2:3], exec, s[2:3]
	s_cbranch_execz .LBB22_1977
.LBB22_1979:
	s_waitcnt vmcnt(0)
	v_and_b32_e32 v2, 0x7fff, v3
	v_cmp_ne_u16_e32 vcc, 0, v2
	v_cndmask_b32_e64 v2, 0, 1, vcc
	global_store_byte v[0:1], v2, off
	s_or_b64 exec, exec, s[2:3]
	s_and_saveexec_b64 s[2:3], s[0:1]
	s_cbranch_execz .LBB22_2017
.LBB22_1980:
	s_sext_i32_i16 s2, s20
	s_cmp_lt_i32 s2, 5
	s_mov_b64 s[0:1], -1
	s_cbranch_scc1 .LBB22_2001
; %bb.1981:
	s_cmp_lt_i32 s2, 8
	s_cbranch_scc1 .LBB22_1991
; %bb.1982:
	s_cmp_lt_i32 s2, 9
	s_cbranch_scc1 .LBB22_1988
; %bb.1983:
	s_cmp_gt_i32 s2, 9
	s_cbranch_scc0 .LBB22_1985
; %bb.1984:
	s_waitcnt vmcnt(0)
	v_cvt_f32_f16_e32 v2, v3
	v_mov_b32_e32 v6, 0
	v_mov_b32_e32 v7, v6
	s_mov_b64 s[0:1], 0
	v_cvt_f64_f32_e32 v[4:5], v2
	global_store_dwordx4 v[0:1], v[4:7], off
.LBB22_1985:
	s_andn2_b64 vcc, exec, s[0:1]
	s_cbranch_vccnz .LBB22_1987
; %bb.1986:
	s_waitcnt vmcnt(0)
	v_cvt_f32_f16_e32 v4, v3
	v_mov_b32_e32 v5, 0
	global_store_dwordx2 v[0:1], v[4:5], off
.LBB22_1987:
	s_mov_b64 s[0:1], 0
.LBB22_1988:
	s_andn2_b64 vcc, exec, s[0:1]
	s_cbranch_vccnz .LBB22_1990
; %bb.1989:
	s_waitcnt vmcnt(0)
	v_and_b32_e32 v2, 0xffff, v3
	global_store_dword v[0:1], v2, off
.LBB22_1990:
	s_mov_b64 s[0:1], 0
.LBB22_1991:
	s_andn2_b64 vcc, exec, s[0:1]
	s_cbranch_vccnz .LBB22_2000
; %bb.1992:
	s_sext_i32_i16 s2, s20
	s_cmp_lt_i32 s2, 6
	s_mov_b64 s[0:1], -1
	s_cbranch_scc1 .LBB22_1998
; %bb.1993:
	s_cmp_gt_i32 s2, 6
	s_cbranch_scc0 .LBB22_1995
; %bb.1994:
	s_waitcnt vmcnt(0)
	v_cvt_f32_f16_e32 v2, v3
	s_mov_b64 s[0:1], 0
	v_cvt_f64_f32_e32 v[4:5], v2
	global_store_dwordx2 v[0:1], v[4:5], off
.LBB22_1995:
	s_andn2_b64 vcc, exec, s[0:1]
	s_cbranch_vccnz .LBB22_1997
; %bb.1996:
	s_waitcnt vmcnt(0)
	v_cvt_f32_f16_e32 v2, v3
	global_store_dword v[0:1], v2, off
.LBB22_1997:
	s_mov_b64 s[0:1], 0
.LBB22_1998:
	s_andn2_b64 vcc, exec, s[0:1]
	s_cbranch_vccnz .LBB22_2000
; %bb.1999:
	s_waitcnt vmcnt(0)
	global_store_short v[0:1], v3, off
.LBB22_2000:
	s_mov_b64 s[0:1], 0
.LBB22_2001:
	s_andn2_b64 vcc, exec, s[0:1]
	s_cbranch_vccnz .LBB22_2017
; %bb.2002:
	s_sext_i32_i16 s2, s20
	s_cmp_lt_i32 s2, 2
	s_mov_b64 s[0:1], -1
	s_cbranch_scc1 .LBB22_2012
; %bb.2003:
	s_cmp_lt_i32 s2, 3
	s_cbranch_scc1 .LBB22_2009
; %bb.2004:
	s_cmp_gt_i32 s2, 3
	s_cbranch_scc0 .LBB22_2006
; %bb.2005:
	s_waitcnt vmcnt(0)
	v_cvt_f32_f16_e32 v2, v3
	s_mov_b64 s[0:1], 0
	v_cvt_i32_f32_e32 v4, v2
	v_ashrrev_i32_e32 v5, 31, v4
	global_store_dwordx2 v[0:1], v[4:5], off
.LBB22_2006:
	s_andn2_b64 vcc, exec, s[0:1]
	s_cbranch_vccnz .LBB22_2008
; %bb.2007:
	s_waitcnt vmcnt(0)
	v_cvt_f32_f16_e32 v2, v3
	v_cvt_i32_f32_e32 v2, v2
	global_store_dword v[0:1], v2, off
.LBB22_2008:
	s_mov_b64 s[0:1], 0
.LBB22_2009:
	s_andn2_b64 vcc, exec, s[0:1]
	s_cbranch_vccnz .LBB22_2011
; %bb.2010:
	s_waitcnt vmcnt(0)
	v_cvt_i16_f16_e32 v2, v3
	global_store_short v[0:1], v2, off
.LBB22_2011:
	s_mov_b64 s[0:1], 0
.LBB22_2012:
	s_andn2_b64 vcc, exec, s[0:1]
	s_cbranch_vccnz .LBB22_2017
; %bb.2013:
	s_sext_i32_i16 s0, s20
	s_cmp_gt_i32 s0, 0
	s_mov_b64 s[0:1], -1
	s_cbranch_scc0 .LBB22_2015
; %bb.2014:
	s_waitcnt vmcnt(0)
	v_cvt_i16_f16_e32 v2, v3
	global_store_byte v[0:1], v2, off
	s_mov_b64 s[0:1], 0
.LBB22_2015:
	s_andn2_b64 vcc, exec, s[0:1]
	s_cbranch_vccnz .LBB22_2017
; %bb.2016:
	s_waitcnt vmcnt(0)
	v_cvt_f32_f16_e32 v2, v3
	v_cvt_i32_f32_e32 v2, v2
	global_store_byte v[0:1], v2, off
	s_endpgm
.LBB22_2017:
	s_endpgm
.LBB22_2018:
	s_mov_b64 s[2:3], 0
	s_mov_b64 s[0:1], -1
	s_branch .LBB22_1974
.LBB22_2019:
	s_trap 2
	s_or_b64 s[14:15], s[14:15], exec
	s_cbranch_execz .LBB22_1488
	s_branch .LBB22_1489
.LBB22_2020:
	s_andn2_saveexec_b64 s[18:19], s[18:19]
	s_cbranch_execz .LBB22_1568
.LBB22_2021:
	s_mov_b32 s21, 0x46000000
	v_add_f32_e64 v8, |v7|, s21
	v_and_b32_e32 v8, 0xff, v8
	v_cmp_ne_u32_e32 vcc, 0, v8
	s_andn2_b64 s[16:17], s[16:17], exec
	s_and_b64 s[22:23], vcc, exec
	s_or_b64 s[16:17], s[16:17], s[22:23]
	s_or_b64 exec, exec, s[18:19]
	v_mov_b32_e32 v9, 0
	s_and_saveexec_b64 s[18:19], s[16:17]
	s_cbranch_execnz .LBB22_1569
	s_branch .LBB22_1570
.LBB22_2022:
	s_trap 2
	s_or_b64 s[14:15], s[14:15], exec
	s_cbranch_execz .LBB22_1616
	s_branch .LBB22_1617
.LBB22_2023:
	s_andn2_saveexec_b64 s[16:17], s[16:17]
	s_cbranch_execz .LBB22_1581
.LBB22_2024:
	s_mov_b32 s18, 0x42800000
	v_add_f32_e64 v8, |v7|, s18
	v_and_b32_e32 v8, 0xff, v8
	v_cmp_ne_u32_e32 vcc, 0, v8
	s_andn2_b64 s[10:11], s[10:11], exec
	s_and_b64 s[18:19], vcc, exec
	s_or_b64 s[10:11], s[10:11], s[18:19]
	s_or_b64 exec, exec, s[16:17]
	v_mov_b32_e32 v9, 0
	s_and_saveexec_b64 s[16:17], s[10:11]
	s_cbranch_execnz .LBB22_1582
	s_branch .LBB22_1583
.LBB22_2025:
	s_andn2_saveexec_b64 s[16:17], s[16:17]
	s_cbranch_execz .LBB22_1687
.LBB22_2026:
	s_mov_b32 s21, 0x46000000
	v_add_f32_e64 v7, |v4|, s21
	v_and_b32_e32 v7, 0xff, v7
	v_cmp_ne_u32_e32 vcc, 0, v7
	s_andn2_b64 s[10:11], s[10:11], exec
	s_and_b64 s[22:23], vcc, exec
	s_or_b64 s[10:11], s[10:11], s[22:23]
	s_or_b64 exec, exec, s[16:17]
	v_mov_b32_e32 v8, 0
	s_and_saveexec_b64 s[16:17], s[10:11]
	s_cbranch_execnz .LBB22_1688
	s_branch .LBB22_1689
.LBB22_2027:
	s_trap 2
	s_or_b64 s[14:15], s[14:15], exec
	s_cbranch_execz .LBB22_1735
	s_branch .LBB22_1736
.LBB22_2028:
	s_andn2_saveexec_b64 s[10:11], s[10:11]
	s_cbranch_execz .LBB22_1700
.LBB22_2029:
	s_mov_b32 s16, 0x42800000
	v_add_f32_e64 v7, |v4|, s16
	v_and_b32_e32 v7, 0xff, v7
	v_cmp_ne_u32_e32 vcc, 0, v7
	s_andn2_b64 s[4:5], s[4:5], exec
	s_and_b64 s[16:17], vcc, exec
	s_or_b64 s[4:5], s[4:5], s[16:17]
	s_or_b64 exec, exec, s[10:11]
	v_mov_b32_e32 v8, 0
	s_and_saveexec_b64 s[10:11], s[4:5]
	s_cbranch_execnz .LBB22_1701
	s_branch .LBB22_1702
.LBB22_2030:
	s_andn2_saveexec_b64 s[16:17], s[16:17]
	s_cbranch_execz .LBB22_1806
.LBB22_2031:
	s_mov_b32 s21, 0x46000000
	v_add_f32_e64 v5, |v4|, s21
	v_and_b32_e32 v5, 0xff, v5
	v_cmp_ne_u32_e32 vcc, 0, v5
	s_andn2_b64 s[10:11], s[10:11], exec
	s_and_b64 s[22:23], vcc, exec
	s_or_b64 s[10:11], s[10:11], s[22:23]
	s_or_b64 exec, exec, s[16:17]
	v_mov_b32_e32 v7, 0
	s_and_saveexec_b64 s[16:17], s[10:11]
	s_cbranch_execnz .LBB22_1807
	s_branch .LBB22_1808
.LBB22_2032:
	s_trap 2
	s_or_b64 s[14:15], s[14:15], exec
	s_cbranch_execz .LBB22_1854
	s_branch .LBB22_1855
.LBB22_2033:
	s_andn2_saveexec_b64 s[10:11], s[10:11]
	s_cbranch_execz .LBB22_1819
.LBB22_2034:
	s_mov_b32 s16, 0x42800000
	v_add_f32_e64 v5, |v4|, s16
	v_and_b32_e32 v5, 0xff, v5
	v_cmp_ne_u32_e32 vcc, 0, v5
	s_andn2_b64 s[4:5], s[4:5], exec
	s_and_b64 s[16:17], vcc, exec
	s_or_b64 s[4:5], s[4:5], s[16:17]
	s_or_b64 exec, exec, s[10:11]
	v_mov_b32_e32 v7, 0
	s_and_saveexec_b64 s[10:11], s[4:5]
	s_cbranch_execnz .LBB22_1820
	s_branch .LBB22_1821
.LBB22_2035:
	s_andn2_saveexec_b64 s[10:11], s[10:11]
	s_cbranch_execz .LBB22_1926
.LBB22_2036:
	s_mov_b32 s17, 0x46000000
	v_add_f32_e64 v4, |v2|, s17
	v_and_b32_e32 v4, 0xff, v4
	v_cmp_ne_u32_e32 vcc, 0, v4
	s_andn2_b64 s[8:9], s[8:9], exec
	s_and_b64 s[18:19], vcc, exec
	s_or_b64 s[8:9], s[8:9], s[18:19]
	s_or_b64 exec, exec, s[10:11]
	v_mov_b32_e32 v5, 0
	s_and_saveexec_b64 s[10:11], s[8:9]
	s_cbranch_execnz .LBB22_1927
	s_branch .LBB22_1928
.LBB22_2037:
	s_mov_b64 s[2:3], 0
	s_or_b64 s[14:15], s[14:15], exec
	s_trap 2
	s_branch .LBB22_1972
.LBB22_2038:
	s_andn2_saveexec_b64 s[8:9], s[8:9]
	s_cbranch_execz .LBB22_1938
.LBB22_2039:
	s_mov_b32 s10, 0x42800000
	v_add_f32_e64 v4, |v2|, s10
	v_and_b32_e32 v4, 0xff, v4
	v_cmp_ne_u32_e32 vcc, 0, v4
	s_andn2_b64 s[4:5], s[4:5], exec
	s_and_b64 s[10:11], vcc, exec
	s_or_b64 s[4:5], s[4:5], s[10:11]
	s_or_b64 exec, exec, s[8:9]
	v_mov_b32_e32 v5, 0
	s_and_saveexec_b64 s[8:9], s[4:5]
	s_cbranch_execnz .LBB22_1939
	s_branch .LBB22_1940
	.section	.rodata,"a",@progbits
	.p2align	6, 0x0
	.amdhsa_kernel _ZN2at6native32elementwise_kernel_manual_unrollILi128ELi4EZNS0_15gpu_kernel_implIZZZNS0_12_GLOBAL__N_117hardshrink_kernelERNS_18TensorIteratorBaseERKN3c106ScalarEENKUlvE_clEvENKUlvE1_clEvEUlNS6_4HalfEE_EEvS5_RKT_EUlibE_EEviT1_
		.amdhsa_group_segment_fixed_size 0
		.amdhsa_private_segment_fixed_size 0
		.amdhsa_kernarg_size 40
		.amdhsa_user_sgpr_count 6
		.amdhsa_user_sgpr_private_segment_buffer 1
		.amdhsa_user_sgpr_dispatch_ptr 0
		.amdhsa_user_sgpr_queue_ptr 0
		.amdhsa_user_sgpr_kernarg_segment_ptr 1
		.amdhsa_user_sgpr_dispatch_id 0
		.amdhsa_user_sgpr_flat_scratch_init 0
		.amdhsa_user_sgpr_private_segment_size 0
		.amdhsa_uses_dynamic_stack 0
		.amdhsa_system_sgpr_private_segment_wavefront_offset 0
		.amdhsa_system_sgpr_workgroup_id_x 1
		.amdhsa_system_sgpr_workgroup_id_y 0
		.amdhsa_system_sgpr_workgroup_id_z 0
		.amdhsa_system_sgpr_workgroup_info 0
		.amdhsa_system_vgpr_workitem_id 0
		.amdhsa_next_free_vgpr 14
		.amdhsa_next_free_sgpr 45
		.amdhsa_reserve_vcc 1
		.amdhsa_reserve_flat_scratch 0
		.amdhsa_float_round_mode_32 0
		.amdhsa_float_round_mode_16_64 0
		.amdhsa_float_denorm_mode_32 3
		.amdhsa_float_denorm_mode_16_64 3
		.amdhsa_dx10_clamp 1
		.amdhsa_ieee_mode 1
		.amdhsa_fp16_overflow 0
		.amdhsa_exception_fp_ieee_invalid_op 0
		.amdhsa_exception_fp_denorm_src 0
		.amdhsa_exception_fp_ieee_div_zero 0
		.amdhsa_exception_fp_ieee_overflow 0
		.amdhsa_exception_fp_ieee_underflow 0
		.amdhsa_exception_fp_ieee_inexact 0
		.amdhsa_exception_int_div_zero 0
	.end_amdhsa_kernel
	.section	.text._ZN2at6native32elementwise_kernel_manual_unrollILi128ELi4EZNS0_15gpu_kernel_implIZZZNS0_12_GLOBAL__N_117hardshrink_kernelERNS_18TensorIteratorBaseERKN3c106ScalarEENKUlvE_clEvENKUlvE1_clEvEUlNS6_4HalfEE_EEvS5_RKT_EUlibE_EEviT1_,"axG",@progbits,_ZN2at6native32elementwise_kernel_manual_unrollILi128ELi4EZNS0_15gpu_kernel_implIZZZNS0_12_GLOBAL__N_117hardshrink_kernelERNS_18TensorIteratorBaseERKN3c106ScalarEENKUlvE_clEvENKUlvE1_clEvEUlNS6_4HalfEE_EEvS5_RKT_EUlibE_EEviT1_,comdat
.Lfunc_end22:
	.size	_ZN2at6native32elementwise_kernel_manual_unrollILi128ELi4EZNS0_15gpu_kernel_implIZZZNS0_12_GLOBAL__N_117hardshrink_kernelERNS_18TensorIteratorBaseERKN3c106ScalarEENKUlvE_clEvENKUlvE1_clEvEUlNS6_4HalfEE_EEvS5_RKT_EUlibE_EEviT1_, .Lfunc_end22-_ZN2at6native32elementwise_kernel_manual_unrollILi128ELi4EZNS0_15gpu_kernel_implIZZZNS0_12_GLOBAL__N_117hardshrink_kernelERNS_18TensorIteratorBaseERKN3c106ScalarEENKUlvE_clEvENKUlvE1_clEvEUlNS6_4HalfEE_EEvS5_RKT_EUlibE_EEviT1_
                                        ; -- End function
	.set _ZN2at6native32elementwise_kernel_manual_unrollILi128ELi4EZNS0_15gpu_kernel_implIZZZNS0_12_GLOBAL__N_117hardshrink_kernelERNS_18TensorIteratorBaseERKN3c106ScalarEENKUlvE_clEvENKUlvE1_clEvEUlNS6_4HalfEE_EEvS5_RKT_EUlibE_EEviT1_.num_vgpr, 14
	.set _ZN2at6native32elementwise_kernel_manual_unrollILi128ELi4EZNS0_15gpu_kernel_implIZZZNS0_12_GLOBAL__N_117hardshrink_kernelERNS_18TensorIteratorBaseERKN3c106ScalarEENKUlvE_clEvENKUlvE1_clEvEUlNS6_4HalfEE_EEvS5_RKT_EUlibE_EEviT1_.num_agpr, 0
	.set _ZN2at6native32elementwise_kernel_manual_unrollILi128ELi4EZNS0_15gpu_kernel_implIZZZNS0_12_GLOBAL__N_117hardshrink_kernelERNS_18TensorIteratorBaseERKN3c106ScalarEENKUlvE_clEvENKUlvE1_clEvEUlNS6_4HalfEE_EEvS5_RKT_EUlibE_EEviT1_.numbered_sgpr, 45
	.set _ZN2at6native32elementwise_kernel_manual_unrollILi128ELi4EZNS0_15gpu_kernel_implIZZZNS0_12_GLOBAL__N_117hardshrink_kernelERNS_18TensorIteratorBaseERKN3c106ScalarEENKUlvE_clEvENKUlvE1_clEvEUlNS6_4HalfEE_EEvS5_RKT_EUlibE_EEviT1_.num_named_barrier, 0
	.set _ZN2at6native32elementwise_kernel_manual_unrollILi128ELi4EZNS0_15gpu_kernel_implIZZZNS0_12_GLOBAL__N_117hardshrink_kernelERNS_18TensorIteratorBaseERKN3c106ScalarEENKUlvE_clEvENKUlvE1_clEvEUlNS6_4HalfEE_EEvS5_RKT_EUlibE_EEviT1_.private_seg_size, 0
	.set _ZN2at6native32elementwise_kernel_manual_unrollILi128ELi4EZNS0_15gpu_kernel_implIZZZNS0_12_GLOBAL__N_117hardshrink_kernelERNS_18TensorIteratorBaseERKN3c106ScalarEENKUlvE_clEvENKUlvE1_clEvEUlNS6_4HalfEE_EEvS5_RKT_EUlibE_EEviT1_.uses_vcc, 1
	.set _ZN2at6native32elementwise_kernel_manual_unrollILi128ELi4EZNS0_15gpu_kernel_implIZZZNS0_12_GLOBAL__N_117hardshrink_kernelERNS_18TensorIteratorBaseERKN3c106ScalarEENKUlvE_clEvENKUlvE1_clEvEUlNS6_4HalfEE_EEvS5_RKT_EUlibE_EEviT1_.uses_flat_scratch, 0
	.set _ZN2at6native32elementwise_kernel_manual_unrollILi128ELi4EZNS0_15gpu_kernel_implIZZZNS0_12_GLOBAL__N_117hardshrink_kernelERNS_18TensorIteratorBaseERKN3c106ScalarEENKUlvE_clEvENKUlvE1_clEvEUlNS6_4HalfEE_EEvS5_RKT_EUlibE_EEviT1_.has_dyn_sized_stack, 0
	.set _ZN2at6native32elementwise_kernel_manual_unrollILi128ELi4EZNS0_15gpu_kernel_implIZZZNS0_12_GLOBAL__N_117hardshrink_kernelERNS_18TensorIteratorBaseERKN3c106ScalarEENKUlvE_clEvENKUlvE1_clEvEUlNS6_4HalfEE_EEvS5_RKT_EUlibE_EEviT1_.has_recursion, 0
	.set _ZN2at6native32elementwise_kernel_manual_unrollILi128ELi4EZNS0_15gpu_kernel_implIZZZNS0_12_GLOBAL__N_117hardshrink_kernelERNS_18TensorIteratorBaseERKN3c106ScalarEENKUlvE_clEvENKUlvE1_clEvEUlNS6_4HalfEE_EEvS5_RKT_EUlibE_EEviT1_.has_indirect_call, 0
	.section	.AMDGPU.csdata,"",@progbits
; Kernel info:
; codeLenInByte = 35700
; TotalNumSgprs: 49
; NumVgprs: 14
; ScratchSize: 0
; MemoryBound: 0
; FloatMode: 240
; IeeeMode: 1
; LDSByteSize: 0 bytes/workgroup (compile time only)
; SGPRBlocks: 6
; VGPRBlocks: 3
; NumSGPRsForWavesPerEU: 49
; NumVGPRsForWavesPerEU: 14
; Occupancy: 10
; WaveLimiterHint : 0
; COMPUTE_PGM_RSRC2:SCRATCH_EN: 0
; COMPUTE_PGM_RSRC2:USER_SGPR: 6
; COMPUTE_PGM_RSRC2:TRAP_HANDLER: 0
; COMPUTE_PGM_RSRC2:TGID_X_EN: 1
; COMPUTE_PGM_RSRC2:TGID_Y_EN: 0
; COMPUTE_PGM_RSRC2:TGID_Z_EN: 0
; COMPUTE_PGM_RSRC2:TIDIG_COMP_CNT: 0
	.section	.text._ZN2at6native32elementwise_kernel_manual_unrollILi128ELi4EZNS0_15gpu_kernel_implIZZZNS0_12_GLOBAL__N_117hardshrink_kernelERNS_18TensorIteratorBaseERKN3c106ScalarEENKUlvE_clEvENKUlvE1_clEvEUlNS6_4HalfEE_EEvS5_RKT_EUlibE0_EEviT1_,"axG",@progbits,_ZN2at6native32elementwise_kernel_manual_unrollILi128ELi4EZNS0_15gpu_kernel_implIZZZNS0_12_GLOBAL__N_117hardshrink_kernelERNS_18TensorIteratorBaseERKN3c106ScalarEENKUlvE_clEvENKUlvE1_clEvEUlNS6_4HalfEE_EEvS5_RKT_EUlibE0_EEviT1_,comdat
	.globl	_ZN2at6native32elementwise_kernel_manual_unrollILi128ELi4EZNS0_15gpu_kernel_implIZZZNS0_12_GLOBAL__N_117hardshrink_kernelERNS_18TensorIteratorBaseERKN3c106ScalarEENKUlvE_clEvENKUlvE1_clEvEUlNS6_4HalfEE_EEvS5_RKT_EUlibE0_EEviT1_ ; -- Begin function _ZN2at6native32elementwise_kernel_manual_unrollILi128ELi4EZNS0_15gpu_kernel_implIZZZNS0_12_GLOBAL__N_117hardshrink_kernelERNS_18TensorIteratorBaseERKN3c106ScalarEENKUlvE_clEvENKUlvE1_clEvEUlNS6_4HalfEE_EEvS5_RKT_EUlibE0_EEviT1_
	.p2align	8
	.type	_ZN2at6native32elementwise_kernel_manual_unrollILi128ELi4EZNS0_15gpu_kernel_implIZZZNS0_12_GLOBAL__N_117hardshrink_kernelERNS_18TensorIteratorBaseERKN3c106ScalarEENKUlvE_clEvENKUlvE1_clEvEUlNS6_4HalfEE_EEvS5_RKT_EUlibE0_EEviT1_,@function
_ZN2at6native32elementwise_kernel_manual_unrollILi128ELi4EZNS0_15gpu_kernel_implIZZZNS0_12_GLOBAL__N_117hardshrink_kernelERNS_18TensorIteratorBaseERKN3c106ScalarEENKUlvE_clEvENKUlvE1_clEvEUlNS6_4HalfEE_EEvS5_RKT_EUlibE0_EEviT1_: ; @_ZN2at6native32elementwise_kernel_manual_unrollILi128ELi4EZNS0_15gpu_kernel_implIZZZNS0_12_GLOBAL__N_117hardshrink_kernelERNS_18TensorIteratorBaseERKN3c106ScalarEENKUlvE_clEvENKUlvE1_clEvEUlNS6_4HalfEE_EEvS5_RKT_EUlibE0_EEviT1_
; %bb.0:
	s_load_dword s70, s[4:5], 0x0
	s_load_dword s33, s[4:5], 0x8
	s_add_u32 s34, s4, 8
	s_addc_u32 s35, s5, 0
	v_lshl_or_b32 v8, s6, 9, v0
	v_or_b32_e32 v15, 0x180, v8
	s_waitcnt lgkmcnt(0)
	s_add_i32 s72, s33, -1
	s_cmp_gt_u32 s72, 1
	v_cmp_le_i32_e32 vcc, s70, v15
	s_cselect_b64 s[40:41], -1, 0
	s_mov_b64 s[6:7], 0
	s_mov_b64 s[28:29], 0
	s_and_saveexec_b64 s[0:1], vcc
	s_xor_b64 s[42:43], exec, s[0:1]
	s_cbranch_execz .LBB23_1086
; %bb.1:
	s_load_dwordx4 s[28:31], s[34:35], 0x4
	s_load_dwordx2 s[44:45], s[34:35], 0x14
	s_load_dword s74, s[34:35], 0x158
	s_load_dword s0, s[4:5], 0x160
	s_cmp_lg_u32 s33, 0
	s_load_dwordx4 s[36:39], s[34:35], 0xc4
	s_load_dwordx4 s[24:27], s[34:35], 0x148
	s_cselect_b64 s[50:51], -1, 0
	s_add_u32 s48, s34, 0xc4
	s_addc_u32 s49, s35, 0
	s_min_u32 s76, s72, 15
	s_cmp_gt_u32 s33, 1
	s_cselect_b64 s[46:47], -1, 0
	s_waitcnt lgkmcnt(0)
	s_lshr_b32 s73, s0, 16
	s_lshr_b32 s75, s0, 24
	v_cmp_gt_i32_e32 vcc, s70, v8
	s_mov_b64 s[2:3], -1
	s_mov_b64 s[60:61], 0
	s_mov_b64 s[54:55], 0
	;; [unrolled: 1-line block ×3, first 2 shown]
	s_and_saveexec_b64 s[56:57], vcc
	s_cbranch_execz .LBB23_266
; %bb.2:
	s_andn2_b64 vcc, exec, s[40:41]
	s_cbranch_vccnz .LBB23_7
; %bb.3:
	s_andn2_b64 vcc, exec, s[50:51]
	s_cbranch_vccnz .LBB23_8
; %bb.4:
	s_add_i32 s59, s76, 1
	s_cmp_eq_u32 s72, 2
	s_cbranch_scc1 .LBB23_9
; %bb.5:
	s_and_b32 s58, s59, 28
	v_mov_b32_e32 v2, 0
	s_mov_b32 s62, 0
	s_mov_b64 s[52:53], s[34:35]
	s_mov_b64 s[54:55], s[48:49]
	v_mov_b32_e32 v0, 0
	v_mov_b32_e32 v1, v8
.LBB23_6:                               ; =>This Inner Loop Header: Depth=1
	s_load_dwordx8 s[16:23], s[52:53], 0x4
	s_load_dwordx4 s[0:3], s[52:53], 0x24
	s_load_dwordx8 s[8:15], s[54:55], 0x0
	s_add_u32 s52, s52, 48
	s_addc_u32 s53, s53, 0
	s_waitcnt lgkmcnt(0)
	v_mul_hi_u32 v3, s17, v1
	s_add_i32 s62, s62, 4
	s_add_u32 s54, s54, 32
	s_addc_u32 s55, s55, 0
	v_add_u32_e32 v3, v1, v3
	v_lshrrev_b32_e32 v3, s18, v3
	v_mul_lo_u32 v4, v3, s16
	v_mul_hi_u32 v5, s20, v3
	s_cmp_lg_u32 s58, s62
	v_sub_u32_e32 v1, v1, v4
	v_add_u32_e32 v4, v3, v5
	v_mul_lo_u32 v5, v1, s8
	v_mul_lo_u32 v6, v1, s9
	v_lshrrev_b32_e32 v1, s21, v4
	v_mul_lo_u32 v4, v1, s19
	v_mul_hi_u32 v7, s23, v1
	v_sub_u32_e32 v3, v3, v4
	v_add_u32_e32 v4, v1, v7
	v_lshrrev_b32_e32 v4, s0, v4
	v_mul_hi_u32 v9, s2, v4
	v_mul_lo_u32 v10, v4, s22
	v_mul_lo_u32 v7, v3, s10
	;; [unrolled: 1-line block ×3, first 2 shown]
	v_sub_u32_e32 v10, v1, v10
	v_add_u32_e32 v1, v4, v9
	v_lshrrev_b32_e32 v1, s3, v1
	v_mul_lo_u32 v9, v1, s1
	v_mul_lo_u32 v11, v10, s12
	v_mul_lo_u32 v10, v10, s13
	v_add3_u32 v0, v5, v0, v7
	v_sub_u32_e32 v4, v4, v9
	v_mul_lo_u32 v9, v4, s14
	v_mul_lo_u32 v4, v4, s15
	v_add3_u32 v2, v6, v2, v3
	v_add3_u32 v0, v11, v0, v9
	;; [unrolled: 1-line block ×3, first 2 shown]
	s_cbranch_scc1 .LBB23_6
	s_branch .LBB23_10
.LBB23_7:
                                        ; implicit-def: $vgpr0
                                        ; implicit-def: $vgpr2
	s_branch .LBB23_14
.LBB23_8:
	v_mov_b32_e32 v0, 0
	v_mov_b32_e32 v2, 0
	s_branch .LBB23_13
.LBB23_9:
	s_mov_b32 s58, 0
	v_mov_b32_e32 v0, 0
	v_mov_b32_e32 v2, 0
	;; [unrolled: 1-line block ×3, first 2 shown]
.LBB23_10:
	s_and_b32 s8, s59, 3
	s_cmp_eq_u32 s8, 0
	s_cbranch_scc1 .LBB23_13
; %bb.11:
	s_lshl_b32 s0, s58, 3
	s_add_u32 s0, s34, s0
	s_addc_u32 s1, s35, 0
	s_add_u32 s0, s0, 0xc4
	s_addc_u32 s1, s1, 0
	s_mul_i32 s2, s58, 12
	s_add_u32 s2, s34, s2
	s_addc_u32 s3, s35, 0
.LBB23_12:                              ; =>This Inner Loop Header: Depth=1
	s_load_dwordx2 s[10:11], s[2:3], 0x4
	s_load_dword s9, s[2:3], 0xc
	s_load_dwordx2 s[12:13], s[0:1], 0x0
	s_add_u32 s2, s2, 12
	s_addc_u32 s3, s3, 0
	s_waitcnt lgkmcnt(0)
	v_mul_hi_u32 v3, s11, v1
	s_add_u32 s0, s0, 8
	s_addc_u32 s1, s1, 0
	s_add_i32 s8, s8, -1
	v_add_u32_e32 v3, v1, v3
	v_lshrrev_b32_e32 v4, s9, v3
	v_mul_lo_u32 v3, v4, s10
	s_cmp_lg_u32 s8, 0
	v_sub_u32_e32 v3, v1, v3
	v_mad_u64_u32 v[0:1], s[10:11], v3, s12, v[0:1]
	v_mad_u64_u32 v[2:3], s[10:11], v3, s13, v[2:3]
	v_mov_b32_e32 v1, v4
	s_cbranch_scc1 .LBB23_12
.LBB23_13:
	s_cbranch_execnz .LBB23_16
.LBB23_14:
	v_mul_hi_u32 v0, s29, v8
	s_andn2_b64 vcc, exec, s[46:47]
	v_add_u32_e32 v0, v8, v0
	v_lshrrev_b32_e32 v1, s30, v0
	v_mul_lo_u32 v0, v1, s28
	v_sub_u32_e32 v2, v8, v0
	v_mul_lo_u32 v0, v2, s36
	v_mul_lo_u32 v2, v2, s37
	s_cbranch_vccnz .LBB23_16
; %bb.15:
	v_mul_hi_u32 v3, s44, v1
	v_add_u32_e32 v3, v1, v3
	v_lshrrev_b32_e32 v3, s45, v3
	v_mul_lo_u32 v3, v3, s31
	v_sub_u32_e32 v3, v1, v3
	v_mad_u64_u32 v[0:1], s[0:1], v3, s38, v[0:1]
	v_mad_u64_u32 v[2:3], s[0:1], v3, s39, v[2:3]
.LBB23_16:
	v_mov_b32_e32 v3, s27
	s_and_b32 s12, 0xffff, s75
	v_add_co_u32_e32 v1, vcc, s26, v2
	s_cmp_lt_i32 s12, 11
	v_addc_co_u32_e32 v2, vcc, 0, v3, vcc
	s_cbranch_scc1 .LBB23_23
; %bb.17:
	s_cmp_gt_i32 s12, 25
	s_cbranch_scc0 .LBB23_32
; %bb.18:
	s_cmp_gt_i32 s12, 28
	s_cbranch_scc0 .LBB23_35
	;; [unrolled: 3-line block ×4, first 2 shown]
; %bb.21:
	s_cmp_eq_u32 s12, 46
	s_mov_b64 s[8:9], 0
	s_cbranch_scc0 .LBB23_41
; %bb.22:
	global_load_dword v3, v[1:2], off
	s_mov_b64 s[0:1], -1
	s_mov_b64 s[2:3], 0
	s_waitcnt vmcnt(0)
	v_lshlrev_b32_e32 v3, 16, v3
	v_cvt_f16_f32_e32 v3, v3
	s_branch .LBB23_43
.LBB23_23:
	s_mov_b64 s[2:3], 0
                                        ; implicit-def: $vgpr3
	s_mov_b64 s[0:1], 0
	s_cbranch_execnz .LBB23_216
.LBB23_24:
	s_andn2_b64 vcc, exec, s[0:1]
	s_cbranch_vccnz .LBB23_263
.LBB23_25:
	s_waitcnt vmcnt(0)
	v_cmp_nge_f16_e64 s[0:1], v3, -s74
	v_cmp_nge_f16_e32 vcc, s74, v3
	s_or_b64 vcc, s[0:1], vcc
	v_cndmask_b32_e32 v2, 0, v3, vcc
	v_mov_b32_e32 v1, s25
	s_and_b32 s14, s73, 0xff
	v_add_co_u32_e32 v0, vcc, s24, v0
	s_cmp_lt_i32 s14, 11
	v_addc_co_u32_e32 v1, vcc, 0, v1, vcc
	s_cbranch_scc1 .LBB23_33
; %bb.26:
	s_and_b32 s15, 0xffff, s14
	s_cmp_gt_i32 s15, 25
	s_cbranch_scc0 .LBB23_36
; %bb.27:
	s_cmp_gt_i32 s15, 28
	s_cbranch_scc0 .LBB23_38
; %bb.28:
	;; [unrolled: 3-line block ×4, first 2 shown]
	s_mov_b64 s[10:11], 0
	s_mov_b64 s[0:1], -1
	s_cmp_eq_u32 s15, 46
	s_mov_b64 s[8:9], 0
	s_cbranch_scc0 .LBB23_47
; %bb.31:
	v_cvt_f32_f16_e32 v3, v2
	s_movk_i32 s0, 0x7fff
	v_cmp_o_f16_e32 vcc, v2, v2
	v_mov_b32_e32 v4, 0x7fc0
	v_bfe_u32 v5, v3, 16, 1
	v_add3_u32 v3, v3, v5, s0
	v_cndmask_b32_sdwa v3, v4, v3, vcc dst_sel:DWORD dst_unused:UNUSED_PAD src0_sel:DWORD src1_sel:WORD_1
	global_store_dword v[0:1], v3, off
	s_mov_b64 s[8:9], -1
	s_mov_b64 s[0:1], 0
	s_branch .LBB23_47
.LBB23_32:
	s_mov_b64 s[2:3], 0
	s_mov_b64 s[0:1], 0
                                        ; implicit-def: $vgpr3
	s_cbranch_execnz .LBB23_181
	s_branch .LBB23_215
.LBB23_33:
	s_mov_b64 s[0:1], 0
	s_mov_b64 s[8:9], 0
	s_cbranch_execnz .LBB23_116
.LBB23_34:
	s_andn2_b64 vcc, exec, s[8:9]
	s_cbranch_vccnz .LBB23_264
	s_branch .LBB23_154
.LBB23_35:
	s_mov_b64 s[8:9], -1
	s_mov_b64 s[2:3], 0
	s_mov_b64 s[0:1], 0
                                        ; implicit-def: $vgpr3
	s_branch .LBB23_162
.LBB23_36:
	s_mov_b64 s[10:11], -1
	s_mov_b64 s[0:1], 0
	s_mov_b64 s[8:9], 0
	s_branch .LBB23_74
.LBB23_37:
	s_mov_b64 s[8:9], -1
	s_mov_b64 s[2:3], 0
	s_mov_b64 s[0:1], 0
                                        ; implicit-def: $vgpr3
	s_branch .LBB23_157
.LBB23_38:
	s_mov_b64 s[10:11], -1
	s_mov_b64 s[0:1], 0
	s_mov_b64 s[8:9], 0
	s_branch .LBB23_57
.LBB23_39:
	s_mov_b64 s[8:9], -1
	s_mov_b64 s[2:3], 0
	s_branch .LBB23_42
.LBB23_40:
	s_mov_b64 s[10:11], -1
	s_mov_b64 s[0:1], 0
	s_mov_b64 s[8:9], 0
	s_branch .LBB23_53
.LBB23_41:
	s_mov_b64 s[2:3], -1
.LBB23_42:
	s_mov_b64 s[0:1], 0
                                        ; implicit-def: $vgpr3
.LBB23_43:
	s_and_b64 vcc, exec, s[8:9]
	s_cbranch_vccz .LBB23_156
; %bb.44:
	s_cmp_eq_u32 s12, 44
	s_cbranch_scc0 .LBB23_155
; %bb.45:
	global_load_ubyte v3, v[1:2], off
	s_movk_i32 s2, 0xff
	v_mov_b32_e32 v5, 0x7e00
	s_mov_b64 s[0:1], -1
	s_waitcnt vmcnt(0)
	v_lshlrev_b32_e32 v4, 23, v3
	v_cvt_f16_f32_e32 v4, v4
	v_cmp_ne_u32_e32 vcc, s2, v3
	s_mov_b64 s[2:3], 0
	v_cndmask_b32_e32 v4, v5, v4, vcc
	v_cmp_ne_u32_e32 vcc, 0, v3
	v_cndmask_b32_e32 v3, 0, v4, vcc
	s_branch .LBB23_156
.LBB23_46:
	s_mov_b64 s[10:11], -1
	s_mov_b64 s[0:1], 0
	s_mov_b64 s[8:9], 0
.LBB23_47:
	s_and_b64 vcc, exec, s[10:11]
	s_cbranch_vccz .LBB23_52
; %bb.48:
	s_cmp_eq_u32 s15, 44
	s_mov_b64 s[0:1], -1
	s_cbranch_scc0 .LBB23_52
; %bb.49:
	v_cvt_f32_f16_e32 v3, v2
	s_movk_i32 s0, 0xff
	v_mov_b32_e32 v5, 0xff
	v_bfe_u32 v4, v3, 23, 8
	v_cmp_ne_u32_e32 vcc, s0, v4
	s_and_saveexec_b64 s[8:9], vcc
; %bb.50:
	s_mov_b32 s0, 0x3fffff
	v_lshrrev_b32_e32 v5, 23, v3
	v_and_b32_e32 v6, 0x400000, v3
	v_and_or_b32 v3, v3, s0, v4
	v_cmp_ne_u32_e32 vcc, 0, v6
	v_cmp_ne_u32_e64 s[0:1], 0, v3
	s_and_b64 s[0:1], vcc, s[0:1]
	v_cndmask_b32_e64 v3, 0, 1, s[0:1]
	v_add_u32_e32 v5, v5, v3
; %bb.51:
	s_or_b64 exec, exec, s[8:9]
	s_mov_b64 s[8:9], -1
	s_mov_b64 s[0:1], 0
	global_store_byte v[0:1], v5, off
.LBB23_52:
	s_mov_b64 s[10:11], 0
.LBB23_53:
	s_and_b64 vcc, exec, s[10:11]
	s_cbranch_vccz .LBB23_56
; %bb.54:
	s_cmp_eq_u32 s15, 29
	s_mov_b64 s[0:1], -1
	s_cbranch_scc0 .LBB23_56
; %bb.55:
	v_cvt_f32_f16_e32 v3, v2
	v_mov_b32_e32 v4, 0
	s_mov_b64 s[8:9], -1
	s_mov_b64 s[0:1], 0
	v_cvt_u32_f32_e32 v3, v3
	s_mov_b64 s[10:11], 0
	global_store_dwordx2 v[0:1], v[3:4], off
	s_branch .LBB23_57
.LBB23_56:
	s_mov_b64 s[10:11], 0
.LBB23_57:
	s_and_b64 vcc, exec, s[10:11]
	s_cbranch_vccz .LBB23_73
; %bb.58:
	s_cmp_lt_i32 s15, 27
	s_mov_b64 s[8:9], -1
	s_cbranch_scc1 .LBB23_64
; %bb.59:
	s_cmp_gt_i32 s15, 27
	s_cbranch_scc0 .LBB23_61
; %bb.60:
	v_cvt_f32_f16_e32 v3, v2
	s_mov_b64 s[8:9], 0
	v_cvt_u32_f32_e32 v3, v3
	global_store_dword v[0:1], v3, off
.LBB23_61:
	s_andn2_b64 vcc, exec, s[8:9]
	s_cbranch_vccnz .LBB23_63
; %bb.62:
	v_cvt_u16_f16_e32 v3, v2
	global_store_short v[0:1], v3, off
.LBB23_63:
	s_mov_b64 s[8:9], 0
.LBB23_64:
	s_andn2_b64 vcc, exec, s[8:9]
	s_cbranch_vccnz .LBB23_72
; %bb.65:
	v_cvt_f32_f16_e32 v3, v2
	s_mov_b32 s8, 0x43800000
	v_mov_b32_e32 v5, 0x80
	v_and_b32_e32 v4, 0x7fffffff, v3
	v_cmp_gt_u32_e32 vcc, s8, v4
	s_and_saveexec_b64 s[8:9], vcc
	s_cbranch_execz .LBB23_71
; %bb.66:
	s_mov_b32 s10, 0x3bffffff
	v_cmp_lt_u32_e32 vcc, s10, v4
	s_mov_b64 s[10:11], 0
                                        ; implicit-def: $vgpr4
	s_and_saveexec_b64 s[12:13], vcc
	s_xor_b64 s[12:13], exec, s[12:13]
	s_cbranch_execz .LBB23_307
; %bb.67:
	v_bfe_u32 v4, v3, 20, 1
	s_mov_b32 s16, 0x487ffff
	v_add3_u32 v4, v3, v4, s16
	s_mov_b64 s[10:11], exec
	v_lshrrev_b32_e32 v4, 20, v4
	s_andn2_saveexec_b64 s[12:13], s[12:13]
	s_cbranch_execnz .LBB23_308
.LBB23_68:
	s_or_b64 exec, exec, s[12:13]
	v_mov_b32_e32 v5, 0
	s_and_saveexec_b64 s[12:13], s[10:11]
.LBB23_69:
	v_lshrrev_b32_e32 v3, 24, v3
	s_movk_i32 s10, 0x80
	v_and_or_b32 v5, v3, s10, v4
.LBB23_70:
	s_or_b64 exec, exec, s[12:13]
.LBB23_71:
	s_or_b64 exec, exec, s[8:9]
	global_store_byte v[0:1], v5, off
.LBB23_72:
	s_mov_b64 s[8:9], -1
.LBB23_73:
	s_mov_b64 s[10:11], 0
.LBB23_74:
	s_and_b64 vcc, exec, s[10:11]
	s_cbranch_vccz .LBB23_115
; %bb.75:
	s_cmp_gt_i32 s15, 22
	s_mov_b64 s[10:11], -1
	s_cbranch_scc0 .LBB23_107
; %bb.76:
	s_cmp_lt_i32 s15, 24
	s_mov_b64 s[8:9], -1
	s_cbranch_scc1 .LBB23_96
; %bb.77:
	s_cmp_gt_i32 s15, 24
	s_cbranch_scc0 .LBB23_85
; %bb.78:
	v_cvt_f32_f16_e32 v3, v2
	s_mov_b32 s8, 0x47800000
	v_mov_b32_e32 v5, 0x80
	v_and_b32_e32 v4, 0x7fffffff, v3
	v_cmp_gt_u32_e32 vcc, s8, v4
	s_and_saveexec_b64 s[8:9], vcc
	s_cbranch_execz .LBB23_84
; %bb.79:
	s_mov_b32 s10, 0x37ffffff
	v_cmp_lt_u32_e32 vcc, s10, v4
	s_mov_b64 s[10:11], 0
                                        ; implicit-def: $vgpr4
	s_and_saveexec_b64 s[12:13], vcc
	s_xor_b64 s[12:13], exec, s[12:13]
	s_cbranch_execz .LBB23_311
; %bb.80:
	v_bfe_u32 v4, v3, 21, 1
	s_mov_b32 s16, 0x88fffff
	v_add3_u32 v4, v3, v4, s16
	s_mov_b64 s[10:11], exec
	v_lshrrev_b32_e32 v4, 21, v4
	s_andn2_saveexec_b64 s[12:13], s[12:13]
	s_cbranch_execnz .LBB23_312
.LBB23_81:
	s_or_b64 exec, exec, s[12:13]
	v_mov_b32_e32 v5, 0
	s_and_saveexec_b64 s[12:13], s[10:11]
.LBB23_82:
	v_lshrrev_b32_e32 v3, 24, v3
	s_movk_i32 s10, 0x80
	v_and_or_b32 v5, v3, s10, v4
.LBB23_83:
	s_or_b64 exec, exec, s[12:13]
.LBB23_84:
	s_or_b64 exec, exec, s[8:9]
	s_mov_b64 s[8:9], 0
	global_store_byte v[0:1], v5, off
.LBB23_85:
	s_and_b64 vcc, exec, s[8:9]
	s_cbranch_vccz .LBB23_95
; %bb.86:
	v_cvt_f32_f16_e32 v3, v2
	s_mov_b32 s8, 0x43f00000
                                        ; implicit-def: $vgpr4
	v_and_b32_e32 v5, 0x7fffffff, v3
	v_cmp_gt_u32_e32 vcc, s8, v5
	s_and_saveexec_b64 s[8:9], vcc
	s_xor_b64 s[8:9], exec, s[8:9]
	s_cbranch_execz .LBB23_92
; %bb.87:
	s_mov_b32 s10, 0x3c7fffff
	v_cmp_lt_u32_e32 vcc, s10, v5
                                        ; implicit-def: $vgpr4
	s_and_saveexec_b64 s[10:11], vcc
	s_xor_b64 s[10:11], exec, s[10:11]
; %bb.88:
	v_bfe_u32 v4, v3, 20, 1
	s_mov_b32 s12, 0x407ffff
	v_add3_u32 v4, v3, v4, s12
	v_lshrrev_b32_e32 v5, 20, v4
	v_and_b32_e32 v4, 0xff00000, v4
	s_mov_b32 s12, 0x7f00000
	v_mov_b32_e32 v6, 0x7e
	v_cmp_ne_u32_e32 vcc, s12, v4
	v_cndmask_b32_e32 v4, v6, v5, vcc
; %bb.89:
	s_andn2_saveexec_b64 s[10:11], s[10:11]
; %bb.90:
	s_mov_b32 s12, 0x46800000
	v_add_f32_e64 v4, |v3|, s12
; %bb.91:
	s_or_b64 exec, exec, s[10:11]
                                        ; implicit-def: $vgpr5
.LBB23_92:
	s_andn2_saveexec_b64 s[8:9], s[8:9]
; %bb.93:
	s_mov_b32 s10, 0x7f800000
	v_mov_b32_e32 v4, 0x7e
	v_mov_b32_e32 v6, 0x7f
	v_cmp_lt_u32_e32 vcc, s10, v5
	v_cndmask_b32_e32 v4, v4, v6, vcc
; %bb.94:
	s_or_b64 exec, exec, s[8:9]
	v_lshrrev_b32_e32 v3, 24, v3
	s_movk_i32 s8, 0x80
	v_and_or_b32 v3, v3, s8, v4
	global_store_byte v[0:1], v3, off
.LBB23_95:
	s_mov_b64 s[8:9], 0
.LBB23_96:
	s_andn2_b64 vcc, exec, s[8:9]
	s_cbranch_vccnz .LBB23_106
; %bb.97:
	v_cvt_f32_f16_e32 v3, v2
	s_mov_b32 s8, 0x47800000
                                        ; implicit-def: $vgpr4
	v_and_b32_e32 v5, 0x7fffffff, v3
	v_cmp_gt_u32_e32 vcc, s8, v5
	s_and_saveexec_b64 s[8:9], vcc
	s_xor_b64 s[8:9], exec, s[8:9]
	s_cbranch_execz .LBB23_103
; %bb.98:
	s_mov_b32 s10, 0x387fffff
	v_cmp_lt_u32_e32 vcc, s10, v5
                                        ; implicit-def: $vgpr4
	s_and_saveexec_b64 s[10:11], vcc
	s_xor_b64 s[10:11], exec, s[10:11]
; %bb.99:
	v_bfe_u32 v4, v3, 21, 1
	s_mov_b32 s12, 0x80fffff
	v_add3_u32 v4, v3, v4, s12
	v_lshrrev_b32_e32 v4, 21, v4
; %bb.100:
	s_andn2_saveexec_b64 s[10:11], s[10:11]
; %bb.101:
	s_mov_b32 s12, 0x43000000
	v_add_f32_e64 v4, |v3|, s12
; %bb.102:
	s_or_b64 exec, exec, s[10:11]
                                        ; implicit-def: $vgpr5
.LBB23_103:
	s_andn2_saveexec_b64 s[8:9], s[8:9]
; %bb.104:
	s_mov_b32 s10, 0x7f800000
	v_mov_b32_e32 v4, 0x7c
	v_mov_b32_e32 v6, 0x7f
	v_cmp_lt_u32_e32 vcc, s10, v5
	v_cndmask_b32_e32 v4, v4, v6, vcc
; %bb.105:
	s_or_b64 exec, exec, s[8:9]
	v_lshrrev_b32_e32 v3, 24, v3
	s_movk_i32 s8, 0x80
	v_and_or_b32 v3, v3, s8, v4
	global_store_byte v[0:1], v3, off
.LBB23_106:
	s_mov_b64 s[10:11], 0
	s_mov_b64 s[8:9], -1
.LBB23_107:
	s_andn2_b64 vcc, exec, s[10:11]
	s_cbranch_vccnz .LBB23_115
; %bb.108:
	s_cmp_gt_i32 s15, 14
	s_mov_b64 s[10:11], -1
	s_cbranch_scc0 .LBB23_112
; %bb.109:
	s_cmp_eq_u32 s15, 15
	s_mov_b64 s[0:1], -1
	s_cbranch_scc0 .LBB23_111
; %bb.110:
	v_cvt_f32_f16_e32 v3, v2
	s_movk_i32 s0, 0x7fff
	v_cmp_o_f16_e32 vcc, v2, v2
	v_mov_b32_e32 v4, 0x7fc0
	v_bfe_u32 v5, v3, 16, 1
	v_add3_u32 v3, v3, v5, s0
	v_cndmask_b32_sdwa v3, v4, v3, vcc dst_sel:DWORD dst_unused:UNUSED_PAD src0_sel:DWORD src1_sel:WORD_1
	global_store_short v[0:1], v3, off
	s_mov_b64 s[8:9], -1
	s_mov_b64 s[0:1], 0
.LBB23_111:
	s_mov_b64 s[10:11], 0
.LBB23_112:
	s_and_b64 vcc, exec, s[10:11]
	s_cbranch_vccz .LBB23_115
; %bb.113:
	s_cmp_eq_u32 s15, 11
	s_mov_b64 s[0:1], -1
	s_cbranch_scc0 .LBB23_115
; %bb.114:
	v_and_b32_e32 v3, 0x7fff, v2
	v_cmp_ne_u16_e32 vcc, 0, v3
	v_cndmask_b32_e64 v3, 0, 1, vcc
	s_mov_b64 s[8:9], -1
	s_mov_b64 s[0:1], 0
	global_store_byte v[0:1], v3, off
.LBB23_115:
	s_branch .LBB23_34
.LBB23_116:
	s_and_b32 s10, 0xffff, s14
	s_cmp_lt_i32 s10, 5
	s_mov_b64 s[8:9], -1
	s_cbranch_scc1 .LBB23_137
; %bb.117:
	s_cmp_lt_i32 s10, 8
	s_cbranch_scc1 .LBB23_127
; %bb.118:
	s_cmp_lt_i32 s10, 9
	s_cbranch_scc1 .LBB23_124
; %bb.119:
	s_cmp_gt_i32 s10, 9
	s_cbranch_scc0 .LBB23_121
; %bb.120:
	v_cvt_f32_f16_e32 v3, v2
	v_mov_b32_e32 v5, 0
	v_mov_b32_e32 v6, v5
	s_mov_b64 s[8:9], 0
	v_cvt_f64_f32_e32 v[3:4], v3
	global_store_dwordx4 v[0:1], v[3:6], off
.LBB23_121:
	s_andn2_b64 vcc, exec, s[8:9]
	s_cbranch_vccnz .LBB23_123
; %bb.122:
	v_cvt_f32_f16_e32 v3, v2
	v_mov_b32_e32 v4, 0
	global_store_dwordx2 v[0:1], v[3:4], off
.LBB23_123:
	s_mov_b64 s[8:9], 0
.LBB23_124:
	s_andn2_b64 vcc, exec, s[8:9]
	s_cbranch_vccnz .LBB23_126
; %bb.125:
	v_and_b32_e32 v3, 0xffff, v2
	global_store_dword v[0:1], v3, off
.LBB23_126:
	s_mov_b64 s[8:9], 0
.LBB23_127:
	s_andn2_b64 vcc, exec, s[8:9]
	s_cbranch_vccnz .LBB23_136
; %bb.128:
	s_cmp_lt_i32 s10, 6
	s_mov_b64 s[8:9], -1
	s_cbranch_scc1 .LBB23_134
; %bb.129:
	s_cmp_gt_i32 s10, 6
	s_cbranch_scc0 .LBB23_131
; %bb.130:
	v_cvt_f32_f16_e32 v3, v2
	s_mov_b64 s[8:9], 0
	v_cvt_f64_f32_e32 v[3:4], v3
	global_store_dwordx2 v[0:1], v[3:4], off
.LBB23_131:
	s_andn2_b64 vcc, exec, s[8:9]
	s_cbranch_vccnz .LBB23_133
; %bb.132:
	v_cvt_f32_f16_e32 v3, v2
	global_store_dword v[0:1], v3, off
.LBB23_133:
	s_mov_b64 s[8:9], 0
.LBB23_134:
	s_andn2_b64 vcc, exec, s[8:9]
	s_cbranch_vccnz .LBB23_136
; %bb.135:
	global_store_short v[0:1], v2, off
.LBB23_136:
	s_mov_b64 s[8:9], 0
.LBB23_137:
	s_andn2_b64 vcc, exec, s[8:9]
	s_cbranch_vccnz .LBB23_153
; %bb.138:
	s_cmp_lt_i32 s10, 2
	s_mov_b64 s[8:9], -1
	s_cbranch_scc1 .LBB23_148
; %bb.139:
	s_cmp_lt_i32 s10, 3
	s_cbranch_scc1 .LBB23_145
; %bb.140:
	s_cmp_gt_i32 s10, 3
	s_cbranch_scc0 .LBB23_142
; %bb.141:
	v_cvt_f32_f16_e32 v3, v2
	s_mov_b64 s[8:9], 0
	v_cvt_i32_f32_e32 v3, v3
	v_ashrrev_i32_e32 v4, 31, v3
	global_store_dwordx2 v[0:1], v[3:4], off
.LBB23_142:
	s_andn2_b64 vcc, exec, s[8:9]
	s_cbranch_vccnz .LBB23_144
; %bb.143:
	v_cvt_f32_f16_e32 v3, v2
	v_cvt_i32_f32_e32 v3, v3
	global_store_dword v[0:1], v3, off
.LBB23_144:
	s_mov_b64 s[8:9], 0
.LBB23_145:
	s_andn2_b64 vcc, exec, s[8:9]
	s_cbranch_vccnz .LBB23_147
; %bb.146:
	v_cvt_i16_f16_e32 v3, v2
	global_store_short v[0:1], v3, off
.LBB23_147:
	s_mov_b64 s[8:9], 0
.LBB23_148:
	s_andn2_b64 vcc, exec, s[8:9]
	s_cbranch_vccnz .LBB23_153
; %bb.149:
	s_cmp_gt_i32 s10, 0
	s_mov_b64 s[8:9], -1
	s_cbranch_scc0 .LBB23_151
; %bb.150:
	v_cvt_i16_f16_e32 v3, v2
	global_store_byte v[0:1], v3, off
	s_mov_b64 s[8:9], 0
.LBB23_151:
	s_andn2_b64 vcc, exec, s[8:9]
	s_cbranch_vccnz .LBB23_153
; %bb.152:
	v_cvt_f32_f16_e32 v2, v2
	v_cvt_i32_f32_e32 v2, v2
	global_store_byte v[0:1], v2, off
.LBB23_153:
.LBB23_154:
	v_add_u32_e32 v8, 0x80, v8
	s_mov_b64 s[8:9], -1
	s_branch .LBB23_265
.LBB23_155:
	s_mov_b64 s[2:3], -1
                                        ; implicit-def: $vgpr3
.LBB23_156:
	s_mov_b64 s[8:9], 0
.LBB23_157:
	s_and_b64 vcc, exec, s[8:9]
	s_cbranch_vccz .LBB23_161
; %bb.158:
	s_cmp_eq_u32 s12, 29
	s_cbranch_scc0 .LBB23_160
; %bb.159:
	global_load_dwordx2 v[3:4], v[1:2], off
	s_mov_b64 s[0:1], -1
	s_mov_b64 s[2:3], 0
	s_mov_b64 s[8:9], 0
	s_waitcnt vmcnt(0)
	v_ffbh_u32_e32 v5, v4
	v_min_u32_e32 v5, 32, v5
	v_lshlrev_b64 v[3:4], v5, v[3:4]
	v_min_u32_e32 v3, 1, v3
	v_or_b32_e32 v3, v4, v3
	v_cvt_f32_u32_e32 v3, v3
	v_sub_u32_e32 v4, 32, v5
	v_ldexp_f32 v3, v3, v4
	v_cvt_f16_f32_e32 v3, v3
	s_branch .LBB23_162
.LBB23_160:
	s_mov_b64 s[2:3], -1
                                        ; implicit-def: $vgpr3
.LBB23_161:
	s_mov_b64 s[8:9], 0
.LBB23_162:
	s_and_b64 vcc, exec, s[8:9]
	s_cbranch_vccz .LBB23_180
; %bb.163:
	s_cmp_lt_i32 s12, 27
	s_cbranch_scc1 .LBB23_166
; %bb.164:
	s_cmp_gt_i32 s12, 27
	s_cbranch_scc0 .LBB23_167
; %bb.165:
	global_load_dword v3, v[1:2], off
	s_mov_b64 s[0:1], 0
	s_waitcnt vmcnt(0)
	v_cvt_f32_u32_e32 v3, v3
	v_cvt_f16_f32_e32 v3, v3
	s_branch .LBB23_168
.LBB23_166:
	s_mov_b64 s[0:1], -1
                                        ; implicit-def: $vgpr3
	s_branch .LBB23_171
.LBB23_167:
	s_mov_b64 s[0:1], -1
                                        ; implicit-def: $vgpr3
.LBB23_168:
	s_andn2_b64 vcc, exec, s[0:1]
	s_cbranch_vccnz .LBB23_170
; %bb.169:
	global_load_ushort v3, v[1:2], off
	s_waitcnt vmcnt(0)
	v_cvt_f16_u16_e32 v3, v3
.LBB23_170:
	s_mov_b64 s[0:1], 0
.LBB23_171:
	s_andn2_b64 vcc, exec, s[0:1]
	s_cbranch_vccnz .LBB23_179
; %bb.172:
	global_load_ubyte v4, v[1:2], off
	s_movk_i32 s0, 0x7f
	s_waitcnt vmcnt(0)
	v_cmp_lt_i16_e32 vcc, s0, v4
	s_mov_b64 s[0:1], 0
	s_and_saveexec_b64 s[8:9], vcc
	s_xor_b64 s[8:9], exec, s[8:9]
	s_cbranch_execz .LBB23_192
; %bb.173:
	s_movk_i32 s0, 0x80
	v_cmp_eq_u16_e32 vcc, s0, v4
	s_mov_b64 s[0:1], -1
	s_and_saveexec_b64 s[10:11], vcc
; %bb.174:
	s_xor_b64 s[0:1], exec, -1
; %bb.175:
	s_or_b64 exec, exec, s[10:11]
	s_and_b64 s[0:1], s[0:1], exec
	s_or_saveexec_b64 s[8:9], s[8:9]
	v_mov_b32_e32 v3, 0x7e00
	s_xor_b64 exec, exec, s[8:9]
	s_cbranch_execnz .LBB23_193
.LBB23_176:
	s_or_b64 exec, exec, s[8:9]
	s_and_saveexec_b64 s[8:9], s[0:1]
	s_cbranch_execz .LBB23_178
.LBB23_177:
	v_lshlrev_b32_e32 v3, 24, v4
	v_and_b32_e32 v4, 0xffff, v4
	v_and_b32_e32 v5, 7, v4
	v_ffbh_u32_e32 v7, v5
	v_min_u32_e32 v7, 32, v7
	v_subrev_u32_e32 v9, 28, v7
	v_bfe_u32 v6, v4, 3, 4
	v_lshlrev_b32_e32 v4, v9, v4
	v_sub_u32_e32 v7, 29, v7
	v_and_b32_e32 v4, 7, v4
	v_cmp_eq_u32_e32 vcc, 0, v6
	v_cndmask_b32_e32 v6, v6, v7, vcc
	v_cndmask_b32_e32 v4, v5, v4, vcc
	v_mov_b32_e32 v5, 0x3b800000
	v_lshlrev_b32_e32 v4, 20, v4
	v_and_b32_e32 v3, 0x80000000, v3
	v_lshl_add_u32 v5, v6, 23, v5
	v_or3_b32 v3, v3, v5, v4
	v_cvt_f16_f32_e32 v3, v3
.LBB23_178:
	s_or_b64 exec, exec, s[8:9]
.LBB23_179:
	s_mov_b64 s[0:1], -1
.LBB23_180:
	s_branch .LBB23_215
.LBB23_181:
	s_cmp_gt_i32 s12, 22
	s_cbranch_scc0 .LBB23_191
; %bb.182:
	s_cmp_lt_i32 s12, 24
	s_cbranch_scc1 .LBB23_194
; %bb.183:
	s_cmp_gt_i32 s12, 24
	s_cbranch_scc0 .LBB23_195
; %bb.184:
	global_load_ubyte v4, v[1:2], off
	s_movk_i32 s0, 0x7f
	s_waitcnt vmcnt(0)
	v_cmp_lt_i16_e32 vcc, s0, v4
	s_mov_b64 s[0:1], 0
	s_and_saveexec_b64 s[8:9], vcc
	s_xor_b64 s[8:9], exec, s[8:9]
	s_cbranch_execz .LBB23_207
; %bb.185:
	s_movk_i32 s0, 0x80
	v_cmp_eq_u16_e32 vcc, s0, v4
	s_mov_b64 s[0:1], -1
	s_and_saveexec_b64 s[10:11], vcc
; %bb.186:
	s_xor_b64 s[0:1], exec, -1
; %bb.187:
	s_or_b64 exec, exec, s[10:11]
	s_and_b64 s[0:1], s[0:1], exec
	s_or_saveexec_b64 s[8:9], s[8:9]
	v_mov_b32_e32 v3, 0x7e00
	s_xor_b64 exec, exec, s[8:9]
	s_cbranch_execnz .LBB23_208
.LBB23_188:
	s_or_b64 exec, exec, s[8:9]
	s_and_saveexec_b64 s[8:9], s[0:1]
	s_cbranch_execz .LBB23_190
.LBB23_189:
	v_lshlrev_b32_e32 v3, 24, v4
	v_and_b32_e32 v4, 0xffff, v4
	v_and_b32_e32 v5, 3, v4
	v_ffbh_u32_e32 v7, v5
	v_min_u32_e32 v7, 32, v7
	v_subrev_u32_e32 v9, 29, v7
	v_bfe_u32 v6, v4, 2, 5
	v_lshlrev_b32_e32 v4, v9, v4
	v_sub_u32_e32 v7, 30, v7
	v_and_b32_e32 v4, 3, v4
	v_cmp_eq_u32_e32 vcc, 0, v6
	v_cndmask_b32_e32 v6, v6, v7, vcc
	v_cndmask_b32_e32 v4, v5, v4, vcc
	v_mov_b32_e32 v5, 0x37800000
	v_lshlrev_b32_e32 v4, 21, v4
	v_and_b32_e32 v3, 0x80000000, v3
	v_lshl_add_u32 v5, v6, 23, v5
	v_or3_b32 v3, v3, v5, v4
	v_cvt_f16_f32_e32 v3, v3
.LBB23_190:
	s_or_b64 exec, exec, s[8:9]
	s_mov_b64 s[0:1], 0
	s_branch .LBB23_196
.LBB23_191:
	s_mov_b64 s[8:9], -1
                                        ; implicit-def: $vgpr3
	s_branch .LBB23_202
.LBB23_192:
	s_or_saveexec_b64 s[8:9], s[8:9]
	v_mov_b32_e32 v3, 0x7e00
	s_xor_b64 exec, exec, s[8:9]
	s_cbranch_execz .LBB23_176
.LBB23_193:
	v_cmp_ne_u16_e32 vcc, 0, v4
	s_andn2_b64 s[0:1], s[0:1], exec
	s_and_b64 s[10:11], vcc, exec
	s_or_b64 s[0:1], s[0:1], s[10:11]
	v_mov_b32_e32 v3, v4
	s_or_b64 exec, exec, s[8:9]
	s_and_saveexec_b64 s[8:9], s[0:1]
	s_cbranch_execnz .LBB23_177
	s_branch .LBB23_178
.LBB23_194:
	s_mov_b64 s[0:1], -1
                                        ; implicit-def: $vgpr3
	s_branch .LBB23_199
.LBB23_195:
	s_mov_b64 s[0:1], -1
                                        ; implicit-def: $vgpr3
.LBB23_196:
	s_and_b64 vcc, exec, s[0:1]
	s_cbranch_vccz .LBB23_198
; %bb.197:
	global_load_ubyte v3, v[1:2], off
	s_mov_b32 s0, 0x7f800000
	s_waitcnt vmcnt(0)
	v_lshlrev_b32_e32 v3, 24, v3
	v_and_b32_e32 v4, 0x7f000000, v3
	v_ffbh_u32_e32 v5, v4
	v_min_u32_e32 v5, 32, v5
	v_sub_u32_e64 v5, v5, 4 clamp
	v_lshlrev_b32_e32 v7, v5, v4
	v_lshlrev_b32_e32 v5, 23, v5
	v_lshrrev_b32_e32 v7, 4, v7
	v_add_u32_e32 v6, 0x1000000, v4
	v_sub_u32_e32 v5, v7, v5
	v_ashrrev_i32_e32 v6, 8, v6
	v_add_u32_e32 v5, 0x3c000000, v5
	v_and_or_b32 v5, v6, s0, v5
	v_cmp_ne_u32_e32 vcc, 0, v4
	v_cndmask_b32_e32 v4, 0, v5, vcc
	s_brev_b32 s0, 1
	v_and_or_b32 v3, v3, s0, v4
	v_cvt_f16_f32_e32 v3, v3
.LBB23_198:
	s_mov_b64 s[0:1], 0
.LBB23_199:
	s_andn2_b64 vcc, exec, s[0:1]
	s_cbranch_vccnz .LBB23_201
; %bb.200:
	global_load_ubyte v3, v[1:2], off
	s_movk_i32 s0, 0x7f00
	s_brev_b32 s1, 16
	s_waitcnt vmcnt(0)
	v_lshlrev_b16_e32 v4, 8, v3
	v_lshlrev_b32_e32 v3, 25, v3
	v_lshrrev_b32_e32 v5, 4, v3
	v_and_or_b32 v6, v4, s0, 0.5
	v_or_b32_e32 v5, 0x70000000, v5
	v_add_f32_e32 v6, -0.5, v6
	v_mul_f32_e32 v5, 0x7800000, v5
	v_cmp_gt_u32_e32 vcc, s1, v3
	v_bfe_i32 v4, v4, 0, 16
	v_cndmask_b32_e32 v3, v5, v6, vcc
	s_brev_b32 s0, 1
	v_and_or_b32 v3, v4, s0, v3
	v_cvt_f16_f32_e32 v3, v3
.LBB23_201:
	s_mov_b64 s[8:9], 0
	s_mov_b64 s[0:1], -1
.LBB23_202:
	s_andn2_b64 vcc, exec, s[8:9]
	s_cbranch_vccnz .LBB23_215
; %bb.203:
	s_cmp_gt_i32 s12, 14
	s_cbranch_scc0 .LBB23_206
; %bb.204:
	s_cmp_eq_u32 s12, 15
	s_cbranch_scc0 .LBB23_209
; %bb.205:
	global_load_ushort v3, v[1:2], off
	s_mov_b64 s[0:1], -1
	s_mov_b64 s[2:3], 0
	s_waitcnt vmcnt(0)
	v_lshlrev_b32_e32 v3, 16, v3
	v_cvt_f16_f32_e32 v3, v3
	s_branch .LBB23_210
.LBB23_206:
	s_mov_b64 s[8:9], -1
                                        ; implicit-def: $vgpr3
	s_branch .LBB23_211
.LBB23_207:
	s_or_saveexec_b64 s[8:9], s[8:9]
	v_mov_b32_e32 v3, 0x7e00
	s_xor_b64 exec, exec, s[8:9]
	s_cbranch_execz .LBB23_188
.LBB23_208:
	v_cmp_ne_u16_e32 vcc, 0, v4
	s_andn2_b64 s[0:1], s[0:1], exec
	s_and_b64 s[10:11], vcc, exec
	s_or_b64 s[0:1], s[0:1], s[10:11]
	v_mov_b32_e32 v3, v4
	s_or_b64 exec, exec, s[8:9]
	s_and_saveexec_b64 s[8:9], s[0:1]
	s_cbranch_execnz .LBB23_189
	s_branch .LBB23_190
.LBB23_209:
	s_mov_b64 s[2:3], -1
                                        ; implicit-def: $vgpr3
.LBB23_210:
	s_mov_b64 s[8:9], 0
.LBB23_211:
	s_and_b64 vcc, exec, s[8:9]
	s_cbranch_vccz .LBB23_215
; %bb.212:
	s_cmp_eq_u32 s12, 11
	s_cbranch_scc0 .LBB23_214
; %bb.213:
	global_load_ubyte v3, v[1:2], off
	v_mov_b32_e32 v4, 0x3c00
	s_mov_b64 s[0:1], -1
	s_mov_b64 s[2:3], 0
	s_waitcnt vmcnt(0)
	v_cmp_ne_u16_e32 vcc, 0, v3
	v_cndmask_b32_e32 v3, 0, v4, vcc
	s_branch .LBB23_215
.LBB23_214:
	s_mov_b64 s[2:3], -1
                                        ; implicit-def: $vgpr3
.LBB23_215:
	s_branch .LBB23_24
.LBB23_216:
	s_cmp_lt_i32 s12, 5
	s_cbranch_scc1 .LBB23_221
; %bb.217:
	s_cmp_lt_i32 s12, 8
	s_cbranch_scc1 .LBB23_222
; %bb.218:
	;; [unrolled: 3-line block ×3, first 2 shown]
	s_cmp_gt_i32 s12, 9
	s_cbranch_scc0 .LBB23_224
; %bb.220:
	global_load_dwordx2 v[3:4], v[1:2], off
	s_movk_i32 s0, 0x1ff
	s_movk_i32 s1, 0xffe
	v_mov_b32_e32 v5, 0x7c00
	v_mov_b32_e32 v6, 0x7e00
	s_movk_i32 s8, 0x40f
	s_mov_b32 s9, 0x8000
	s_waitcnt vmcnt(0)
	v_and_or_b32 v3, v4, s0, v3
	v_cmp_ne_u32_e32 vcc, 0, v3
	v_lshrrev_b32_e32 v7, 8, v4
	v_bfe_u32 v9, v4, 20, 11
	v_cndmask_b32_e64 v3, 0, 1, vcc
	v_sub_u32_e32 v10, 0x3f1, v9
	v_and_or_b32 v3, v7, s1, v3
	v_add_u32_e32 v9, 0xfffffc10, v9
	v_med3_i32 v7, v10, 0, 13
	v_or_b32_e32 v10, 0x1000, v3
	v_cmp_ne_u32_e32 vcc, 0, v3
	v_lshl_or_b32 v11, v9, 12, v3
	v_cndmask_b32_e32 v3, v5, v6, vcc
	v_lshrrev_b32_e32 v6, v7, v10
	v_lshlrev_b32_e32 v7, v7, v6
	v_cmp_ne_u32_e32 vcc, v7, v10
	v_cndmask_b32_e64 v7, 0, 1, vcc
	v_or_b32_e32 v6, v6, v7
	v_cmp_gt_i32_e32 vcc, 1, v9
	v_cndmask_b32_e32 v6, v11, v6, vcc
	v_and_b32_e32 v7, 7, v6
	v_cmp_lt_i32_e32 vcc, 5, v7
	v_cndmask_b32_e64 v10, 0, 1, vcc
	v_cmp_eq_u32_e32 vcc, 3, v7
	v_cndmask_b32_e64 v7, 0, 1, vcc
	v_lshrrev_b32_e32 v6, 2, v6
	v_or_b32_e32 v7, v7, v10
	v_add_u32_e32 v6, v6, v7
	v_cmp_gt_i32_e32 vcc, 31, v9
	v_cndmask_b32_e32 v5, v5, v6, vcc
	v_cmp_eq_u32_e32 vcc, s8, v9
	v_lshrrev_b32_e32 v4, 16, v4
	v_cndmask_b32_e32 v3, v5, v3, vcc
	v_and_or_b32 v3, v4, s9, v3
	s_mov_b64 s[0:1], 0
	s_branch .LBB23_225
.LBB23_221:
                                        ; implicit-def: $vgpr3
	s_branch .LBB23_243
.LBB23_222:
	s_mov_b64 s[0:1], -1
                                        ; implicit-def: $vgpr3
	s_branch .LBB23_231
.LBB23_223:
	s_mov_b64 s[0:1], -1
                                        ; implicit-def: $vgpr3
	s_branch .LBB23_228
.LBB23_224:
	s_mov_b64 s[0:1], -1
                                        ; implicit-def: $vgpr3
.LBB23_225:
	s_andn2_b64 vcc, exec, s[0:1]
	s_cbranch_vccnz .LBB23_227
; %bb.226:
	global_load_dword v3, v[1:2], off
	s_waitcnt vmcnt(0)
	v_cvt_f16_f32_e32 v3, v3
.LBB23_227:
	s_mov_b64 s[0:1], 0
.LBB23_228:
	s_andn2_b64 vcc, exec, s[0:1]
	s_cbranch_vccnz .LBB23_230
; %bb.229:
	global_load_dword v3, v[1:2], off
.LBB23_230:
	s_mov_b64 s[0:1], 0
.LBB23_231:
	s_andn2_b64 vcc, exec, s[0:1]
	s_cbranch_vccnz .LBB23_242
; %bb.232:
	s_cmp_lt_i32 s12, 6
	s_cbranch_scc1 .LBB23_235
; %bb.233:
	s_cmp_gt_i32 s12, 6
	s_cbranch_scc0 .LBB23_236
; %bb.234:
	global_load_dwordx2 v[3:4], v[1:2], off
	s_movk_i32 s0, 0x1ff
	s_movk_i32 s1, 0xffe
	v_mov_b32_e32 v5, 0x7c00
	v_mov_b32_e32 v6, 0x7e00
	s_movk_i32 s8, 0x40f
	s_mov_b32 s9, 0x8000
	s_waitcnt vmcnt(0)
	v_and_or_b32 v3, v4, s0, v3
	v_cmp_ne_u32_e32 vcc, 0, v3
	v_lshrrev_b32_e32 v7, 8, v4
	v_bfe_u32 v9, v4, 20, 11
	v_cndmask_b32_e64 v3, 0, 1, vcc
	v_sub_u32_e32 v10, 0x3f1, v9
	v_and_or_b32 v3, v7, s1, v3
	v_add_u32_e32 v9, 0xfffffc10, v9
	v_med3_i32 v7, v10, 0, 13
	v_or_b32_e32 v10, 0x1000, v3
	v_cmp_ne_u32_e32 vcc, 0, v3
	v_lshl_or_b32 v11, v9, 12, v3
	v_cndmask_b32_e32 v3, v5, v6, vcc
	v_lshrrev_b32_e32 v6, v7, v10
	v_lshlrev_b32_e32 v7, v7, v6
	v_cmp_ne_u32_e32 vcc, v7, v10
	v_cndmask_b32_e64 v7, 0, 1, vcc
	v_or_b32_e32 v6, v6, v7
	v_cmp_gt_i32_e32 vcc, 1, v9
	v_cndmask_b32_e32 v6, v11, v6, vcc
	v_and_b32_e32 v7, 7, v6
	v_cmp_lt_i32_e32 vcc, 5, v7
	v_cndmask_b32_e64 v10, 0, 1, vcc
	v_cmp_eq_u32_e32 vcc, 3, v7
	v_cndmask_b32_e64 v7, 0, 1, vcc
	v_lshrrev_b32_e32 v6, 2, v6
	v_or_b32_e32 v7, v7, v10
	v_add_u32_e32 v6, v6, v7
	v_cmp_gt_i32_e32 vcc, 31, v9
	v_cndmask_b32_e32 v5, v5, v6, vcc
	v_cmp_eq_u32_e32 vcc, s8, v9
	v_lshrrev_b32_e32 v4, 16, v4
	v_cndmask_b32_e32 v3, v5, v3, vcc
	v_and_or_b32 v3, v4, s9, v3
	s_mov_b64 s[0:1], 0
	s_branch .LBB23_237
.LBB23_235:
	s_mov_b64 s[0:1], -1
                                        ; implicit-def: $vgpr3
	s_branch .LBB23_240
.LBB23_236:
	s_mov_b64 s[0:1], -1
                                        ; implicit-def: $vgpr3
.LBB23_237:
	s_andn2_b64 vcc, exec, s[0:1]
	s_cbranch_vccnz .LBB23_239
; %bb.238:
	global_load_dword v3, v[1:2], off
	s_waitcnt vmcnt(0)
	v_cvt_f16_f32_e32 v3, v3
.LBB23_239:
	s_mov_b64 s[0:1], 0
.LBB23_240:
	s_andn2_b64 vcc, exec, s[0:1]
	s_cbranch_vccnz .LBB23_242
; %bb.241:
	global_load_ushort v3, v[1:2], off
.LBB23_242:
	s_cbranch_execnz .LBB23_262
.LBB23_243:
	s_cmp_lt_i32 s12, 2
	s_cbranch_scc1 .LBB23_247
; %bb.244:
	s_cmp_lt_i32 s12, 3
	s_cbranch_scc1 .LBB23_248
; %bb.245:
	s_cmp_gt_i32 s12, 3
	s_cbranch_scc0 .LBB23_249
; %bb.246:
	global_load_dwordx2 v[3:4], v[1:2], off
	s_mov_b64 s[0:1], 0
	s_waitcnt vmcnt(0)
	v_xor_b32_e32 v6, v3, v4
	v_ffbh_i32_e32 v5, v4
	v_ashrrev_i32_e32 v6, 31, v6
	v_add_u32_e32 v5, -1, v5
	v_add_u32_e32 v6, 32, v6
	v_min_u32_e32 v5, v5, v6
	v_lshlrev_b64 v[3:4], v5, v[3:4]
	v_min_u32_e32 v3, 1, v3
	v_or_b32_e32 v3, v4, v3
	v_cvt_f32_i32_e32 v3, v3
	v_sub_u32_e32 v4, 32, v5
	v_ldexp_f32 v3, v3, v4
	v_cvt_f16_f32_e32 v3, v3
	s_branch .LBB23_250
.LBB23_247:
	s_mov_b64 s[0:1], -1
                                        ; implicit-def: $vgpr3
	s_branch .LBB23_256
.LBB23_248:
	s_mov_b64 s[0:1], -1
                                        ; implicit-def: $vgpr3
	s_branch .LBB23_253
.LBB23_249:
	s_mov_b64 s[0:1], -1
                                        ; implicit-def: $vgpr3
.LBB23_250:
	s_andn2_b64 vcc, exec, s[0:1]
	s_cbranch_vccnz .LBB23_252
; %bb.251:
	global_load_dword v3, v[1:2], off
	s_waitcnt vmcnt(0)
	v_cvt_f32_i32_e32 v3, v3
	v_cvt_f16_f32_e32 v3, v3
.LBB23_252:
	s_mov_b64 s[0:1], 0
.LBB23_253:
	s_andn2_b64 vcc, exec, s[0:1]
	s_cbranch_vccnz .LBB23_255
; %bb.254:
	global_load_ushort v3, v[1:2], off
	s_waitcnt vmcnt(0)
	v_cvt_f16_i16_e32 v3, v3
.LBB23_255:
	s_mov_b64 s[0:1], 0
.LBB23_256:
	s_andn2_b64 vcc, exec, s[0:1]
	s_cbranch_vccnz .LBB23_262
; %bb.257:
	s_cmp_gt_i32 s12, 0
	s_cbranch_scc0 .LBB23_259
; %bb.258:
	global_load_sbyte v3, v[1:2], off
	s_mov_b64 s[0:1], 0
	s_waitcnt vmcnt(0)
	v_cvt_f16_i16_e32 v3, v3
	s_branch .LBB23_260
.LBB23_259:
	s_mov_b64 s[0:1], -1
                                        ; implicit-def: $vgpr3
.LBB23_260:
	s_andn2_b64 vcc, exec, s[0:1]
	s_cbranch_vccnz .LBB23_262
; %bb.261:
	global_load_ubyte v1, v[1:2], off
	s_waitcnt vmcnt(0)
	v_cvt_f16_u16_e32 v3, v1
.LBB23_262:
	s_branch .LBB23_25
.LBB23_263:
	s_mov_b64 s[0:1], 0
.LBB23_264:
	s_mov_b64 s[8:9], 0
                                        ; implicit-def: $vgpr8
.LBB23_265:
	s_and_b64 s[52:53], s[0:1], exec
	s_and_b64 s[54:55], s[2:3], exec
	s_orn2_b64 s[2:3], s[8:9], exec
.LBB23_266:
	s_or_b64 exec, exec, s[56:57]
	s_mov_b64 s[10:11], 0
	s_mov_b64 s[0:1], 0
                                        ; implicit-def: $vgpr1_vgpr2
                                        ; implicit-def: $vgpr0
                                        ; implicit-def: $vgpr4
	s_and_saveexec_b64 s[56:57], s[2:3]
	s_cbranch_execz .LBB23_273
; %bb.267:
	v_cmp_gt_i32_e32 vcc, s70, v8
	s_mov_b64 s[0:1], -1
	s_mov_b64 s[58:59], s[54:55]
	s_mov_b64 s[60:61], s[52:53]
	s_and_saveexec_b64 s[62:63], vcc
	s_cbranch_execz .LBB23_542
; %bb.268:
	s_andn2_b64 vcc, exec, s[40:41]
	s_cbranch_vccnz .LBB23_276
; %bb.269:
	s_andn2_b64 vcc, exec, s[50:51]
	s_cbranch_vccnz .LBB23_277
; %bb.270:
	s_add_i32 s65, s76, 1
	s_cmp_eq_u32 s72, 2
	s_cbranch_scc1 .LBB23_278
; %bb.271:
	s_and_b32 s64, s65, 28
	v_mov_b32_e32 v2, 0
	s_mov_b32 s66, 0
	s_mov_b64 s[58:59], s[34:35]
	s_mov_b64 s[60:61], s[48:49]
	v_mov_b32_e32 v0, 0
	v_mov_b32_e32 v1, v8
.LBB23_272:                             ; =>This Inner Loop Header: Depth=1
	s_load_dwordx8 s[16:23], s[58:59], 0x4
	s_load_dwordx4 s[0:3], s[58:59], 0x24
	s_load_dwordx8 s[8:15], s[60:61], 0x0
	s_add_u32 s58, s58, 48
	s_addc_u32 s59, s59, 0
	s_waitcnt vmcnt(0) lgkmcnt(0)
	v_mul_hi_u32 v3, s17, v1
	s_add_i32 s66, s66, 4
	s_add_u32 s60, s60, 32
	s_addc_u32 s61, s61, 0
	v_add_u32_e32 v3, v1, v3
	v_lshrrev_b32_e32 v3, s18, v3
	v_mul_lo_u32 v4, v3, s16
	v_mul_hi_u32 v5, s20, v3
	s_cmp_eq_u32 s64, s66
	v_sub_u32_e32 v1, v1, v4
	v_add_u32_e32 v4, v3, v5
	v_mul_lo_u32 v5, v1, s8
	v_mul_lo_u32 v6, v1, s9
	v_lshrrev_b32_e32 v1, s21, v4
	v_mul_lo_u32 v4, v1, s19
	v_mul_hi_u32 v7, s23, v1
	v_sub_u32_e32 v3, v3, v4
	v_add_u32_e32 v4, v1, v7
	v_lshrrev_b32_e32 v4, s0, v4
	v_mul_hi_u32 v9, s2, v4
	v_mul_lo_u32 v10, v4, s22
	v_mul_lo_u32 v7, v3, s10
	;; [unrolled: 1-line block ×3, first 2 shown]
	v_sub_u32_e32 v10, v1, v10
	v_add_u32_e32 v1, v4, v9
	v_lshrrev_b32_e32 v1, s3, v1
	v_mul_lo_u32 v9, v1, s1
	v_mul_lo_u32 v11, v10, s12
	;; [unrolled: 1-line block ×3, first 2 shown]
	v_add3_u32 v0, v5, v0, v7
	v_sub_u32_e32 v4, v4, v9
	v_mul_lo_u32 v9, v4, s14
	v_mul_lo_u32 v4, v4, s15
	v_add3_u32 v2, v6, v2, v3
	v_add3_u32 v0, v11, v0, v9
	;; [unrolled: 1-line block ×3, first 2 shown]
	s_cbranch_scc0 .LBB23_272
	s_branch .LBB23_279
.LBB23_273:
	s_or_b64 exec, exec, s[56:57]
	s_mov_b64 s[2:3], 0
	s_and_saveexec_b64 s[8:9], s[54:55]
	s_cbranch_execnz .LBB23_918
.LBB23_274:
	s_or_b64 exec, exec, s[8:9]
	s_and_saveexec_b64 s[8:9], s[60:61]
	s_xor_b64 s[8:9], exec, s[8:9]
	s_cbranch_execz .LBB23_919
.LBB23_275:
	global_load_ubyte v3, v[1:2], off
	v_mov_b32_e32 v4, 0x3c00
	s_or_b64 s[0:1], s[0:1], exec
	s_waitcnt vmcnt(0)
	v_cmp_ne_u16_e32 vcc, 0, v3
	v_cndmask_b32_e32 v4, 0, v4, vcc
	s_or_b64 exec, exec, s[8:9]
	s_and_saveexec_b64 s[8:9], s[10:11]
	s_cbranch_execz .LBB23_965
	s_branch .LBB23_920
.LBB23_276:
                                        ; implicit-def: $vgpr0
                                        ; implicit-def: $vgpr2
	s_andn2_b64 vcc, exec, s[0:1]
	s_cbranch_vccz .LBB23_283
	s_branch .LBB23_285
.LBB23_277:
	v_mov_b32_e32 v0, 0
	v_mov_b32_e32 v2, 0
	s_branch .LBB23_282
.LBB23_278:
	s_mov_b32 s64, 0
	v_mov_b32_e32 v0, 0
	v_mov_b32_e32 v2, 0
	;; [unrolled: 1-line block ×3, first 2 shown]
.LBB23_279:
	s_and_b32 s8, s65, 3
	s_cmp_eq_u32 s8, 0
	s_cbranch_scc1 .LBB23_282
; %bb.280:
	s_lshl_b32 s0, s64, 3
	s_add_u32 s0, s34, s0
	s_addc_u32 s1, s35, 0
	s_add_u32 s0, s0, 0xc4
	s_addc_u32 s1, s1, 0
	s_mul_i32 s2, s64, 12
	s_add_u32 s2, s34, s2
	s_addc_u32 s3, s35, 0
.LBB23_281:                             ; =>This Inner Loop Header: Depth=1
	s_load_dwordx2 s[10:11], s[2:3], 0x4
	s_load_dword s9, s[2:3], 0xc
	s_load_dwordx2 s[12:13], s[0:1], 0x0
	s_add_u32 s2, s2, 12
	s_addc_u32 s3, s3, 0
	s_waitcnt vmcnt(0) lgkmcnt(0)
	v_mul_hi_u32 v3, s11, v1
	s_add_u32 s0, s0, 8
	s_addc_u32 s1, s1, 0
	s_add_i32 s8, s8, -1
	v_add_u32_e32 v3, v1, v3
	v_lshrrev_b32_e32 v4, s9, v3
	v_mul_lo_u32 v3, v4, s10
	s_cmp_lg_u32 s8, 0
	v_sub_u32_e32 v3, v1, v3
	v_mad_u64_u32 v[0:1], s[10:11], v3, s12, v[0:1]
	v_mad_u64_u32 v[2:3], s[10:11], v3, s13, v[2:3]
	v_mov_b32_e32 v1, v4
	s_cbranch_scc1 .LBB23_281
.LBB23_282:
	s_cbranch_execnz .LBB23_285
.LBB23_283:
	v_mul_hi_u32 v0, s29, v8
	s_andn2_b64 vcc, exec, s[46:47]
	v_add_u32_e32 v0, v8, v0
	v_lshrrev_b32_e32 v1, s30, v0
	v_mul_lo_u32 v0, v1, s28
	v_sub_u32_e32 v2, v8, v0
	v_mul_lo_u32 v0, v2, s36
	v_mul_lo_u32 v2, v2, s37
	s_cbranch_vccnz .LBB23_285
; %bb.284:
	s_waitcnt vmcnt(0)
	v_mul_hi_u32 v3, s44, v1
	v_add_u32_e32 v3, v1, v3
	v_lshrrev_b32_e32 v3, s45, v3
	v_mul_lo_u32 v3, v3, s31
	v_sub_u32_e32 v3, v1, v3
	v_mad_u64_u32 v[0:1], s[0:1], v3, s38, v[0:1]
	v_mad_u64_u32 v[2:3], s[0:1], v3, s39, v[2:3]
.LBB23_285:
	s_waitcnt vmcnt(0)
	v_mov_b32_e32 v3, s27
	s_and_b32 s12, 0xffff, s75
	v_add_co_u32_e32 v1, vcc, s26, v2
	s_cmp_lt_i32 s12, 11
	v_addc_co_u32_e32 v2, vcc, 0, v3, vcc
	s_cbranch_scc1 .LBB23_292
; %bb.286:
	s_cmp_gt_i32 s12, 25
	s_cbranch_scc0 .LBB23_301
; %bb.287:
	s_cmp_gt_i32 s12, 28
	s_cbranch_scc0 .LBB23_303
	;; [unrolled: 3-line block ×4, first 2 shown]
; %bb.290:
	s_cmp_eq_u32 s12, 46
	s_mov_b64 s[8:9], 0
	s_cbranch_scc0 .LBB23_313
; %bb.291:
	global_load_dword v3, v[1:2], off
	s_mov_b64 s[0:1], -1
	s_mov_b64 s[2:3], 0
	s_waitcnt vmcnt(0)
	v_lshlrev_b32_e32 v3, 16, v3
	v_cvt_f16_f32_e32 v3, v3
	s_branch .LBB23_314
.LBB23_292:
	s_mov_b64 s[0:1], 0
                                        ; implicit-def: $vgpr3
	s_mov_b64 s[2:3], s[54:55]
	s_cbranch_execnz .LBB23_491
.LBB23_293:
	s_andn2_b64 vcc, exec, s[0:1]
	s_cbranch_vccnz .LBB23_539
.LBB23_294:
	s_waitcnt vmcnt(0)
	v_cmp_nge_f16_e64 s[0:1], v3, -s74
	v_cmp_nge_f16_e32 vcc, s74, v3
	s_or_b64 vcc, s[0:1], vcc
	v_cndmask_b32_e32 v2, 0, v3, vcc
	v_mov_b32_e32 v1, s25
	s_and_b32 s14, s73, 0xff
	v_add_co_u32_e32 v0, vcc, s24, v0
	s_cmp_lt_i32 s14, 11
	v_addc_co_u32_e32 v1, vcc, 0, v1, vcc
	s_cbranch_scc1 .LBB23_302
; %bb.295:
	s_and_b32 s15, 0xffff, s14
	s_cmp_gt_i32 s15, 25
	s_cbranch_scc0 .LBB23_304
; %bb.296:
	s_cmp_gt_i32 s15, 28
	s_cbranch_scc0 .LBB23_306
; %bb.297:
	;; [unrolled: 3-line block ×4, first 2 shown]
	s_mov_b64 s[10:11], 0
	s_mov_b64 s[0:1], -1
	s_cmp_eq_u32 s15, 46
	s_mov_b64 s[8:9], 0
	s_cbranch_scc0 .LBB23_318
; %bb.300:
	v_cvt_f32_f16_e32 v3, v2
	s_movk_i32 s0, 0x7fff
	v_cmp_o_f16_e32 vcc, v2, v2
	v_mov_b32_e32 v4, 0x7fc0
	v_bfe_u32 v5, v3, 16, 1
	v_add3_u32 v3, v3, v5, s0
	v_cndmask_b32_sdwa v3, v4, v3, vcc dst_sel:DWORD dst_unused:UNUSED_PAD src0_sel:DWORD src1_sel:WORD_1
	global_store_dword v[0:1], v3, off
	s_mov_b64 s[8:9], -1
	s_mov_b64 s[0:1], 0
	s_branch .LBB23_318
.LBB23_301:
	s_mov_b64 s[8:9], -1
	s_mov_b64 s[0:1], 0
	s_mov_b64 s[2:3], s[54:55]
                                        ; implicit-def: $vgpr3
	s_branch .LBB23_455
.LBB23_302:
	s_mov_b64 s[10:11], -1
	s_mov_b64 s[8:9], 0
	s_mov_b64 s[0:1], s[52:53]
	s_branch .LBB23_387
.LBB23_303:
	s_mov_b64 s[8:9], -1
	s_mov_b64 s[0:1], 0
	s_mov_b64 s[2:3], s[54:55]
                                        ; implicit-def: $vgpr3
	s_branch .LBB23_436
.LBB23_304:
	s_mov_b64 s[10:11], -1
	s_mov_b64 s[8:9], 0
	s_mov_b64 s[0:1], s[52:53]
	s_branch .LBB23_345
.LBB23_305:
	s_mov_b64 s[8:9], -1
	s_mov_b64 s[0:1], 0
	s_mov_b64 s[2:3], s[54:55]
                                        ; implicit-def: $vgpr3
	s_branch .LBB23_431
.LBB23_306:
	s_mov_b64 s[10:11], -1
	s_mov_b64 s[8:9], 0
	s_mov_b64 s[0:1], s[52:53]
	s_branch .LBB23_328
.LBB23_307:
	s_andn2_saveexec_b64 s[12:13], s[12:13]
	s_cbranch_execz .LBB23_68
.LBB23_308:
	s_mov_b32 s16, 0x46000000
	v_add_f32_e64 v4, |v3|, s16
	v_and_b32_e32 v4, 0xff, v4
	v_cmp_ne_u32_e32 vcc, 0, v4
	s_andn2_b64 s[10:11], s[10:11], exec
	s_and_b64 s[16:17], vcc, exec
	s_or_b64 s[10:11], s[10:11], s[16:17]
	s_or_b64 exec, exec, s[12:13]
	v_mov_b32_e32 v5, 0
	s_and_saveexec_b64 s[12:13], s[10:11]
	s_cbranch_execnz .LBB23_69
	s_branch .LBB23_70
.LBB23_309:
	s_mov_b64 s[8:9], -1
	s_mov_b64 s[0:1], 0
	s_mov_b64 s[2:3], s[54:55]
                                        ; implicit-def: $vgpr3
	s_branch .LBB23_314
.LBB23_310:
	s_mov_b64 s[10:11], -1
	s_mov_b64 s[8:9], 0
	s_mov_b64 s[0:1], s[52:53]
	s_branch .LBB23_324
.LBB23_311:
	s_andn2_saveexec_b64 s[12:13], s[12:13]
	s_cbranch_execz .LBB23_81
.LBB23_312:
	s_mov_b32 s16, 0x42800000
	v_add_f32_e64 v4, |v3|, s16
	v_and_b32_e32 v4, 0xff, v4
	v_cmp_ne_u32_e32 vcc, 0, v4
	s_andn2_b64 s[10:11], s[10:11], exec
	s_and_b64 s[16:17], vcc, exec
	s_or_b64 s[10:11], s[10:11], s[16:17]
	s_or_b64 exec, exec, s[12:13]
	v_mov_b32_e32 v5, 0
	s_and_saveexec_b64 s[12:13], s[10:11]
	s_cbranch_execnz .LBB23_82
	s_branch .LBB23_83
.LBB23_313:
	s_mov_b64 s[2:3], -1
                                        ; implicit-def: $vgpr3
	s_mov_b64 s[0:1], 0
.LBB23_314:
	s_and_b64 vcc, exec, s[8:9]
	s_cbranch_vccz .LBB23_430
; %bb.315:
	s_cmp_eq_u32 s12, 44
	s_cbranch_scc0 .LBB23_429
; %bb.316:
	global_load_ubyte v3, v[1:2], off
	s_movk_i32 s2, 0xff
	v_mov_b32_e32 v5, 0x7e00
	s_mov_b64 s[0:1], -1
	s_waitcnt vmcnt(0)
	v_lshlrev_b32_e32 v4, 23, v3
	v_cvt_f16_f32_e32 v4, v4
	v_cmp_ne_u32_e32 vcc, s2, v3
	s_mov_b64 s[2:3], 0
	v_cndmask_b32_e32 v4, v5, v4, vcc
	v_cmp_ne_u32_e32 vcc, 0, v3
	v_cndmask_b32_e32 v3, 0, v4, vcc
	s_branch .LBB23_430
.LBB23_317:
	s_mov_b64 s[10:11], -1
	s_mov_b64 s[8:9], 0
	s_mov_b64 s[0:1], s[52:53]
.LBB23_318:
	s_and_b64 vcc, exec, s[10:11]
	s_cbranch_vccz .LBB23_323
; %bb.319:
	s_cmp_eq_u32 s15, 44
	s_mov_b64 s[0:1], -1
	s_cbranch_scc0 .LBB23_323
; %bb.320:
	v_cvt_f32_f16_e32 v3, v2
	s_movk_i32 s0, 0xff
	v_mov_b32_e32 v5, 0xff
	v_bfe_u32 v4, v3, 23, 8
	v_cmp_ne_u32_e32 vcc, s0, v4
	s_and_saveexec_b64 s[8:9], vcc
; %bb.321:
	s_mov_b32 s0, 0x3fffff
	v_lshrrev_b32_e32 v5, 23, v3
	v_and_b32_e32 v6, 0x400000, v3
	v_and_or_b32 v3, v3, s0, v4
	v_cmp_ne_u32_e32 vcc, 0, v6
	v_cmp_ne_u32_e64 s[0:1], 0, v3
	s_and_b64 s[0:1], vcc, s[0:1]
	v_cndmask_b32_e64 v3, 0, 1, s[0:1]
	v_add_u32_e32 v5, v5, v3
; %bb.322:
	s_or_b64 exec, exec, s[8:9]
	s_mov_b64 s[8:9], -1
	s_mov_b64 s[0:1], 0
	global_store_byte v[0:1], v5, off
.LBB23_323:
	s_mov_b64 s[10:11], 0
.LBB23_324:
	s_and_b64 vcc, exec, s[10:11]
	s_cbranch_vccz .LBB23_327
; %bb.325:
	s_cmp_eq_u32 s15, 29
	s_mov_b64 s[0:1], -1
	s_cbranch_scc0 .LBB23_327
; %bb.326:
	v_cvt_f32_f16_e32 v3, v2
	v_mov_b32_e32 v4, 0
	s_mov_b64 s[8:9], -1
	s_mov_b64 s[0:1], 0
	v_cvt_u32_f32_e32 v3, v3
	s_mov_b64 s[10:11], 0
	global_store_dwordx2 v[0:1], v[3:4], off
	s_branch .LBB23_328
.LBB23_327:
	s_mov_b64 s[10:11], 0
.LBB23_328:
	s_and_b64 vcc, exec, s[10:11]
	s_cbranch_vccz .LBB23_344
; %bb.329:
	s_cmp_lt_i32 s15, 27
	s_mov_b64 s[8:9], -1
	s_cbranch_scc1 .LBB23_335
; %bb.330:
	s_cmp_gt_i32 s15, 27
	s_cbranch_scc0 .LBB23_332
; %bb.331:
	v_cvt_f32_f16_e32 v3, v2
	s_mov_b64 s[8:9], 0
	v_cvt_u32_f32_e32 v3, v3
	global_store_dword v[0:1], v3, off
.LBB23_332:
	s_andn2_b64 vcc, exec, s[8:9]
	s_cbranch_vccnz .LBB23_334
; %bb.333:
	v_cvt_u16_f16_e32 v3, v2
	global_store_short v[0:1], v3, off
.LBB23_334:
	s_mov_b64 s[8:9], 0
.LBB23_335:
	s_andn2_b64 vcc, exec, s[8:9]
	s_cbranch_vccnz .LBB23_343
; %bb.336:
	v_cvt_f32_f16_e32 v3, v2
	s_mov_b32 s8, 0x43800000
	v_mov_b32_e32 v5, 0x80
	v_and_b32_e32 v4, 0x7fffffff, v3
	v_cmp_gt_u32_e32 vcc, s8, v4
	s_and_saveexec_b64 s[8:9], vcc
	s_cbranch_execz .LBB23_342
; %bb.337:
	s_mov_b32 s10, 0x3bffffff
	v_cmp_lt_u32_e32 vcc, s10, v4
	s_mov_b64 s[10:11], 0
                                        ; implicit-def: $vgpr4
	s_and_saveexec_b64 s[12:13], vcc
	s_xor_b64 s[12:13], exec, s[12:13]
	s_cbranch_execz .LBB23_570
; %bb.338:
	v_bfe_u32 v4, v3, 20, 1
	s_mov_b32 s16, 0x487ffff
	v_add3_u32 v4, v3, v4, s16
	s_mov_b64 s[10:11], exec
	v_lshrrev_b32_e32 v4, 20, v4
	s_andn2_saveexec_b64 s[12:13], s[12:13]
	s_cbranch_execnz .LBB23_571
.LBB23_339:
	s_or_b64 exec, exec, s[12:13]
	v_mov_b32_e32 v5, 0
	s_and_saveexec_b64 s[12:13], s[10:11]
.LBB23_340:
	v_lshrrev_b32_e32 v3, 24, v3
	s_movk_i32 s10, 0x80
	v_and_or_b32 v5, v3, s10, v4
.LBB23_341:
	s_or_b64 exec, exec, s[12:13]
.LBB23_342:
	s_or_b64 exec, exec, s[8:9]
	global_store_byte v[0:1], v5, off
.LBB23_343:
	s_mov_b64 s[8:9], -1
.LBB23_344:
	s_mov_b64 s[10:11], 0
.LBB23_345:
	s_and_b64 vcc, exec, s[10:11]
	s_cbranch_vccz .LBB23_386
; %bb.346:
	s_cmp_gt_i32 s15, 22
	s_mov_b64 s[10:11], -1
	s_cbranch_scc0 .LBB23_378
; %bb.347:
	s_cmp_lt_i32 s15, 24
	s_mov_b64 s[8:9], -1
	s_cbranch_scc1 .LBB23_367
; %bb.348:
	s_cmp_gt_i32 s15, 24
	s_cbranch_scc0 .LBB23_356
; %bb.349:
	v_cvt_f32_f16_e32 v3, v2
	s_mov_b32 s8, 0x47800000
	v_mov_b32_e32 v5, 0x80
	v_and_b32_e32 v4, 0x7fffffff, v3
	v_cmp_gt_u32_e32 vcc, s8, v4
	s_and_saveexec_b64 s[8:9], vcc
	s_cbranch_execz .LBB23_355
; %bb.350:
	s_mov_b32 s10, 0x37ffffff
	v_cmp_lt_u32_e32 vcc, s10, v4
	s_mov_b64 s[10:11], 0
                                        ; implicit-def: $vgpr4
	s_and_saveexec_b64 s[12:13], vcc
	s_xor_b64 s[12:13], exec, s[12:13]
	s_cbranch_execz .LBB23_573
; %bb.351:
	v_bfe_u32 v4, v3, 21, 1
	s_mov_b32 s16, 0x88fffff
	v_add3_u32 v4, v3, v4, s16
	s_mov_b64 s[10:11], exec
	v_lshrrev_b32_e32 v4, 21, v4
	s_andn2_saveexec_b64 s[12:13], s[12:13]
	s_cbranch_execnz .LBB23_574
.LBB23_352:
	s_or_b64 exec, exec, s[12:13]
	v_mov_b32_e32 v5, 0
	s_and_saveexec_b64 s[12:13], s[10:11]
.LBB23_353:
	v_lshrrev_b32_e32 v3, 24, v3
	s_movk_i32 s10, 0x80
	v_and_or_b32 v5, v3, s10, v4
.LBB23_354:
	s_or_b64 exec, exec, s[12:13]
.LBB23_355:
	s_or_b64 exec, exec, s[8:9]
	s_mov_b64 s[8:9], 0
	global_store_byte v[0:1], v5, off
.LBB23_356:
	s_and_b64 vcc, exec, s[8:9]
	s_cbranch_vccz .LBB23_366
; %bb.357:
	v_cvt_f32_f16_e32 v3, v2
	s_mov_b32 s8, 0x43f00000
                                        ; implicit-def: $vgpr4
	v_and_b32_e32 v5, 0x7fffffff, v3
	v_cmp_gt_u32_e32 vcc, s8, v5
	s_and_saveexec_b64 s[8:9], vcc
	s_xor_b64 s[8:9], exec, s[8:9]
	s_cbranch_execz .LBB23_363
; %bb.358:
	s_mov_b32 s10, 0x3c7fffff
	v_cmp_lt_u32_e32 vcc, s10, v5
                                        ; implicit-def: $vgpr4
	s_and_saveexec_b64 s[10:11], vcc
	s_xor_b64 s[10:11], exec, s[10:11]
; %bb.359:
	v_bfe_u32 v4, v3, 20, 1
	s_mov_b32 s12, 0x407ffff
	v_add3_u32 v4, v3, v4, s12
	v_lshrrev_b32_e32 v5, 20, v4
	v_and_b32_e32 v4, 0xff00000, v4
	s_mov_b32 s12, 0x7f00000
	v_mov_b32_e32 v6, 0x7e
	v_cmp_ne_u32_e32 vcc, s12, v4
	v_cndmask_b32_e32 v4, v6, v5, vcc
; %bb.360:
	s_andn2_saveexec_b64 s[10:11], s[10:11]
; %bb.361:
	s_mov_b32 s12, 0x46800000
	v_add_f32_e64 v4, |v3|, s12
; %bb.362:
	s_or_b64 exec, exec, s[10:11]
                                        ; implicit-def: $vgpr5
.LBB23_363:
	s_andn2_saveexec_b64 s[8:9], s[8:9]
; %bb.364:
	s_mov_b32 s10, 0x7f800000
	v_mov_b32_e32 v4, 0x7e
	v_mov_b32_e32 v6, 0x7f
	v_cmp_lt_u32_e32 vcc, s10, v5
	v_cndmask_b32_e32 v4, v4, v6, vcc
; %bb.365:
	s_or_b64 exec, exec, s[8:9]
	v_lshrrev_b32_e32 v3, 24, v3
	s_movk_i32 s8, 0x80
	v_and_or_b32 v3, v3, s8, v4
	global_store_byte v[0:1], v3, off
.LBB23_366:
	s_mov_b64 s[8:9], 0
.LBB23_367:
	s_andn2_b64 vcc, exec, s[8:9]
	s_cbranch_vccnz .LBB23_377
; %bb.368:
	v_cvt_f32_f16_e32 v3, v2
	s_mov_b32 s8, 0x47800000
                                        ; implicit-def: $vgpr4
	v_and_b32_e32 v5, 0x7fffffff, v3
	v_cmp_gt_u32_e32 vcc, s8, v5
	s_and_saveexec_b64 s[8:9], vcc
	s_xor_b64 s[8:9], exec, s[8:9]
	s_cbranch_execz .LBB23_374
; %bb.369:
	s_mov_b32 s10, 0x387fffff
	v_cmp_lt_u32_e32 vcc, s10, v5
                                        ; implicit-def: $vgpr4
	s_and_saveexec_b64 s[10:11], vcc
	s_xor_b64 s[10:11], exec, s[10:11]
; %bb.370:
	v_bfe_u32 v4, v3, 21, 1
	s_mov_b32 s12, 0x80fffff
	v_add3_u32 v4, v3, v4, s12
	v_lshrrev_b32_e32 v4, 21, v4
; %bb.371:
	s_andn2_saveexec_b64 s[10:11], s[10:11]
; %bb.372:
	s_mov_b32 s12, 0x43000000
	v_add_f32_e64 v4, |v3|, s12
; %bb.373:
	s_or_b64 exec, exec, s[10:11]
                                        ; implicit-def: $vgpr5
.LBB23_374:
	s_andn2_saveexec_b64 s[8:9], s[8:9]
; %bb.375:
	s_mov_b32 s10, 0x7f800000
	v_mov_b32_e32 v4, 0x7c
	v_mov_b32_e32 v6, 0x7f
	v_cmp_lt_u32_e32 vcc, s10, v5
	v_cndmask_b32_e32 v4, v4, v6, vcc
; %bb.376:
	s_or_b64 exec, exec, s[8:9]
	v_lshrrev_b32_e32 v3, 24, v3
	s_movk_i32 s8, 0x80
	v_and_or_b32 v3, v3, s8, v4
	global_store_byte v[0:1], v3, off
.LBB23_377:
	s_mov_b64 s[10:11], 0
	s_mov_b64 s[8:9], -1
.LBB23_378:
	s_andn2_b64 vcc, exec, s[10:11]
	s_cbranch_vccnz .LBB23_386
; %bb.379:
	s_cmp_gt_i32 s15, 14
	s_mov_b64 s[10:11], -1
	s_cbranch_scc0 .LBB23_383
; %bb.380:
	s_cmp_eq_u32 s15, 15
	s_mov_b64 s[0:1], -1
	s_cbranch_scc0 .LBB23_382
; %bb.381:
	v_cvt_f32_f16_e32 v3, v2
	s_movk_i32 s0, 0x7fff
	v_cmp_o_f16_e32 vcc, v2, v2
	v_mov_b32_e32 v4, 0x7fc0
	v_bfe_u32 v5, v3, 16, 1
	v_add3_u32 v3, v3, v5, s0
	v_cndmask_b32_sdwa v3, v4, v3, vcc dst_sel:DWORD dst_unused:UNUSED_PAD src0_sel:DWORD src1_sel:WORD_1
	global_store_short v[0:1], v3, off
	s_mov_b64 s[8:9], -1
	s_mov_b64 s[0:1], 0
.LBB23_382:
	s_mov_b64 s[10:11], 0
.LBB23_383:
	s_and_b64 vcc, exec, s[10:11]
	s_cbranch_vccz .LBB23_386
; %bb.384:
	s_cmp_eq_u32 s15, 11
	s_mov_b64 s[0:1], -1
	s_cbranch_scc0 .LBB23_386
; %bb.385:
	v_and_b32_e32 v3, 0x7fff, v2
	v_cmp_ne_u16_e32 vcc, 0, v3
	v_cndmask_b32_e64 v3, 0, 1, vcc
	s_mov_b64 s[8:9], -1
	s_mov_b64 s[0:1], 0
	global_store_byte v[0:1], v3, off
.LBB23_386:
	s_mov_b64 s[10:11], 0
.LBB23_387:
	s_and_b64 vcc, exec, s[10:11]
	s_cbranch_vccz .LBB23_426
; %bb.388:
	s_and_b32 s10, 0xffff, s14
	s_cmp_lt_i32 s10, 5
	s_mov_b64 s[8:9], -1
	s_cbranch_scc1 .LBB23_409
; %bb.389:
	s_cmp_lt_i32 s10, 8
	s_cbranch_scc1 .LBB23_399
; %bb.390:
	s_cmp_lt_i32 s10, 9
	s_cbranch_scc1 .LBB23_396
; %bb.391:
	s_cmp_gt_i32 s10, 9
	s_cbranch_scc0 .LBB23_393
; %bb.392:
	v_cvt_f32_f16_e32 v3, v2
	v_mov_b32_e32 v5, 0
	v_mov_b32_e32 v6, v5
	s_mov_b64 s[8:9], 0
	v_cvt_f64_f32_e32 v[3:4], v3
	global_store_dwordx4 v[0:1], v[3:6], off
.LBB23_393:
	s_andn2_b64 vcc, exec, s[8:9]
	s_cbranch_vccnz .LBB23_395
; %bb.394:
	v_cvt_f32_f16_e32 v3, v2
	v_mov_b32_e32 v4, 0
	global_store_dwordx2 v[0:1], v[3:4], off
.LBB23_395:
	s_mov_b64 s[8:9], 0
.LBB23_396:
	s_andn2_b64 vcc, exec, s[8:9]
	s_cbranch_vccnz .LBB23_398
; %bb.397:
	v_and_b32_e32 v3, 0xffff, v2
	global_store_dword v[0:1], v3, off
.LBB23_398:
	s_mov_b64 s[8:9], 0
.LBB23_399:
	s_andn2_b64 vcc, exec, s[8:9]
	s_cbranch_vccnz .LBB23_408
; %bb.400:
	s_cmp_lt_i32 s10, 6
	s_mov_b64 s[8:9], -1
	s_cbranch_scc1 .LBB23_406
; %bb.401:
	s_cmp_gt_i32 s10, 6
	s_cbranch_scc0 .LBB23_403
; %bb.402:
	v_cvt_f32_f16_e32 v3, v2
	s_mov_b64 s[8:9], 0
	v_cvt_f64_f32_e32 v[3:4], v3
	global_store_dwordx2 v[0:1], v[3:4], off
.LBB23_403:
	s_andn2_b64 vcc, exec, s[8:9]
	s_cbranch_vccnz .LBB23_405
; %bb.404:
	v_cvt_f32_f16_e32 v3, v2
	global_store_dword v[0:1], v3, off
.LBB23_405:
	s_mov_b64 s[8:9], 0
.LBB23_406:
	s_andn2_b64 vcc, exec, s[8:9]
	s_cbranch_vccnz .LBB23_408
; %bb.407:
	global_store_short v[0:1], v2, off
.LBB23_408:
	s_mov_b64 s[8:9], 0
.LBB23_409:
	s_andn2_b64 vcc, exec, s[8:9]
	s_cbranch_vccnz .LBB23_425
; %bb.410:
	s_cmp_lt_i32 s10, 2
	s_mov_b64 s[8:9], -1
	s_cbranch_scc1 .LBB23_420
; %bb.411:
	s_cmp_lt_i32 s10, 3
	s_cbranch_scc1 .LBB23_417
; %bb.412:
	s_cmp_gt_i32 s10, 3
	s_cbranch_scc0 .LBB23_414
; %bb.413:
	v_cvt_f32_f16_e32 v3, v2
	s_mov_b64 s[8:9], 0
	v_cvt_i32_f32_e32 v3, v3
	v_ashrrev_i32_e32 v4, 31, v3
	global_store_dwordx2 v[0:1], v[3:4], off
.LBB23_414:
	s_andn2_b64 vcc, exec, s[8:9]
	s_cbranch_vccnz .LBB23_416
; %bb.415:
	v_cvt_f32_f16_e32 v3, v2
	v_cvt_i32_f32_e32 v3, v3
	global_store_dword v[0:1], v3, off
.LBB23_416:
	s_mov_b64 s[8:9], 0
.LBB23_417:
	s_andn2_b64 vcc, exec, s[8:9]
	s_cbranch_vccnz .LBB23_419
; %bb.418:
	v_cvt_i16_f16_e32 v3, v2
	global_store_short v[0:1], v3, off
.LBB23_419:
	s_mov_b64 s[8:9], 0
.LBB23_420:
	s_andn2_b64 vcc, exec, s[8:9]
	s_cbranch_vccnz .LBB23_425
; %bb.421:
	s_cmp_gt_i32 s10, 0
	s_mov_b64 s[8:9], -1
	s_cbranch_scc0 .LBB23_423
; %bb.422:
	v_cvt_i16_f16_e32 v3, v2
	s_mov_b64 s[8:9], 0
	global_store_byte v[0:1], v3, off
.LBB23_423:
	s_andn2_b64 vcc, exec, s[8:9]
	s_cbranch_vccnz .LBB23_425
; %bb.424:
	v_cvt_f32_f16_e32 v2, v2
	v_cvt_i32_f32_e32 v2, v2
	global_store_byte v[0:1], v2, off
.LBB23_425:
	s_mov_b64 s[8:9], -1
.LBB23_426:
	s_andn2_b64 vcc, exec, s[8:9]
	s_cbranch_vccnz .LBB23_428
; %bb.427:
	v_add_u32_e32 v8, 0x80, v8
	s_mov_b64 s[8:9], -1
	s_branch .LBB23_541
.LBB23_428:
	s_mov_b64 s[8:9], 0
	s_branch .LBB23_540
.LBB23_429:
	s_mov_b64 s[2:3], -1
                                        ; implicit-def: $vgpr3
.LBB23_430:
	s_mov_b64 s[8:9], 0
.LBB23_431:
	s_and_b64 vcc, exec, s[8:9]
	s_cbranch_vccz .LBB23_435
; %bb.432:
	s_cmp_eq_u32 s12, 29
	s_cbranch_scc0 .LBB23_434
; %bb.433:
	global_load_dwordx2 v[3:4], v[1:2], off
	s_mov_b64 s[0:1], -1
	s_mov_b64 s[2:3], 0
	s_mov_b64 s[8:9], 0
	s_waitcnt vmcnt(0)
	v_ffbh_u32_e32 v5, v4
	v_min_u32_e32 v5, 32, v5
	v_lshlrev_b64 v[3:4], v5, v[3:4]
	v_min_u32_e32 v3, 1, v3
	v_or_b32_e32 v3, v4, v3
	v_cvt_f32_u32_e32 v3, v3
	v_sub_u32_e32 v4, 32, v5
	v_ldexp_f32 v3, v3, v4
	v_cvt_f16_f32_e32 v3, v3
	s_branch .LBB23_436
.LBB23_434:
	s_mov_b64 s[2:3], -1
                                        ; implicit-def: $vgpr3
.LBB23_435:
	s_mov_b64 s[8:9], 0
.LBB23_436:
	s_and_b64 vcc, exec, s[8:9]
	s_cbranch_vccz .LBB23_454
; %bb.437:
	s_cmp_lt_i32 s12, 27
	s_cbranch_scc1 .LBB23_440
; %bb.438:
	s_cmp_gt_i32 s12, 27
	s_cbranch_scc0 .LBB23_441
; %bb.439:
	global_load_dword v3, v[1:2], off
	s_mov_b64 s[0:1], 0
	s_waitcnt vmcnt(0)
	v_cvt_f32_u32_e32 v3, v3
	v_cvt_f16_f32_e32 v3, v3
	s_branch .LBB23_442
.LBB23_440:
	s_mov_b64 s[0:1], -1
                                        ; implicit-def: $vgpr3
	s_branch .LBB23_445
.LBB23_441:
	s_mov_b64 s[0:1], -1
                                        ; implicit-def: $vgpr3
.LBB23_442:
	s_andn2_b64 vcc, exec, s[0:1]
	s_cbranch_vccnz .LBB23_444
; %bb.443:
	global_load_ushort v3, v[1:2], off
	s_waitcnt vmcnt(0)
	v_cvt_f16_u16_e32 v3, v3
.LBB23_444:
	s_mov_b64 s[0:1], 0
.LBB23_445:
	s_andn2_b64 vcc, exec, s[0:1]
	s_cbranch_vccnz .LBB23_453
; %bb.446:
	global_load_ubyte v4, v[1:2], off
	s_movk_i32 s0, 0x7f
	s_waitcnt vmcnt(0)
	v_cmp_lt_i16_e32 vcc, s0, v4
	s_mov_b64 s[0:1], 0
	s_and_saveexec_b64 s[8:9], vcc
	s_xor_b64 s[8:9], exec, s[8:9]
	s_cbranch_execz .LBB23_467
; %bb.447:
	s_movk_i32 s0, 0x80
	v_cmp_eq_u16_e32 vcc, s0, v4
	s_mov_b64 s[0:1], -1
	s_and_saveexec_b64 s[10:11], vcc
; %bb.448:
	s_xor_b64 s[0:1], exec, -1
; %bb.449:
	s_or_b64 exec, exec, s[10:11]
	s_and_b64 s[0:1], s[0:1], exec
	s_or_saveexec_b64 s[8:9], s[8:9]
	v_mov_b32_e32 v3, 0x7e00
	s_xor_b64 exec, exec, s[8:9]
	s_cbranch_execnz .LBB23_468
.LBB23_450:
	s_or_b64 exec, exec, s[8:9]
	s_and_saveexec_b64 s[8:9], s[0:1]
	s_cbranch_execz .LBB23_452
.LBB23_451:
	v_lshlrev_b32_e32 v3, 24, v4
	v_and_b32_e32 v4, 0xffff, v4
	v_and_b32_e32 v5, 7, v4
	v_ffbh_u32_e32 v7, v5
	v_min_u32_e32 v7, 32, v7
	v_subrev_u32_e32 v9, 28, v7
	v_bfe_u32 v6, v4, 3, 4
	v_lshlrev_b32_e32 v4, v9, v4
	v_sub_u32_e32 v7, 29, v7
	v_and_b32_e32 v4, 7, v4
	v_cmp_eq_u32_e32 vcc, 0, v6
	v_cndmask_b32_e32 v6, v6, v7, vcc
	v_cndmask_b32_e32 v4, v5, v4, vcc
	v_mov_b32_e32 v5, 0x3b800000
	v_lshlrev_b32_e32 v4, 20, v4
	v_and_b32_e32 v3, 0x80000000, v3
	v_lshl_add_u32 v5, v6, 23, v5
	v_or3_b32 v3, v3, v5, v4
	v_cvt_f16_f32_e32 v3, v3
.LBB23_452:
	s_or_b64 exec, exec, s[8:9]
.LBB23_453:
	s_mov_b64 s[0:1], -1
.LBB23_454:
	s_mov_b64 s[8:9], 0
.LBB23_455:
	s_and_b64 vcc, exec, s[8:9]
	s_cbranch_vccz .LBB23_490
; %bb.456:
	s_cmp_gt_i32 s12, 22
	s_cbranch_scc0 .LBB23_466
; %bb.457:
	s_cmp_lt_i32 s12, 24
	s_cbranch_scc1 .LBB23_469
; %bb.458:
	s_cmp_gt_i32 s12, 24
	s_cbranch_scc0 .LBB23_470
; %bb.459:
	global_load_ubyte v4, v[1:2], off
	s_movk_i32 s0, 0x7f
	s_waitcnt vmcnt(0)
	v_cmp_lt_i16_e32 vcc, s0, v4
	s_mov_b64 s[0:1], 0
	s_and_saveexec_b64 s[8:9], vcc
	s_xor_b64 s[8:9], exec, s[8:9]
	s_cbranch_execz .LBB23_482
; %bb.460:
	s_movk_i32 s0, 0x80
	v_cmp_eq_u16_e32 vcc, s0, v4
	s_mov_b64 s[0:1], -1
	s_and_saveexec_b64 s[10:11], vcc
; %bb.461:
	s_xor_b64 s[0:1], exec, -1
; %bb.462:
	s_or_b64 exec, exec, s[10:11]
	s_and_b64 s[0:1], s[0:1], exec
	s_or_saveexec_b64 s[8:9], s[8:9]
	v_mov_b32_e32 v3, 0x7e00
	s_xor_b64 exec, exec, s[8:9]
	s_cbranch_execnz .LBB23_483
.LBB23_463:
	s_or_b64 exec, exec, s[8:9]
	s_and_saveexec_b64 s[8:9], s[0:1]
	s_cbranch_execz .LBB23_465
.LBB23_464:
	v_lshlrev_b32_e32 v3, 24, v4
	v_and_b32_e32 v4, 0xffff, v4
	v_and_b32_e32 v5, 3, v4
	v_ffbh_u32_e32 v7, v5
	v_min_u32_e32 v7, 32, v7
	v_subrev_u32_e32 v9, 29, v7
	v_bfe_u32 v6, v4, 2, 5
	v_lshlrev_b32_e32 v4, v9, v4
	v_sub_u32_e32 v7, 30, v7
	v_and_b32_e32 v4, 3, v4
	v_cmp_eq_u32_e32 vcc, 0, v6
	v_cndmask_b32_e32 v6, v6, v7, vcc
	v_cndmask_b32_e32 v4, v5, v4, vcc
	v_mov_b32_e32 v5, 0x37800000
	v_lshlrev_b32_e32 v4, 21, v4
	v_and_b32_e32 v3, 0x80000000, v3
	v_lshl_add_u32 v5, v6, 23, v5
	v_or3_b32 v3, v3, v5, v4
	v_cvt_f16_f32_e32 v3, v3
.LBB23_465:
	s_or_b64 exec, exec, s[8:9]
	s_mov_b64 s[0:1], 0
	s_branch .LBB23_471
.LBB23_466:
	s_mov_b64 s[8:9], -1
                                        ; implicit-def: $vgpr3
	s_branch .LBB23_477
.LBB23_467:
	s_or_saveexec_b64 s[8:9], s[8:9]
	v_mov_b32_e32 v3, 0x7e00
	s_xor_b64 exec, exec, s[8:9]
	s_cbranch_execz .LBB23_450
.LBB23_468:
	v_cmp_ne_u16_e32 vcc, 0, v4
	s_andn2_b64 s[0:1], s[0:1], exec
	s_and_b64 s[10:11], vcc, exec
	s_or_b64 s[0:1], s[0:1], s[10:11]
	v_mov_b32_e32 v3, v4
	s_or_b64 exec, exec, s[8:9]
	s_and_saveexec_b64 s[8:9], s[0:1]
	s_cbranch_execnz .LBB23_451
	s_branch .LBB23_452
.LBB23_469:
	s_mov_b64 s[0:1], -1
                                        ; implicit-def: $vgpr3
	s_branch .LBB23_474
.LBB23_470:
	s_mov_b64 s[0:1], -1
                                        ; implicit-def: $vgpr3
.LBB23_471:
	s_and_b64 vcc, exec, s[0:1]
	s_cbranch_vccz .LBB23_473
; %bb.472:
	global_load_ubyte v3, v[1:2], off
	s_mov_b32 s0, 0x7f800000
	s_waitcnt vmcnt(0)
	v_lshlrev_b32_e32 v3, 24, v3
	v_and_b32_e32 v4, 0x7f000000, v3
	v_ffbh_u32_e32 v5, v4
	v_min_u32_e32 v5, 32, v5
	v_sub_u32_e64 v5, v5, 4 clamp
	v_lshlrev_b32_e32 v7, v5, v4
	v_lshlrev_b32_e32 v5, 23, v5
	v_lshrrev_b32_e32 v7, 4, v7
	v_add_u32_e32 v6, 0x1000000, v4
	v_sub_u32_e32 v5, v7, v5
	v_ashrrev_i32_e32 v6, 8, v6
	v_add_u32_e32 v5, 0x3c000000, v5
	v_and_or_b32 v5, v6, s0, v5
	v_cmp_ne_u32_e32 vcc, 0, v4
	v_cndmask_b32_e32 v4, 0, v5, vcc
	s_brev_b32 s0, 1
	v_and_or_b32 v3, v3, s0, v4
	v_cvt_f16_f32_e32 v3, v3
.LBB23_473:
	s_mov_b64 s[0:1], 0
.LBB23_474:
	s_andn2_b64 vcc, exec, s[0:1]
	s_cbranch_vccnz .LBB23_476
; %bb.475:
	global_load_ubyte v3, v[1:2], off
	s_movk_i32 s0, 0x7f00
	s_brev_b32 s1, 16
	s_waitcnt vmcnt(0)
	v_lshlrev_b16_e32 v4, 8, v3
	v_lshlrev_b32_e32 v3, 25, v3
	v_lshrrev_b32_e32 v5, 4, v3
	v_and_or_b32 v6, v4, s0, 0.5
	v_or_b32_e32 v5, 0x70000000, v5
	v_add_f32_e32 v6, -0.5, v6
	v_mul_f32_e32 v5, 0x7800000, v5
	v_cmp_gt_u32_e32 vcc, s1, v3
	v_bfe_i32 v4, v4, 0, 16
	v_cndmask_b32_e32 v3, v5, v6, vcc
	s_brev_b32 s0, 1
	v_and_or_b32 v3, v4, s0, v3
	v_cvt_f16_f32_e32 v3, v3
.LBB23_476:
	s_mov_b64 s[8:9], 0
	s_mov_b64 s[0:1], -1
.LBB23_477:
	s_andn2_b64 vcc, exec, s[8:9]
	s_cbranch_vccnz .LBB23_490
; %bb.478:
	s_cmp_gt_i32 s12, 14
	s_cbranch_scc0 .LBB23_481
; %bb.479:
	s_cmp_eq_u32 s12, 15
	s_cbranch_scc0 .LBB23_484
; %bb.480:
	global_load_ushort v3, v[1:2], off
	s_mov_b64 s[0:1], -1
	s_mov_b64 s[2:3], 0
	s_waitcnt vmcnt(0)
	v_lshlrev_b32_e32 v3, 16, v3
	v_cvt_f16_f32_e32 v3, v3
	s_branch .LBB23_485
.LBB23_481:
	s_mov_b64 s[8:9], -1
                                        ; implicit-def: $vgpr3
	s_branch .LBB23_486
.LBB23_482:
	s_or_saveexec_b64 s[8:9], s[8:9]
	v_mov_b32_e32 v3, 0x7e00
	s_xor_b64 exec, exec, s[8:9]
	s_cbranch_execz .LBB23_463
.LBB23_483:
	v_cmp_ne_u16_e32 vcc, 0, v4
	s_andn2_b64 s[0:1], s[0:1], exec
	s_and_b64 s[10:11], vcc, exec
	s_or_b64 s[0:1], s[0:1], s[10:11]
	v_mov_b32_e32 v3, v4
	s_or_b64 exec, exec, s[8:9]
	s_and_saveexec_b64 s[8:9], s[0:1]
	s_cbranch_execnz .LBB23_464
	s_branch .LBB23_465
.LBB23_484:
	s_mov_b64 s[2:3], -1
                                        ; implicit-def: $vgpr3
.LBB23_485:
	s_mov_b64 s[8:9], 0
.LBB23_486:
	s_and_b64 vcc, exec, s[8:9]
	s_cbranch_vccz .LBB23_490
; %bb.487:
	s_cmp_eq_u32 s12, 11
	s_cbranch_scc0 .LBB23_489
; %bb.488:
	global_load_ubyte v3, v[1:2], off
	v_mov_b32_e32 v4, 0x3c00
	s_mov_b64 s[0:1], -1
	s_mov_b64 s[2:3], 0
	s_waitcnt vmcnt(0)
	v_cmp_ne_u16_e32 vcc, 0, v3
	v_cndmask_b32_e32 v3, 0, v4, vcc
	s_branch .LBB23_490
.LBB23_489:
	s_mov_b64 s[2:3], -1
                                        ; implicit-def: $vgpr3
.LBB23_490:
	s_branch .LBB23_293
.LBB23_491:
	s_cmp_lt_i32 s12, 5
	s_cbranch_scc1 .LBB23_496
; %bb.492:
	s_cmp_lt_i32 s12, 8
	s_cbranch_scc1 .LBB23_497
; %bb.493:
	s_cmp_lt_i32 s12, 9
	s_cbranch_scc1 .LBB23_498
; %bb.494:
	s_cmp_gt_i32 s12, 9
	s_cbranch_scc0 .LBB23_499
; %bb.495:
	global_load_dwordx2 v[3:4], v[1:2], off
	s_movk_i32 s0, 0x1ff
	s_movk_i32 s1, 0xffe
	v_mov_b32_e32 v5, 0x7c00
	v_mov_b32_e32 v6, 0x7e00
	s_movk_i32 s8, 0x40f
	s_mov_b32 s9, 0x8000
	s_waitcnt vmcnt(0)
	v_and_or_b32 v3, v4, s0, v3
	v_cmp_ne_u32_e32 vcc, 0, v3
	v_lshrrev_b32_e32 v7, 8, v4
	v_bfe_u32 v9, v4, 20, 11
	v_cndmask_b32_e64 v3, 0, 1, vcc
	v_sub_u32_e32 v10, 0x3f1, v9
	v_and_or_b32 v3, v7, s1, v3
	v_add_u32_e32 v9, 0xfffffc10, v9
	v_med3_i32 v7, v10, 0, 13
	v_or_b32_e32 v10, 0x1000, v3
	v_cmp_ne_u32_e32 vcc, 0, v3
	v_lshl_or_b32 v11, v9, 12, v3
	v_cndmask_b32_e32 v3, v5, v6, vcc
	v_lshrrev_b32_e32 v6, v7, v10
	v_lshlrev_b32_e32 v7, v7, v6
	v_cmp_ne_u32_e32 vcc, v7, v10
	v_cndmask_b32_e64 v7, 0, 1, vcc
	v_or_b32_e32 v6, v6, v7
	v_cmp_gt_i32_e32 vcc, 1, v9
	v_cndmask_b32_e32 v6, v11, v6, vcc
	v_and_b32_e32 v7, 7, v6
	v_cmp_lt_i32_e32 vcc, 5, v7
	v_cndmask_b32_e64 v10, 0, 1, vcc
	v_cmp_eq_u32_e32 vcc, 3, v7
	v_cndmask_b32_e64 v7, 0, 1, vcc
	v_lshrrev_b32_e32 v6, 2, v6
	v_or_b32_e32 v7, v7, v10
	v_add_u32_e32 v6, v6, v7
	v_cmp_gt_i32_e32 vcc, 31, v9
	v_cndmask_b32_e32 v5, v5, v6, vcc
	v_cmp_eq_u32_e32 vcc, s8, v9
	v_lshrrev_b32_e32 v4, 16, v4
	v_cndmask_b32_e32 v3, v5, v3, vcc
	v_and_or_b32 v3, v4, s9, v3
	s_mov_b64 s[0:1], 0
	s_branch .LBB23_500
.LBB23_496:
	s_mov_b64 s[0:1], -1
                                        ; implicit-def: $vgpr3
	s_branch .LBB23_518
.LBB23_497:
	s_mov_b64 s[0:1], -1
                                        ; implicit-def: $vgpr3
	s_branch .LBB23_506
.LBB23_498:
	s_mov_b64 s[0:1], -1
                                        ; implicit-def: $vgpr3
	s_branch .LBB23_503
.LBB23_499:
	s_mov_b64 s[0:1], -1
                                        ; implicit-def: $vgpr3
.LBB23_500:
	s_andn2_b64 vcc, exec, s[0:1]
	s_cbranch_vccnz .LBB23_502
; %bb.501:
	global_load_dword v3, v[1:2], off
	s_waitcnt vmcnt(0)
	v_cvt_f16_f32_e32 v3, v3
.LBB23_502:
	s_mov_b64 s[0:1], 0
.LBB23_503:
	s_andn2_b64 vcc, exec, s[0:1]
	s_cbranch_vccnz .LBB23_505
; %bb.504:
	global_load_dword v3, v[1:2], off
.LBB23_505:
	s_mov_b64 s[0:1], 0
.LBB23_506:
	s_andn2_b64 vcc, exec, s[0:1]
	s_cbranch_vccnz .LBB23_517
; %bb.507:
	s_cmp_lt_i32 s12, 6
	s_cbranch_scc1 .LBB23_510
; %bb.508:
	s_cmp_gt_i32 s12, 6
	s_cbranch_scc0 .LBB23_511
; %bb.509:
	global_load_dwordx2 v[3:4], v[1:2], off
	s_movk_i32 s0, 0x1ff
	s_movk_i32 s1, 0xffe
	v_mov_b32_e32 v5, 0x7c00
	v_mov_b32_e32 v6, 0x7e00
	s_movk_i32 s8, 0x40f
	s_mov_b32 s9, 0x8000
	s_waitcnt vmcnt(0)
	v_and_or_b32 v3, v4, s0, v3
	v_cmp_ne_u32_e32 vcc, 0, v3
	v_lshrrev_b32_e32 v7, 8, v4
	v_bfe_u32 v9, v4, 20, 11
	v_cndmask_b32_e64 v3, 0, 1, vcc
	v_sub_u32_e32 v10, 0x3f1, v9
	v_and_or_b32 v3, v7, s1, v3
	v_add_u32_e32 v9, 0xfffffc10, v9
	v_med3_i32 v7, v10, 0, 13
	v_or_b32_e32 v10, 0x1000, v3
	v_cmp_ne_u32_e32 vcc, 0, v3
	v_lshl_or_b32 v11, v9, 12, v3
	v_cndmask_b32_e32 v3, v5, v6, vcc
	v_lshrrev_b32_e32 v6, v7, v10
	v_lshlrev_b32_e32 v7, v7, v6
	v_cmp_ne_u32_e32 vcc, v7, v10
	v_cndmask_b32_e64 v7, 0, 1, vcc
	v_or_b32_e32 v6, v6, v7
	v_cmp_gt_i32_e32 vcc, 1, v9
	v_cndmask_b32_e32 v6, v11, v6, vcc
	v_and_b32_e32 v7, 7, v6
	v_cmp_lt_i32_e32 vcc, 5, v7
	v_cndmask_b32_e64 v10, 0, 1, vcc
	v_cmp_eq_u32_e32 vcc, 3, v7
	v_cndmask_b32_e64 v7, 0, 1, vcc
	v_lshrrev_b32_e32 v6, 2, v6
	v_or_b32_e32 v7, v7, v10
	v_add_u32_e32 v6, v6, v7
	v_cmp_gt_i32_e32 vcc, 31, v9
	v_cndmask_b32_e32 v5, v5, v6, vcc
	v_cmp_eq_u32_e32 vcc, s8, v9
	v_lshrrev_b32_e32 v4, 16, v4
	v_cndmask_b32_e32 v3, v5, v3, vcc
	v_and_or_b32 v3, v4, s9, v3
	s_mov_b64 s[0:1], 0
	s_branch .LBB23_512
.LBB23_510:
	s_mov_b64 s[0:1], -1
                                        ; implicit-def: $vgpr3
	s_branch .LBB23_515
.LBB23_511:
	s_mov_b64 s[0:1], -1
                                        ; implicit-def: $vgpr3
.LBB23_512:
	s_andn2_b64 vcc, exec, s[0:1]
	s_cbranch_vccnz .LBB23_514
; %bb.513:
	global_load_dword v3, v[1:2], off
	s_waitcnt vmcnt(0)
	v_cvt_f16_f32_e32 v3, v3
.LBB23_514:
	s_mov_b64 s[0:1], 0
.LBB23_515:
	s_andn2_b64 vcc, exec, s[0:1]
	s_cbranch_vccnz .LBB23_517
; %bb.516:
	global_load_ushort v3, v[1:2], off
.LBB23_517:
	s_mov_b64 s[0:1], 0
.LBB23_518:
	s_andn2_b64 vcc, exec, s[0:1]
	s_cbranch_vccnz .LBB23_538
; %bb.519:
	s_cmp_lt_i32 s12, 2
	s_cbranch_scc1 .LBB23_523
; %bb.520:
	s_cmp_lt_i32 s12, 3
	s_cbranch_scc1 .LBB23_524
; %bb.521:
	s_cmp_gt_i32 s12, 3
	s_cbranch_scc0 .LBB23_525
; %bb.522:
	global_load_dwordx2 v[3:4], v[1:2], off
	s_mov_b64 s[0:1], 0
	s_waitcnt vmcnt(0)
	v_xor_b32_e32 v6, v3, v4
	v_ffbh_i32_e32 v5, v4
	v_ashrrev_i32_e32 v6, 31, v6
	v_add_u32_e32 v5, -1, v5
	v_add_u32_e32 v6, 32, v6
	v_min_u32_e32 v5, v5, v6
	v_lshlrev_b64 v[3:4], v5, v[3:4]
	v_min_u32_e32 v3, 1, v3
	v_or_b32_e32 v3, v4, v3
	v_cvt_f32_i32_e32 v3, v3
	v_sub_u32_e32 v4, 32, v5
	v_ldexp_f32 v3, v3, v4
	v_cvt_f16_f32_e32 v3, v3
	s_branch .LBB23_526
.LBB23_523:
	s_mov_b64 s[0:1], -1
                                        ; implicit-def: $vgpr3
	s_branch .LBB23_532
.LBB23_524:
	s_mov_b64 s[0:1], -1
                                        ; implicit-def: $vgpr3
	s_branch .LBB23_529
.LBB23_525:
	s_mov_b64 s[0:1], -1
                                        ; implicit-def: $vgpr3
.LBB23_526:
	s_andn2_b64 vcc, exec, s[0:1]
	s_cbranch_vccnz .LBB23_528
; %bb.527:
	global_load_dword v3, v[1:2], off
	s_waitcnt vmcnt(0)
	v_cvt_f32_i32_e32 v3, v3
	v_cvt_f16_f32_e32 v3, v3
.LBB23_528:
	s_mov_b64 s[0:1], 0
.LBB23_529:
	s_andn2_b64 vcc, exec, s[0:1]
	s_cbranch_vccnz .LBB23_531
; %bb.530:
	global_load_ushort v3, v[1:2], off
	s_waitcnt vmcnt(0)
	v_cvt_f16_i16_e32 v3, v3
.LBB23_531:
	s_mov_b64 s[0:1], 0
.LBB23_532:
	s_andn2_b64 vcc, exec, s[0:1]
	s_cbranch_vccnz .LBB23_538
; %bb.533:
	s_cmp_gt_i32 s12, 0
	s_cbranch_scc0 .LBB23_535
; %bb.534:
	global_load_sbyte v3, v[1:2], off
	s_mov_b64 s[0:1], 0
	s_waitcnt vmcnt(0)
	v_cvt_f16_i16_e32 v3, v3
	s_branch .LBB23_536
.LBB23_535:
	s_mov_b64 s[0:1], -1
                                        ; implicit-def: $vgpr3
.LBB23_536:
	s_andn2_b64 vcc, exec, s[0:1]
	s_cbranch_vccnz .LBB23_538
; %bb.537:
	global_load_ubyte v1, v[1:2], off
	s_waitcnt vmcnt(0)
	v_cvt_f16_u16_e32 v3, v1
.LBB23_538:
	s_branch .LBB23_294
.LBB23_539:
	s_mov_b64 s[8:9], 0
	s_mov_b64 s[0:1], s[52:53]
.LBB23_540:
                                        ; implicit-def: $vgpr8
.LBB23_541:
	s_andn2_b64 s[10:11], s[52:53], exec
	s_and_b64 s[0:1], s[0:1], exec
	s_or_b64 s[60:61], s[10:11], s[0:1]
	s_andn2_b64 s[0:1], s[54:55], exec
	s_and_b64 s[2:3], s[2:3], exec
	s_or_b64 s[58:59], s[0:1], s[2:3]
	s_orn2_b64 s[0:1], s[8:9], exec
.LBB23_542:
	s_or_b64 exec, exec, s[62:63]
	s_mov_b64 s[2:3], 0
	s_mov_b64 s[8:9], 0
	;; [unrolled: 1-line block ×3, first 2 shown]
                                        ; implicit-def: $vgpr1_vgpr2
                                        ; implicit-def: $vgpr0
                                        ; implicit-def: $vgpr4
	s_and_saveexec_b64 s[62:63], s[0:1]
	s_cbranch_execz .LBB23_917
; %bb.543:
	v_cmp_gt_i32_e32 vcc, s70, v8
	s_mov_b64 s[2:3], -1
	s_mov_b64 s[66:67], s[58:59]
	s_mov_b64 s[68:69], s[60:61]
	s_and_saveexec_b64 s[64:65], vcc
	s_cbranch_execz .LBB23_817
; %bb.544:
	s_andn2_b64 vcc, exec, s[40:41]
	s_cbranch_vccnz .LBB23_549
; %bb.545:
	s_andn2_b64 vcc, exec, s[50:51]
	s_cbranch_vccnz .LBB23_550
; %bb.546:
	s_add_i32 s77, s76, 1
	s_cmp_eq_u32 s72, 2
	s_cbranch_scc1 .LBB23_551
; %bb.547:
	s_and_b32 s71, s77, 28
	v_mov_b32_e32 v2, 0
	s_mov_b32 s78, 0
	s_mov_b64 s[66:67], s[34:35]
	s_mov_b64 s[68:69], s[48:49]
	v_mov_b32_e32 v0, 0
	v_mov_b32_e32 v1, v8
.LBB23_548:                             ; =>This Inner Loop Header: Depth=1
	s_load_dwordx8 s[16:23], s[66:67], 0x4
	s_load_dwordx4 s[0:3], s[66:67], 0x24
	s_load_dwordx8 s[8:15], s[68:69], 0x0
	s_add_u32 s66, s66, 48
	s_addc_u32 s67, s67, 0
	s_waitcnt vmcnt(0) lgkmcnt(0)
	v_mul_hi_u32 v3, s17, v1
	s_add_i32 s78, s78, 4
	s_add_u32 s68, s68, 32
	s_addc_u32 s69, s69, 0
	v_add_u32_e32 v3, v1, v3
	v_lshrrev_b32_e32 v3, s18, v3
	v_mul_lo_u32 v4, v3, s16
	v_mul_hi_u32 v5, s20, v3
	s_cmp_eq_u32 s71, s78
	v_sub_u32_e32 v1, v1, v4
	v_add_u32_e32 v4, v3, v5
	v_mul_lo_u32 v5, v1, s8
	v_mul_lo_u32 v6, v1, s9
	v_lshrrev_b32_e32 v1, s21, v4
	v_mul_lo_u32 v4, v1, s19
	v_mul_hi_u32 v7, s23, v1
	v_sub_u32_e32 v3, v3, v4
	v_add_u32_e32 v4, v1, v7
	v_lshrrev_b32_e32 v4, s0, v4
	v_mul_hi_u32 v9, s2, v4
	v_mul_lo_u32 v10, v4, s22
	v_mul_lo_u32 v7, v3, s10
	;; [unrolled: 1-line block ×3, first 2 shown]
	v_sub_u32_e32 v10, v1, v10
	v_add_u32_e32 v1, v4, v9
	v_lshrrev_b32_e32 v1, s3, v1
	v_mul_lo_u32 v9, v1, s1
	v_mul_lo_u32 v11, v10, s12
	v_mul_lo_u32 v10, v10, s13
	v_add3_u32 v0, v5, v0, v7
	v_sub_u32_e32 v4, v4, v9
	v_mul_lo_u32 v9, v4, s14
	v_mul_lo_u32 v4, v4, s15
	v_add3_u32 v2, v6, v2, v3
	v_add3_u32 v0, v11, v0, v9
	;; [unrolled: 1-line block ×3, first 2 shown]
	s_cbranch_scc0 .LBB23_548
	s_branch .LBB23_552
.LBB23_549:
	s_mov_b64 s[0:1], -1
                                        ; implicit-def: $vgpr0
                                        ; implicit-def: $vgpr2
	s_branch .LBB23_556
.LBB23_550:
	v_mov_b32_e32 v0, 0
	v_mov_b32_e32 v2, 0
	s_branch .LBB23_555
.LBB23_551:
	s_mov_b32 s71, 0
	v_mov_b32_e32 v0, 0
	v_mov_b32_e32 v2, 0
	;; [unrolled: 1-line block ×3, first 2 shown]
.LBB23_552:
	s_and_b32 s8, s77, 3
	s_cmp_eq_u32 s8, 0
	s_cbranch_scc1 .LBB23_555
; %bb.553:
	s_lshl_b32 s0, s71, 3
	s_add_u32 s0, s34, s0
	s_addc_u32 s1, s35, 0
	s_add_u32 s0, s0, 0xc4
	s_addc_u32 s1, s1, 0
	s_mul_i32 s2, s71, 12
	s_add_u32 s2, s34, s2
	s_addc_u32 s3, s35, 0
.LBB23_554:                             ; =>This Inner Loop Header: Depth=1
	s_load_dwordx2 s[10:11], s[2:3], 0x4
	s_load_dword s9, s[2:3], 0xc
	s_load_dwordx2 s[12:13], s[0:1], 0x0
	s_add_u32 s2, s2, 12
	s_addc_u32 s3, s3, 0
	s_waitcnt vmcnt(0) lgkmcnt(0)
	v_mul_hi_u32 v3, s11, v1
	s_add_u32 s0, s0, 8
	s_addc_u32 s1, s1, 0
	s_add_i32 s8, s8, -1
	v_add_u32_e32 v3, v1, v3
	v_lshrrev_b32_e32 v4, s9, v3
	v_mul_lo_u32 v3, v4, s10
	s_cmp_lg_u32 s8, 0
	v_sub_u32_e32 v3, v1, v3
	v_mad_u64_u32 v[0:1], s[10:11], v3, s12, v[0:1]
	v_mad_u64_u32 v[2:3], s[10:11], v3, s13, v[2:3]
	v_mov_b32_e32 v1, v4
	s_cbranch_scc1 .LBB23_554
.LBB23_555:
	s_mov_b64 s[0:1], 0
.LBB23_556:
	s_andn2_b64 vcc, exec, s[0:1]
	s_cbranch_vccnz .LBB23_559
; %bb.557:
	v_mul_hi_u32 v0, s29, v8
	s_andn2_b64 vcc, exec, s[46:47]
	v_add_u32_e32 v0, v8, v0
	v_lshrrev_b32_e32 v1, s30, v0
	v_mul_lo_u32 v0, v1, s28
	v_sub_u32_e32 v2, v8, v0
	v_mul_lo_u32 v0, v2, s36
	v_mul_lo_u32 v2, v2, s37
	s_cbranch_vccnz .LBB23_559
; %bb.558:
	s_waitcnt vmcnt(0)
	v_mul_hi_u32 v3, s44, v1
	v_add_u32_e32 v3, v1, v3
	v_lshrrev_b32_e32 v3, s45, v3
	v_mul_lo_u32 v3, v3, s31
	v_sub_u32_e32 v3, v1, v3
	v_mad_u64_u32 v[0:1], s[0:1], v3, s38, v[0:1]
	v_mad_u64_u32 v[2:3], s[0:1], v3, s39, v[2:3]
.LBB23_559:
	s_waitcnt vmcnt(0)
	v_mov_b32_e32 v3, s27
	s_and_b32 s12, 0xffff, s75
	v_add_co_u32_e32 v1, vcc, s26, v2
	s_cmp_lt_i32 s12, 11
	v_addc_co_u32_e32 v2, vcc, 0, v3, vcc
	s_cbranch_scc1 .LBB23_566
; %bb.560:
	s_cmp_gt_i32 s12, 25
	s_cbranch_scc0 .LBB23_567
; %bb.561:
	s_cmp_gt_i32 s12, 28
	s_cbranch_scc0 .LBB23_568
	;; [unrolled: 3-line block ×4, first 2 shown]
; %bb.564:
	s_cmp_eq_u32 s12, 46
	s_mov_b64 s[8:9], 0
	s_cbranch_scc0 .LBB23_575
; %bb.565:
	global_load_dword v3, v[1:2], off
	s_mov_b64 s[0:1], -1
	s_mov_b64 s[2:3], 0
	s_waitcnt vmcnt(0)
	v_lshlrev_b32_e32 v3, 16, v3
	v_cvt_f16_f32_e32 v3, v3
	s_branch .LBB23_576
.LBB23_566:
	s_mov_b64 s[8:9], -1
	s_mov_b64 s[0:1], 0
                                        ; implicit-def: $vgpr3
	s_mov_b64 s[2:3], s[58:59]
	s_branch .LBB23_641
.LBB23_567:
	s_mov_b64 s[8:9], -1
	s_mov_b64 s[0:1], 0
	s_mov_b64 s[2:3], s[58:59]
                                        ; implicit-def: $vgpr3
	s_branch .LBB23_605
.LBB23_568:
	s_mov_b64 s[8:9], -1
	s_mov_b64 s[0:1], 0
	s_mov_b64 s[2:3], s[58:59]
                                        ; implicit-def: $vgpr3
	s_branch .LBB23_586
.LBB23_569:
	s_mov_b64 s[8:9], -1
	s_mov_b64 s[0:1], 0
	s_mov_b64 s[2:3], s[58:59]
                                        ; implicit-def: $vgpr3
	s_branch .LBB23_581
.LBB23_570:
	s_andn2_saveexec_b64 s[12:13], s[12:13]
	s_cbranch_execz .LBB23_339
.LBB23_571:
	s_mov_b32 s16, 0x46000000
	v_add_f32_e64 v4, |v3|, s16
	v_and_b32_e32 v4, 0xff, v4
	v_cmp_ne_u32_e32 vcc, 0, v4
	s_andn2_b64 s[10:11], s[10:11], exec
	s_and_b64 s[16:17], vcc, exec
	s_or_b64 s[10:11], s[10:11], s[16:17]
	s_or_b64 exec, exec, s[12:13]
	v_mov_b32_e32 v5, 0
	s_and_saveexec_b64 s[12:13], s[10:11]
	s_cbranch_execnz .LBB23_340
	s_branch .LBB23_341
.LBB23_572:
	s_mov_b64 s[8:9], -1
	s_mov_b64 s[0:1], 0
	s_mov_b64 s[2:3], s[58:59]
                                        ; implicit-def: $vgpr3
	s_branch .LBB23_576
.LBB23_573:
	s_andn2_saveexec_b64 s[12:13], s[12:13]
	s_cbranch_execz .LBB23_352
.LBB23_574:
	s_mov_b32 s16, 0x42800000
	v_add_f32_e64 v4, |v3|, s16
	v_and_b32_e32 v4, 0xff, v4
	v_cmp_ne_u32_e32 vcc, 0, v4
	s_andn2_b64 s[10:11], s[10:11], exec
	s_and_b64 s[16:17], vcc, exec
	s_or_b64 s[10:11], s[10:11], s[16:17]
	s_or_b64 exec, exec, s[12:13]
	v_mov_b32_e32 v5, 0
	s_and_saveexec_b64 s[12:13], s[10:11]
	s_cbranch_execnz .LBB23_353
	s_branch .LBB23_354
.LBB23_575:
	s_mov_b64 s[2:3], -1
                                        ; implicit-def: $vgpr3
	s_mov_b64 s[0:1], 0
.LBB23_576:
	s_and_b64 vcc, exec, s[8:9]
	s_cbranch_vccz .LBB23_580
; %bb.577:
	s_cmp_eq_u32 s12, 44
	s_cbranch_scc0 .LBB23_579
; %bb.578:
	global_load_ubyte v3, v[1:2], off
	s_movk_i32 s2, 0xff
	v_mov_b32_e32 v5, 0x7e00
	s_mov_b64 s[0:1], -1
	s_waitcnt vmcnt(0)
	v_lshlrev_b32_e32 v4, 23, v3
	v_cvt_f16_f32_e32 v4, v4
	v_cmp_ne_u32_e32 vcc, s2, v3
	s_mov_b64 s[2:3], 0
	v_cndmask_b32_e32 v4, v5, v4, vcc
	v_cmp_ne_u32_e32 vcc, 0, v3
	v_cndmask_b32_e32 v3, 0, v4, vcc
	s_branch .LBB23_580
.LBB23_579:
	s_mov_b64 s[2:3], -1
                                        ; implicit-def: $vgpr3
.LBB23_580:
	s_mov_b64 s[8:9], 0
.LBB23_581:
	s_and_b64 vcc, exec, s[8:9]
	s_cbranch_vccz .LBB23_585
; %bb.582:
	s_cmp_eq_u32 s12, 29
	s_cbranch_scc0 .LBB23_584
; %bb.583:
	global_load_dwordx2 v[3:4], v[1:2], off
	s_mov_b64 s[0:1], -1
	s_mov_b64 s[2:3], 0
	s_mov_b64 s[8:9], 0
	s_waitcnt vmcnt(0)
	v_ffbh_u32_e32 v5, v4
	v_min_u32_e32 v5, 32, v5
	v_lshlrev_b64 v[3:4], v5, v[3:4]
	v_min_u32_e32 v3, 1, v3
	v_or_b32_e32 v3, v4, v3
	v_cvt_f32_u32_e32 v3, v3
	v_sub_u32_e32 v4, 32, v5
	v_ldexp_f32 v3, v3, v4
	v_cvt_f16_f32_e32 v3, v3
	s_branch .LBB23_586
.LBB23_584:
	s_mov_b64 s[2:3], -1
                                        ; implicit-def: $vgpr3
.LBB23_585:
	s_mov_b64 s[8:9], 0
.LBB23_586:
	s_and_b64 vcc, exec, s[8:9]
	s_cbranch_vccz .LBB23_604
; %bb.587:
	s_cmp_lt_i32 s12, 27
	s_cbranch_scc1 .LBB23_590
; %bb.588:
	s_cmp_gt_i32 s12, 27
	s_cbranch_scc0 .LBB23_591
; %bb.589:
	global_load_dword v3, v[1:2], off
	s_mov_b64 s[0:1], 0
	s_waitcnt vmcnt(0)
	v_cvt_f32_u32_e32 v3, v3
	v_cvt_f16_f32_e32 v3, v3
	s_branch .LBB23_592
.LBB23_590:
	s_mov_b64 s[0:1], -1
                                        ; implicit-def: $vgpr3
	s_branch .LBB23_595
.LBB23_591:
	s_mov_b64 s[0:1], -1
                                        ; implicit-def: $vgpr3
.LBB23_592:
	s_andn2_b64 vcc, exec, s[0:1]
	s_cbranch_vccnz .LBB23_594
; %bb.593:
	global_load_ushort v3, v[1:2], off
	s_waitcnt vmcnt(0)
	v_cvt_f16_u16_e32 v3, v3
.LBB23_594:
	s_mov_b64 s[0:1], 0
.LBB23_595:
	s_andn2_b64 vcc, exec, s[0:1]
	s_cbranch_vccnz .LBB23_603
; %bb.596:
	global_load_ubyte v4, v[1:2], off
	s_movk_i32 s0, 0x7f
	s_waitcnt vmcnt(0)
	v_cmp_lt_i16_e32 vcc, s0, v4
	s_mov_b64 s[0:1], 0
	s_and_saveexec_b64 s[8:9], vcc
	s_xor_b64 s[8:9], exec, s[8:9]
	s_cbranch_execz .LBB23_617
; %bb.597:
	s_movk_i32 s0, 0x80
	v_cmp_eq_u16_e32 vcc, s0, v4
	s_mov_b64 s[0:1], -1
	s_and_saveexec_b64 s[10:11], vcc
; %bb.598:
	s_xor_b64 s[0:1], exec, -1
; %bb.599:
	s_or_b64 exec, exec, s[10:11]
	s_and_b64 s[0:1], s[0:1], exec
	s_or_saveexec_b64 s[8:9], s[8:9]
	v_mov_b32_e32 v3, 0x7e00
	s_xor_b64 exec, exec, s[8:9]
	s_cbranch_execnz .LBB23_618
.LBB23_600:
	s_or_b64 exec, exec, s[8:9]
	s_and_saveexec_b64 s[8:9], s[0:1]
	s_cbranch_execz .LBB23_602
.LBB23_601:
	v_lshlrev_b32_e32 v3, 24, v4
	v_and_b32_e32 v4, 0xffff, v4
	v_and_b32_e32 v5, 7, v4
	v_ffbh_u32_e32 v7, v5
	v_min_u32_e32 v7, 32, v7
	v_subrev_u32_e32 v9, 28, v7
	v_bfe_u32 v6, v4, 3, 4
	v_lshlrev_b32_e32 v4, v9, v4
	v_sub_u32_e32 v7, 29, v7
	v_and_b32_e32 v4, 7, v4
	v_cmp_eq_u32_e32 vcc, 0, v6
	v_cndmask_b32_e32 v6, v6, v7, vcc
	v_cndmask_b32_e32 v4, v5, v4, vcc
	v_mov_b32_e32 v5, 0x3b800000
	v_lshlrev_b32_e32 v4, 20, v4
	v_and_b32_e32 v3, 0x80000000, v3
	v_lshl_add_u32 v5, v6, 23, v5
	v_or3_b32 v3, v3, v5, v4
	v_cvt_f16_f32_e32 v3, v3
.LBB23_602:
	s_or_b64 exec, exec, s[8:9]
.LBB23_603:
	s_mov_b64 s[0:1], -1
.LBB23_604:
	s_mov_b64 s[8:9], 0
.LBB23_605:
	s_and_b64 vcc, exec, s[8:9]
	s_cbranch_vccz .LBB23_640
; %bb.606:
	s_cmp_gt_i32 s12, 22
	s_cbranch_scc0 .LBB23_616
; %bb.607:
	s_cmp_lt_i32 s12, 24
	s_cbranch_scc1 .LBB23_619
; %bb.608:
	s_cmp_gt_i32 s12, 24
	s_cbranch_scc0 .LBB23_620
; %bb.609:
	global_load_ubyte v4, v[1:2], off
	s_movk_i32 s0, 0x7f
	s_waitcnt vmcnt(0)
	v_cmp_lt_i16_e32 vcc, s0, v4
	s_mov_b64 s[0:1], 0
	s_and_saveexec_b64 s[8:9], vcc
	s_xor_b64 s[8:9], exec, s[8:9]
	s_cbranch_execz .LBB23_632
; %bb.610:
	s_movk_i32 s0, 0x80
	v_cmp_eq_u16_e32 vcc, s0, v4
	s_mov_b64 s[0:1], -1
	s_and_saveexec_b64 s[10:11], vcc
; %bb.611:
	s_xor_b64 s[0:1], exec, -1
; %bb.612:
	s_or_b64 exec, exec, s[10:11]
	s_and_b64 s[0:1], s[0:1], exec
	s_or_saveexec_b64 s[8:9], s[8:9]
	v_mov_b32_e32 v3, 0x7e00
	s_xor_b64 exec, exec, s[8:9]
	s_cbranch_execnz .LBB23_633
.LBB23_613:
	s_or_b64 exec, exec, s[8:9]
	s_and_saveexec_b64 s[8:9], s[0:1]
	s_cbranch_execz .LBB23_615
.LBB23_614:
	v_lshlrev_b32_e32 v3, 24, v4
	v_and_b32_e32 v4, 0xffff, v4
	v_and_b32_e32 v5, 3, v4
	v_ffbh_u32_e32 v7, v5
	v_min_u32_e32 v7, 32, v7
	v_subrev_u32_e32 v9, 29, v7
	v_bfe_u32 v6, v4, 2, 5
	v_lshlrev_b32_e32 v4, v9, v4
	v_sub_u32_e32 v7, 30, v7
	v_and_b32_e32 v4, 3, v4
	v_cmp_eq_u32_e32 vcc, 0, v6
	v_cndmask_b32_e32 v6, v6, v7, vcc
	v_cndmask_b32_e32 v4, v5, v4, vcc
	v_mov_b32_e32 v5, 0x37800000
	v_lshlrev_b32_e32 v4, 21, v4
	v_and_b32_e32 v3, 0x80000000, v3
	v_lshl_add_u32 v5, v6, 23, v5
	v_or3_b32 v3, v3, v5, v4
	v_cvt_f16_f32_e32 v3, v3
.LBB23_615:
	s_or_b64 exec, exec, s[8:9]
	s_mov_b64 s[0:1], 0
	s_branch .LBB23_621
.LBB23_616:
	s_mov_b64 s[8:9], -1
                                        ; implicit-def: $vgpr3
	s_branch .LBB23_627
.LBB23_617:
	s_or_saveexec_b64 s[8:9], s[8:9]
	v_mov_b32_e32 v3, 0x7e00
	s_xor_b64 exec, exec, s[8:9]
	s_cbranch_execz .LBB23_600
.LBB23_618:
	v_cmp_ne_u16_e32 vcc, 0, v4
	s_andn2_b64 s[0:1], s[0:1], exec
	s_and_b64 s[10:11], vcc, exec
	s_or_b64 s[0:1], s[0:1], s[10:11]
	v_mov_b32_e32 v3, v4
	s_or_b64 exec, exec, s[8:9]
	s_and_saveexec_b64 s[8:9], s[0:1]
	s_cbranch_execnz .LBB23_601
	s_branch .LBB23_602
.LBB23_619:
	s_mov_b64 s[0:1], -1
                                        ; implicit-def: $vgpr3
	s_branch .LBB23_624
.LBB23_620:
	s_mov_b64 s[0:1], -1
                                        ; implicit-def: $vgpr3
.LBB23_621:
	s_and_b64 vcc, exec, s[0:1]
	s_cbranch_vccz .LBB23_623
; %bb.622:
	global_load_ubyte v3, v[1:2], off
	s_mov_b32 s0, 0x7f800000
	s_waitcnt vmcnt(0)
	v_lshlrev_b32_e32 v3, 24, v3
	v_and_b32_e32 v4, 0x7f000000, v3
	v_ffbh_u32_e32 v5, v4
	v_min_u32_e32 v5, 32, v5
	v_sub_u32_e64 v5, v5, 4 clamp
	v_lshlrev_b32_e32 v7, v5, v4
	v_lshlrev_b32_e32 v5, 23, v5
	v_lshrrev_b32_e32 v7, 4, v7
	v_add_u32_e32 v6, 0x1000000, v4
	v_sub_u32_e32 v5, v7, v5
	v_ashrrev_i32_e32 v6, 8, v6
	v_add_u32_e32 v5, 0x3c000000, v5
	v_and_or_b32 v5, v6, s0, v5
	v_cmp_ne_u32_e32 vcc, 0, v4
	v_cndmask_b32_e32 v4, 0, v5, vcc
	s_brev_b32 s0, 1
	v_and_or_b32 v3, v3, s0, v4
	v_cvt_f16_f32_e32 v3, v3
.LBB23_623:
	s_mov_b64 s[0:1], 0
.LBB23_624:
	s_andn2_b64 vcc, exec, s[0:1]
	s_cbranch_vccnz .LBB23_626
; %bb.625:
	global_load_ubyte v3, v[1:2], off
	s_movk_i32 s0, 0x7f00
	s_brev_b32 s1, 16
	s_waitcnt vmcnt(0)
	v_lshlrev_b16_e32 v4, 8, v3
	v_lshlrev_b32_e32 v3, 25, v3
	v_lshrrev_b32_e32 v5, 4, v3
	v_and_or_b32 v6, v4, s0, 0.5
	v_or_b32_e32 v5, 0x70000000, v5
	v_add_f32_e32 v6, -0.5, v6
	v_mul_f32_e32 v5, 0x7800000, v5
	v_cmp_gt_u32_e32 vcc, s1, v3
	v_bfe_i32 v4, v4, 0, 16
	v_cndmask_b32_e32 v3, v5, v6, vcc
	s_brev_b32 s0, 1
	v_and_or_b32 v3, v4, s0, v3
	v_cvt_f16_f32_e32 v3, v3
.LBB23_626:
	s_mov_b64 s[8:9], 0
	s_mov_b64 s[0:1], -1
.LBB23_627:
	s_andn2_b64 vcc, exec, s[8:9]
	s_cbranch_vccnz .LBB23_640
; %bb.628:
	s_cmp_gt_i32 s12, 14
	s_cbranch_scc0 .LBB23_631
; %bb.629:
	s_cmp_eq_u32 s12, 15
	s_cbranch_scc0 .LBB23_634
; %bb.630:
	global_load_ushort v3, v[1:2], off
	s_mov_b64 s[0:1], -1
	s_mov_b64 s[2:3], 0
	s_waitcnt vmcnt(0)
	v_lshlrev_b32_e32 v3, 16, v3
	v_cvt_f16_f32_e32 v3, v3
	s_branch .LBB23_635
.LBB23_631:
	s_mov_b64 s[8:9], -1
                                        ; implicit-def: $vgpr3
	s_branch .LBB23_636
.LBB23_632:
	s_or_saveexec_b64 s[8:9], s[8:9]
	v_mov_b32_e32 v3, 0x7e00
	s_xor_b64 exec, exec, s[8:9]
	s_cbranch_execz .LBB23_613
.LBB23_633:
	v_cmp_ne_u16_e32 vcc, 0, v4
	s_andn2_b64 s[0:1], s[0:1], exec
	s_and_b64 s[10:11], vcc, exec
	s_or_b64 s[0:1], s[0:1], s[10:11]
	v_mov_b32_e32 v3, v4
	s_or_b64 exec, exec, s[8:9]
	s_and_saveexec_b64 s[8:9], s[0:1]
	s_cbranch_execnz .LBB23_614
	s_branch .LBB23_615
.LBB23_634:
	s_mov_b64 s[2:3], -1
                                        ; implicit-def: $vgpr3
.LBB23_635:
	s_mov_b64 s[8:9], 0
.LBB23_636:
	s_and_b64 vcc, exec, s[8:9]
	s_cbranch_vccz .LBB23_640
; %bb.637:
	s_cmp_eq_u32 s12, 11
	s_cbranch_scc0 .LBB23_639
; %bb.638:
	global_load_ubyte v3, v[1:2], off
	v_mov_b32_e32 v4, 0x3c00
	s_mov_b64 s[0:1], -1
	s_mov_b64 s[2:3], 0
	s_waitcnt vmcnt(0)
	v_cmp_ne_u16_e32 vcc, 0, v3
	v_cndmask_b32_e32 v3, 0, v4, vcc
	s_branch .LBB23_640
.LBB23_639:
	s_mov_b64 s[2:3], -1
                                        ; implicit-def: $vgpr3
.LBB23_640:
	s_mov_b64 s[8:9], 0
.LBB23_641:
	s_and_b64 vcc, exec, s[8:9]
	s_cbranch_vccz .LBB23_690
; %bb.642:
	s_cmp_lt_i32 s12, 5
	s_cbranch_scc1 .LBB23_647
; %bb.643:
	s_cmp_lt_i32 s12, 8
	s_cbranch_scc1 .LBB23_648
; %bb.644:
	s_cmp_lt_i32 s12, 9
	s_cbranch_scc1 .LBB23_649
; %bb.645:
	s_cmp_gt_i32 s12, 9
	s_cbranch_scc0 .LBB23_650
; %bb.646:
	global_load_dwordx2 v[3:4], v[1:2], off
	s_movk_i32 s0, 0x1ff
	s_movk_i32 s1, 0xffe
	v_mov_b32_e32 v5, 0x7c00
	v_mov_b32_e32 v6, 0x7e00
	s_movk_i32 s8, 0x40f
	s_mov_b32 s9, 0x8000
	s_waitcnt vmcnt(0)
	v_and_or_b32 v3, v4, s0, v3
	v_cmp_ne_u32_e32 vcc, 0, v3
	v_lshrrev_b32_e32 v7, 8, v4
	v_bfe_u32 v9, v4, 20, 11
	v_cndmask_b32_e64 v3, 0, 1, vcc
	v_sub_u32_e32 v10, 0x3f1, v9
	v_and_or_b32 v3, v7, s1, v3
	v_add_u32_e32 v9, 0xfffffc10, v9
	v_med3_i32 v7, v10, 0, 13
	v_or_b32_e32 v10, 0x1000, v3
	v_cmp_ne_u32_e32 vcc, 0, v3
	v_lshl_or_b32 v11, v9, 12, v3
	v_cndmask_b32_e32 v3, v5, v6, vcc
	v_lshrrev_b32_e32 v6, v7, v10
	v_lshlrev_b32_e32 v7, v7, v6
	v_cmp_ne_u32_e32 vcc, v7, v10
	v_cndmask_b32_e64 v7, 0, 1, vcc
	v_or_b32_e32 v6, v6, v7
	v_cmp_gt_i32_e32 vcc, 1, v9
	v_cndmask_b32_e32 v6, v11, v6, vcc
	v_and_b32_e32 v7, 7, v6
	v_cmp_lt_i32_e32 vcc, 5, v7
	v_cndmask_b32_e64 v10, 0, 1, vcc
	v_cmp_eq_u32_e32 vcc, 3, v7
	v_cndmask_b32_e64 v7, 0, 1, vcc
	v_lshrrev_b32_e32 v6, 2, v6
	v_or_b32_e32 v7, v7, v10
	v_add_u32_e32 v6, v6, v7
	v_cmp_gt_i32_e32 vcc, 31, v9
	v_cndmask_b32_e32 v5, v5, v6, vcc
	v_cmp_eq_u32_e32 vcc, s8, v9
	v_lshrrev_b32_e32 v4, 16, v4
	v_cndmask_b32_e32 v3, v5, v3, vcc
	v_and_or_b32 v3, v4, s9, v3
	s_mov_b64 s[0:1], 0
	s_branch .LBB23_651
.LBB23_647:
	s_mov_b64 s[0:1], -1
                                        ; implicit-def: $vgpr3
	s_branch .LBB23_669
.LBB23_648:
	s_mov_b64 s[0:1], -1
                                        ; implicit-def: $vgpr3
	s_branch .LBB23_657
.LBB23_649:
	s_mov_b64 s[0:1], -1
                                        ; implicit-def: $vgpr3
	s_branch .LBB23_654
.LBB23_650:
	s_mov_b64 s[0:1], -1
                                        ; implicit-def: $vgpr3
.LBB23_651:
	s_andn2_b64 vcc, exec, s[0:1]
	s_cbranch_vccnz .LBB23_653
; %bb.652:
	global_load_dword v3, v[1:2], off
	s_waitcnt vmcnt(0)
	v_cvt_f16_f32_e32 v3, v3
.LBB23_653:
	s_mov_b64 s[0:1], 0
.LBB23_654:
	s_andn2_b64 vcc, exec, s[0:1]
	s_cbranch_vccnz .LBB23_656
; %bb.655:
	global_load_dword v3, v[1:2], off
.LBB23_656:
	s_mov_b64 s[0:1], 0
.LBB23_657:
	s_andn2_b64 vcc, exec, s[0:1]
	s_cbranch_vccnz .LBB23_668
; %bb.658:
	s_cmp_lt_i32 s12, 6
	s_cbranch_scc1 .LBB23_661
; %bb.659:
	s_cmp_gt_i32 s12, 6
	s_cbranch_scc0 .LBB23_662
; %bb.660:
	global_load_dwordx2 v[3:4], v[1:2], off
	s_movk_i32 s0, 0x1ff
	s_movk_i32 s1, 0xffe
	v_mov_b32_e32 v5, 0x7c00
	v_mov_b32_e32 v6, 0x7e00
	s_movk_i32 s8, 0x40f
	s_mov_b32 s9, 0x8000
	s_waitcnt vmcnt(0)
	v_and_or_b32 v3, v4, s0, v3
	v_cmp_ne_u32_e32 vcc, 0, v3
	v_lshrrev_b32_e32 v7, 8, v4
	v_bfe_u32 v9, v4, 20, 11
	v_cndmask_b32_e64 v3, 0, 1, vcc
	v_sub_u32_e32 v10, 0x3f1, v9
	v_and_or_b32 v3, v7, s1, v3
	v_add_u32_e32 v9, 0xfffffc10, v9
	v_med3_i32 v7, v10, 0, 13
	v_or_b32_e32 v10, 0x1000, v3
	v_cmp_ne_u32_e32 vcc, 0, v3
	v_lshl_or_b32 v11, v9, 12, v3
	v_cndmask_b32_e32 v3, v5, v6, vcc
	v_lshrrev_b32_e32 v6, v7, v10
	v_lshlrev_b32_e32 v7, v7, v6
	v_cmp_ne_u32_e32 vcc, v7, v10
	v_cndmask_b32_e64 v7, 0, 1, vcc
	v_or_b32_e32 v6, v6, v7
	v_cmp_gt_i32_e32 vcc, 1, v9
	v_cndmask_b32_e32 v6, v11, v6, vcc
	v_and_b32_e32 v7, 7, v6
	v_cmp_lt_i32_e32 vcc, 5, v7
	v_cndmask_b32_e64 v10, 0, 1, vcc
	v_cmp_eq_u32_e32 vcc, 3, v7
	v_cndmask_b32_e64 v7, 0, 1, vcc
	v_lshrrev_b32_e32 v6, 2, v6
	v_or_b32_e32 v7, v7, v10
	v_add_u32_e32 v6, v6, v7
	v_cmp_gt_i32_e32 vcc, 31, v9
	v_cndmask_b32_e32 v5, v5, v6, vcc
	v_cmp_eq_u32_e32 vcc, s8, v9
	v_lshrrev_b32_e32 v4, 16, v4
	v_cndmask_b32_e32 v3, v5, v3, vcc
	v_and_or_b32 v3, v4, s9, v3
	s_mov_b64 s[0:1], 0
	s_branch .LBB23_663
.LBB23_661:
	s_mov_b64 s[0:1], -1
                                        ; implicit-def: $vgpr3
	s_branch .LBB23_666
.LBB23_662:
	s_mov_b64 s[0:1], -1
                                        ; implicit-def: $vgpr3
.LBB23_663:
	s_andn2_b64 vcc, exec, s[0:1]
	s_cbranch_vccnz .LBB23_665
; %bb.664:
	global_load_dword v3, v[1:2], off
	s_waitcnt vmcnt(0)
	v_cvt_f16_f32_e32 v3, v3
.LBB23_665:
	s_mov_b64 s[0:1], 0
.LBB23_666:
	s_andn2_b64 vcc, exec, s[0:1]
	s_cbranch_vccnz .LBB23_668
; %bb.667:
	global_load_ushort v3, v[1:2], off
.LBB23_668:
	s_mov_b64 s[0:1], 0
.LBB23_669:
	s_andn2_b64 vcc, exec, s[0:1]
	s_cbranch_vccnz .LBB23_689
; %bb.670:
	s_cmp_lt_i32 s12, 2
	s_cbranch_scc1 .LBB23_674
; %bb.671:
	s_cmp_lt_i32 s12, 3
	s_cbranch_scc1 .LBB23_675
; %bb.672:
	s_cmp_gt_i32 s12, 3
	s_cbranch_scc0 .LBB23_676
; %bb.673:
	global_load_dwordx2 v[3:4], v[1:2], off
	s_mov_b64 s[0:1], 0
	s_waitcnt vmcnt(0)
	v_xor_b32_e32 v6, v3, v4
	v_ffbh_i32_e32 v5, v4
	v_ashrrev_i32_e32 v6, 31, v6
	v_add_u32_e32 v5, -1, v5
	v_add_u32_e32 v6, 32, v6
	v_min_u32_e32 v5, v5, v6
	v_lshlrev_b64 v[3:4], v5, v[3:4]
	v_min_u32_e32 v3, 1, v3
	v_or_b32_e32 v3, v4, v3
	v_cvt_f32_i32_e32 v3, v3
	v_sub_u32_e32 v4, 32, v5
	v_ldexp_f32 v3, v3, v4
	v_cvt_f16_f32_e32 v3, v3
	s_branch .LBB23_677
.LBB23_674:
	s_mov_b64 s[0:1], -1
                                        ; implicit-def: $vgpr3
	s_branch .LBB23_683
.LBB23_675:
	s_mov_b64 s[0:1], -1
                                        ; implicit-def: $vgpr3
	s_branch .LBB23_680
.LBB23_676:
	s_mov_b64 s[0:1], -1
                                        ; implicit-def: $vgpr3
.LBB23_677:
	s_andn2_b64 vcc, exec, s[0:1]
	s_cbranch_vccnz .LBB23_679
; %bb.678:
	global_load_dword v3, v[1:2], off
	s_waitcnt vmcnt(0)
	v_cvt_f32_i32_e32 v3, v3
	v_cvt_f16_f32_e32 v3, v3
.LBB23_679:
	s_mov_b64 s[0:1], 0
.LBB23_680:
	s_andn2_b64 vcc, exec, s[0:1]
	s_cbranch_vccnz .LBB23_682
; %bb.681:
	global_load_ushort v3, v[1:2], off
	s_waitcnt vmcnt(0)
	v_cvt_f16_i16_e32 v3, v3
.LBB23_682:
	s_mov_b64 s[0:1], 0
.LBB23_683:
	s_andn2_b64 vcc, exec, s[0:1]
	s_cbranch_vccnz .LBB23_689
; %bb.684:
	s_cmp_gt_i32 s12, 0
	s_cbranch_scc0 .LBB23_686
; %bb.685:
	global_load_sbyte v3, v[1:2], off
	s_mov_b64 s[0:1], 0
	s_waitcnt vmcnt(0)
	v_cvt_f16_i16_e32 v3, v3
	s_branch .LBB23_687
.LBB23_686:
	s_mov_b64 s[0:1], -1
                                        ; implicit-def: $vgpr3
.LBB23_687:
	s_andn2_b64 vcc, exec, s[0:1]
	s_cbranch_vccnz .LBB23_689
; %bb.688:
	global_load_ubyte v1, v[1:2], off
	s_waitcnt vmcnt(0)
	v_cvt_f16_u16_e32 v3, v1
.LBB23_689:
	s_mov_b64 s[0:1], -1
.LBB23_690:
	s_andn2_b64 vcc, exec, s[0:1]
	s_cbranch_vccnz .LBB23_698
; %bb.691:
	s_waitcnt vmcnt(0)
	v_cmp_nge_f16_e64 s[0:1], v3, -s74
	v_cmp_nge_f16_e32 vcc, s74, v3
	s_or_b64 vcc, s[0:1], vcc
	v_cndmask_b32_e32 v2, 0, v3, vcc
	v_mov_b32_e32 v1, s25
	s_and_b32 s14, s73, 0xff
	v_add_co_u32_e32 v0, vcc, s24, v0
	s_cmp_lt_i32 s14, 11
	v_addc_co_u32_e32 v1, vcc, 0, v1, vcc
	s_cbranch_scc1 .LBB23_699
; %bb.692:
	s_and_b32 s15, 0xffff, s14
	s_cmp_gt_i32 s15, 25
	s_cbranch_scc0 .LBB23_700
; %bb.693:
	s_cmp_gt_i32 s15, 28
	s_cbranch_scc0 .LBB23_701
; %bb.694:
	;; [unrolled: 3-line block ×4, first 2 shown]
	s_mov_b64 s[10:11], 0
	s_mov_b64 s[0:1], -1
	s_cmp_eq_u32 s15, 46
	s_mov_b64 s[8:9], 0
	s_cbranch_scc0 .LBB23_704
; %bb.697:
	v_cvt_f32_f16_e32 v3, v2
	s_movk_i32 s0, 0x7fff
	v_cmp_o_f16_e32 vcc, v2, v2
	v_mov_b32_e32 v4, 0x7fc0
	v_bfe_u32 v5, v3, 16, 1
	v_add3_u32 v3, v3, v5, s0
	v_cndmask_b32_sdwa v3, v4, v3, vcc dst_sel:DWORD dst_unused:UNUSED_PAD src0_sel:DWORD src1_sel:WORD_1
	global_store_dword v[0:1], v3, off
	s_mov_b64 s[8:9], -1
	s_mov_b64 s[0:1], 0
	s_branch .LBB23_704
.LBB23_698:
	s_mov_b64 s[8:9], 0
	s_mov_b64 s[0:1], s[60:61]
	s_branch .LBB23_815
.LBB23_699:
	s_mov_b64 s[10:11], -1
	s_mov_b64 s[8:9], 0
	s_mov_b64 s[0:1], s[60:61]
	s_branch .LBB23_773
.LBB23_700:
	s_mov_b64 s[10:11], -1
	s_mov_b64 s[8:9], 0
	s_mov_b64 s[0:1], s[60:61]
	s_branch .LBB23_731
.LBB23_701:
	s_mov_b64 s[10:11], -1
	s_mov_b64 s[8:9], 0
	s_mov_b64 s[0:1], s[60:61]
	s_branch .LBB23_714
.LBB23_702:
	s_mov_b64 s[10:11], -1
	s_mov_b64 s[8:9], 0
	s_mov_b64 s[0:1], s[60:61]
	s_branch .LBB23_710
.LBB23_703:
	s_mov_b64 s[10:11], -1
	s_mov_b64 s[8:9], 0
	s_mov_b64 s[0:1], s[60:61]
.LBB23_704:
	s_and_b64 vcc, exec, s[10:11]
	s_cbranch_vccz .LBB23_709
; %bb.705:
	s_cmp_eq_u32 s15, 44
	s_mov_b64 s[0:1], -1
	s_cbranch_scc0 .LBB23_709
; %bb.706:
	v_cvt_f32_f16_e32 v3, v2
	s_movk_i32 s0, 0xff
	v_mov_b32_e32 v5, 0xff
	v_bfe_u32 v4, v3, 23, 8
	v_cmp_ne_u32_e32 vcc, s0, v4
	s_and_saveexec_b64 s[8:9], vcc
; %bb.707:
	s_mov_b32 s0, 0x3fffff
	v_lshrrev_b32_e32 v5, 23, v3
	v_and_b32_e32 v6, 0x400000, v3
	v_and_or_b32 v3, v3, s0, v4
	v_cmp_ne_u32_e32 vcc, 0, v6
	v_cmp_ne_u32_e64 s[0:1], 0, v3
	s_and_b64 s[0:1], vcc, s[0:1]
	v_cndmask_b32_e64 v3, 0, 1, s[0:1]
	v_add_u32_e32 v5, v5, v3
; %bb.708:
	s_or_b64 exec, exec, s[8:9]
	s_mov_b64 s[8:9], -1
	s_mov_b64 s[0:1], 0
	global_store_byte v[0:1], v5, off
.LBB23_709:
	s_mov_b64 s[10:11], 0
.LBB23_710:
	s_and_b64 vcc, exec, s[10:11]
	s_cbranch_vccz .LBB23_713
; %bb.711:
	s_cmp_eq_u32 s15, 29
	s_mov_b64 s[0:1], -1
	s_cbranch_scc0 .LBB23_713
; %bb.712:
	v_cvt_f32_f16_e32 v3, v2
	v_mov_b32_e32 v4, 0
	s_mov_b64 s[8:9], -1
	s_mov_b64 s[0:1], 0
	v_cvt_u32_f32_e32 v3, v3
	s_mov_b64 s[10:11], 0
	global_store_dwordx2 v[0:1], v[3:4], off
	s_branch .LBB23_714
.LBB23_713:
	s_mov_b64 s[10:11], 0
.LBB23_714:
	s_and_b64 vcc, exec, s[10:11]
	s_cbranch_vccz .LBB23_730
; %bb.715:
	s_cmp_lt_i32 s15, 27
	s_mov_b64 s[8:9], -1
	s_cbranch_scc1 .LBB23_721
; %bb.716:
	s_cmp_gt_i32 s15, 27
	s_cbranch_scc0 .LBB23_718
; %bb.717:
	v_cvt_f32_f16_e32 v3, v2
	s_mov_b64 s[8:9], 0
	v_cvt_u32_f32_e32 v3, v3
	global_store_dword v[0:1], v3, off
.LBB23_718:
	s_andn2_b64 vcc, exec, s[8:9]
	s_cbranch_vccnz .LBB23_720
; %bb.719:
	v_cvt_u16_f16_e32 v3, v2
	global_store_short v[0:1], v3, off
.LBB23_720:
	s_mov_b64 s[8:9], 0
.LBB23_721:
	s_andn2_b64 vcc, exec, s[8:9]
	s_cbranch_vccnz .LBB23_729
; %bb.722:
	v_cvt_f32_f16_e32 v3, v2
	s_mov_b32 s8, 0x43800000
	v_mov_b32_e32 v5, 0x80
	v_and_b32_e32 v4, 0x7fffffff, v3
	v_cmp_gt_u32_e32 vcc, s8, v4
	s_and_saveexec_b64 s[8:9], vcc
	s_cbranch_execz .LBB23_728
; %bb.723:
	s_mov_b32 s10, 0x3bffffff
	v_cmp_lt_u32_e32 vcc, s10, v4
	s_mov_b64 s[10:11], 0
                                        ; implicit-def: $vgpr4
	s_and_saveexec_b64 s[12:13], vcc
	s_xor_b64 s[12:13], exec, s[12:13]
	s_cbranch_execz .LBB23_845
; %bb.724:
	v_bfe_u32 v4, v3, 20, 1
	s_mov_b32 s16, 0x487ffff
	v_add3_u32 v4, v3, v4, s16
	s_mov_b64 s[10:11], exec
	v_lshrrev_b32_e32 v4, 20, v4
	s_andn2_saveexec_b64 s[12:13], s[12:13]
	s_cbranch_execnz .LBB23_846
.LBB23_725:
	s_or_b64 exec, exec, s[12:13]
	v_mov_b32_e32 v5, 0
	s_and_saveexec_b64 s[12:13], s[10:11]
.LBB23_726:
	v_lshrrev_b32_e32 v3, 24, v3
	s_movk_i32 s10, 0x80
	v_and_or_b32 v5, v3, s10, v4
.LBB23_727:
	s_or_b64 exec, exec, s[12:13]
.LBB23_728:
	s_or_b64 exec, exec, s[8:9]
	global_store_byte v[0:1], v5, off
.LBB23_729:
	s_mov_b64 s[8:9], -1
.LBB23_730:
	s_mov_b64 s[10:11], 0
.LBB23_731:
	s_and_b64 vcc, exec, s[10:11]
	s_cbranch_vccz .LBB23_772
; %bb.732:
	s_cmp_gt_i32 s15, 22
	s_mov_b64 s[10:11], -1
	s_cbranch_scc0 .LBB23_764
; %bb.733:
	s_cmp_lt_i32 s15, 24
	s_mov_b64 s[8:9], -1
	s_cbranch_scc1 .LBB23_753
; %bb.734:
	s_cmp_gt_i32 s15, 24
	s_cbranch_scc0 .LBB23_742
; %bb.735:
	v_cvt_f32_f16_e32 v3, v2
	s_mov_b32 s8, 0x47800000
	v_mov_b32_e32 v5, 0x80
	v_and_b32_e32 v4, 0x7fffffff, v3
	v_cmp_gt_u32_e32 vcc, s8, v4
	s_and_saveexec_b64 s[8:9], vcc
	s_cbranch_execz .LBB23_741
; %bb.736:
	s_mov_b32 s10, 0x37ffffff
	v_cmp_lt_u32_e32 vcc, s10, v4
	s_mov_b64 s[10:11], 0
                                        ; implicit-def: $vgpr4
	s_and_saveexec_b64 s[12:13], vcc
	s_xor_b64 s[12:13], exec, s[12:13]
	s_cbranch_execz .LBB23_848
; %bb.737:
	v_bfe_u32 v4, v3, 21, 1
	s_mov_b32 s16, 0x88fffff
	v_add3_u32 v4, v3, v4, s16
	s_mov_b64 s[10:11], exec
	v_lshrrev_b32_e32 v4, 21, v4
	s_andn2_saveexec_b64 s[12:13], s[12:13]
	s_cbranch_execnz .LBB23_849
.LBB23_738:
	s_or_b64 exec, exec, s[12:13]
	v_mov_b32_e32 v5, 0
	s_and_saveexec_b64 s[12:13], s[10:11]
.LBB23_739:
	v_lshrrev_b32_e32 v3, 24, v3
	s_movk_i32 s10, 0x80
	v_and_or_b32 v5, v3, s10, v4
.LBB23_740:
	s_or_b64 exec, exec, s[12:13]
.LBB23_741:
	s_or_b64 exec, exec, s[8:9]
	s_mov_b64 s[8:9], 0
	global_store_byte v[0:1], v5, off
.LBB23_742:
	s_and_b64 vcc, exec, s[8:9]
	s_cbranch_vccz .LBB23_752
; %bb.743:
	v_cvt_f32_f16_e32 v3, v2
	s_mov_b32 s8, 0x43f00000
                                        ; implicit-def: $vgpr4
	v_and_b32_e32 v5, 0x7fffffff, v3
	v_cmp_gt_u32_e32 vcc, s8, v5
	s_and_saveexec_b64 s[8:9], vcc
	s_xor_b64 s[8:9], exec, s[8:9]
	s_cbranch_execz .LBB23_749
; %bb.744:
	s_mov_b32 s10, 0x3c7fffff
	v_cmp_lt_u32_e32 vcc, s10, v5
                                        ; implicit-def: $vgpr4
	s_and_saveexec_b64 s[10:11], vcc
	s_xor_b64 s[10:11], exec, s[10:11]
; %bb.745:
	v_bfe_u32 v4, v3, 20, 1
	s_mov_b32 s12, 0x407ffff
	v_add3_u32 v4, v3, v4, s12
	v_lshrrev_b32_e32 v5, 20, v4
	v_and_b32_e32 v4, 0xff00000, v4
	s_mov_b32 s12, 0x7f00000
	v_mov_b32_e32 v6, 0x7e
	v_cmp_ne_u32_e32 vcc, s12, v4
	v_cndmask_b32_e32 v4, v6, v5, vcc
; %bb.746:
	s_andn2_saveexec_b64 s[10:11], s[10:11]
; %bb.747:
	s_mov_b32 s12, 0x46800000
	v_add_f32_e64 v4, |v3|, s12
; %bb.748:
	s_or_b64 exec, exec, s[10:11]
                                        ; implicit-def: $vgpr5
.LBB23_749:
	s_andn2_saveexec_b64 s[8:9], s[8:9]
; %bb.750:
	s_mov_b32 s10, 0x7f800000
	v_mov_b32_e32 v4, 0x7e
	v_mov_b32_e32 v6, 0x7f
	v_cmp_lt_u32_e32 vcc, s10, v5
	v_cndmask_b32_e32 v4, v4, v6, vcc
; %bb.751:
	s_or_b64 exec, exec, s[8:9]
	v_lshrrev_b32_e32 v3, 24, v3
	s_movk_i32 s8, 0x80
	v_and_or_b32 v3, v3, s8, v4
	global_store_byte v[0:1], v3, off
.LBB23_752:
	s_mov_b64 s[8:9], 0
.LBB23_753:
	s_andn2_b64 vcc, exec, s[8:9]
	s_cbranch_vccnz .LBB23_763
; %bb.754:
	v_cvt_f32_f16_e32 v3, v2
	s_mov_b32 s8, 0x47800000
                                        ; implicit-def: $vgpr4
	v_and_b32_e32 v5, 0x7fffffff, v3
	v_cmp_gt_u32_e32 vcc, s8, v5
	s_and_saveexec_b64 s[8:9], vcc
	s_xor_b64 s[8:9], exec, s[8:9]
	s_cbranch_execz .LBB23_760
; %bb.755:
	s_mov_b32 s10, 0x387fffff
	v_cmp_lt_u32_e32 vcc, s10, v5
                                        ; implicit-def: $vgpr4
	s_and_saveexec_b64 s[10:11], vcc
	s_xor_b64 s[10:11], exec, s[10:11]
; %bb.756:
	v_bfe_u32 v4, v3, 21, 1
	s_mov_b32 s12, 0x80fffff
	v_add3_u32 v4, v3, v4, s12
	v_lshrrev_b32_e32 v4, 21, v4
; %bb.757:
	s_andn2_saveexec_b64 s[10:11], s[10:11]
; %bb.758:
	s_mov_b32 s12, 0x43000000
	v_add_f32_e64 v4, |v3|, s12
; %bb.759:
	s_or_b64 exec, exec, s[10:11]
                                        ; implicit-def: $vgpr5
.LBB23_760:
	s_andn2_saveexec_b64 s[8:9], s[8:9]
; %bb.761:
	s_mov_b32 s10, 0x7f800000
	v_mov_b32_e32 v4, 0x7c
	v_mov_b32_e32 v6, 0x7f
	v_cmp_lt_u32_e32 vcc, s10, v5
	v_cndmask_b32_e32 v4, v4, v6, vcc
; %bb.762:
	s_or_b64 exec, exec, s[8:9]
	v_lshrrev_b32_e32 v3, 24, v3
	s_movk_i32 s8, 0x80
	v_and_or_b32 v3, v3, s8, v4
	global_store_byte v[0:1], v3, off
.LBB23_763:
	s_mov_b64 s[10:11], 0
	s_mov_b64 s[8:9], -1
.LBB23_764:
	s_andn2_b64 vcc, exec, s[10:11]
	s_cbranch_vccnz .LBB23_772
; %bb.765:
	s_cmp_gt_i32 s15, 14
	s_mov_b64 s[10:11], -1
	s_cbranch_scc0 .LBB23_769
; %bb.766:
	s_cmp_eq_u32 s15, 15
	s_mov_b64 s[0:1], -1
	s_cbranch_scc0 .LBB23_768
; %bb.767:
	v_cvt_f32_f16_e32 v3, v2
	s_movk_i32 s0, 0x7fff
	v_cmp_o_f16_e32 vcc, v2, v2
	v_mov_b32_e32 v4, 0x7fc0
	v_bfe_u32 v5, v3, 16, 1
	v_add3_u32 v3, v3, v5, s0
	v_cndmask_b32_sdwa v3, v4, v3, vcc dst_sel:DWORD dst_unused:UNUSED_PAD src0_sel:DWORD src1_sel:WORD_1
	global_store_short v[0:1], v3, off
	s_mov_b64 s[8:9], -1
	s_mov_b64 s[0:1], 0
.LBB23_768:
	s_mov_b64 s[10:11], 0
.LBB23_769:
	s_and_b64 vcc, exec, s[10:11]
	s_cbranch_vccz .LBB23_772
; %bb.770:
	s_cmp_eq_u32 s15, 11
	s_mov_b64 s[0:1], -1
	s_cbranch_scc0 .LBB23_772
; %bb.771:
	v_and_b32_e32 v3, 0x7fff, v2
	v_cmp_ne_u16_e32 vcc, 0, v3
	v_cndmask_b32_e64 v3, 0, 1, vcc
	s_mov_b64 s[8:9], -1
	s_mov_b64 s[0:1], 0
	global_store_byte v[0:1], v3, off
.LBB23_772:
	s_mov_b64 s[10:11], 0
.LBB23_773:
	s_and_b64 vcc, exec, s[10:11]
	s_cbranch_vccz .LBB23_812
; %bb.774:
	s_and_b32 s10, 0xffff, s14
	s_cmp_lt_i32 s10, 5
	s_mov_b64 s[8:9], -1
	s_cbranch_scc1 .LBB23_795
; %bb.775:
	s_cmp_lt_i32 s10, 8
	s_cbranch_scc1 .LBB23_785
; %bb.776:
	s_cmp_lt_i32 s10, 9
	s_cbranch_scc1 .LBB23_782
; %bb.777:
	s_cmp_gt_i32 s10, 9
	s_cbranch_scc0 .LBB23_779
; %bb.778:
	v_cvt_f32_f16_e32 v3, v2
	v_mov_b32_e32 v5, 0
	v_mov_b32_e32 v6, v5
	s_mov_b64 s[8:9], 0
	v_cvt_f64_f32_e32 v[3:4], v3
	global_store_dwordx4 v[0:1], v[3:6], off
.LBB23_779:
	s_andn2_b64 vcc, exec, s[8:9]
	s_cbranch_vccnz .LBB23_781
; %bb.780:
	v_cvt_f32_f16_e32 v3, v2
	v_mov_b32_e32 v4, 0
	global_store_dwordx2 v[0:1], v[3:4], off
.LBB23_781:
	s_mov_b64 s[8:9], 0
.LBB23_782:
	s_andn2_b64 vcc, exec, s[8:9]
	s_cbranch_vccnz .LBB23_784
; %bb.783:
	v_and_b32_e32 v3, 0xffff, v2
	global_store_dword v[0:1], v3, off
.LBB23_784:
	s_mov_b64 s[8:9], 0
.LBB23_785:
	s_andn2_b64 vcc, exec, s[8:9]
	s_cbranch_vccnz .LBB23_794
; %bb.786:
	s_cmp_lt_i32 s10, 6
	s_mov_b64 s[8:9], -1
	s_cbranch_scc1 .LBB23_792
; %bb.787:
	s_cmp_gt_i32 s10, 6
	s_cbranch_scc0 .LBB23_789
; %bb.788:
	v_cvt_f32_f16_e32 v3, v2
	s_mov_b64 s[8:9], 0
	v_cvt_f64_f32_e32 v[3:4], v3
	global_store_dwordx2 v[0:1], v[3:4], off
.LBB23_789:
	s_andn2_b64 vcc, exec, s[8:9]
	s_cbranch_vccnz .LBB23_791
; %bb.790:
	v_cvt_f32_f16_e32 v3, v2
	global_store_dword v[0:1], v3, off
.LBB23_791:
	s_mov_b64 s[8:9], 0
.LBB23_792:
	s_andn2_b64 vcc, exec, s[8:9]
	s_cbranch_vccnz .LBB23_794
; %bb.793:
	global_store_short v[0:1], v2, off
.LBB23_794:
	s_mov_b64 s[8:9], 0
.LBB23_795:
	s_andn2_b64 vcc, exec, s[8:9]
	s_cbranch_vccnz .LBB23_811
; %bb.796:
	s_cmp_lt_i32 s10, 2
	s_mov_b64 s[8:9], -1
	s_cbranch_scc1 .LBB23_806
; %bb.797:
	s_cmp_lt_i32 s10, 3
	s_cbranch_scc1 .LBB23_803
; %bb.798:
	s_cmp_gt_i32 s10, 3
	s_cbranch_scc0 .LBB23_800
; %bb.799:
	v_cvt_f32_f16_e32 v3, v2
	s_mov_b64 s[8:9], 0
	v_cvt_i32_f32_e32 v3, v3
	v_ashrrev_i32_e32 v4, 31, v3
	global_store_dwordx2 v[0:1], v[3:4], off
.LBB23_800:
	s_andn2_b64 vcc, exec, s[8:9]
	s_cbranch_vccnz .LBB23_802
; %bb.801:
	v_cvt_f32_f16_e32 v3, v2
	v_cvt_i32_f32_e32 v3, v3
	global_store_dword v[0:1], v3, off
.LBB23_802:
	s_mov_b64 s[8:9], 0
.LBB23_803:
	s_andn2_b64 vcc, exec, s[8:9]
	s_cbranch_vccnz .LBB23_805
; %bb.804:
	v_cvt_i16_f16_e32 v3, v2
	global_store_short v[0:1], v3, off
.LBB23_805:
	s_mov_b64 s[8:9], 0
.LBB23_806:
	s_andn2_b64 vcc, exec, s[8:9]
	s_cbranch_vccnz .LBB23_811
; %bb.807:
	s_cmp_gt_i32 s10, 0
	s_mov_b64 s[8:9], -1
	s_cbranch_scc0 .LBB23_809
; %bb.808:
	v_cvt_i16_f16_e32 v3, v2
	s_mov_b64 s[8:9], 0
	global_store_byte v[0:1], v3, off
.LBB23_809:
	s_andn2_b64 vcc, exec, s[8:9]
	s_cbranch_vccnz .LBB23_811
; %bb.810:
	v_cvt_f32_f16_e32 v2, v2
	v_cvt_i32_f32_e32 v2, v2
	global_store_byte v[0:1], v2, off
.LBB23_811:
	s_mov_b64 s[8:9], -1
.LBB23_812:
	s_andn2_b64 vcc, exec, s[8:9]
	s_cbranch_vccnz .LBB23_814
; %bb.813:
	v_add_u32_e32 v8, 0x80, v8
	s_mov_b64 s[8:9], -1
	s_branch .LBB23_816
.LBB23_814:
	s_mov_b64 s[8:9], 0
.LBB23_815:
                                        ; implicit-def: $vgpr8
.LBB23_816:
	s_andn2_b64 s[10:11], s[60:61], exec
	s_and_b64 s[0:1], s[0:1], exec
	s_or_b64 s[68:69], s[10:11], s[0:1]
	s_andn2_b64 s[0:1], s[58:59], exec
	s_and_b64 s[2:3], s[2:3], exec
	s_or_b64 s[66:67], s[0:1], s[2:3]
	s_orn2_b64 s[2:3], s[8:9], exec
.LBB23_817:
	s_or_b64 exec, exec, s[64:65]
	s_mov_b64 s[0:1], 0
	s_mov_b64 s[8:9], 0
	;; [unrolled: 1-line block ×3, first 2 shown]
                                        ; implicit-def: $vgpr1_vgpr2
                                        ; implicit-def: $vgpr0
                                        ; implicit-def: $vgpr4
	s_and_saveexec_b64 s[64:65], s[2:3]
	s_cbranch_execz .LBB23_916
; %bb.818:
	v_cmp_gt_i32_e32 vcc, s70, v8
	s_mov_b64 s[2:3], 0
	s_mov_b64 s[12:13], s[66:67]
                                        ; implicit-def: $vgpr1_vgpr2
                                        ; implicit-def: $vgpr0
                                        ; implicit-def: $vgpr4
	s_and_saveexec_b64 s[70:71], vcc
	s_cbranch_execz .LBB23_915
; %bb.819:
	s_andn2_b64 vcc, exec, s[40:41]
	s_cbranch_vccnz .LBB23_824
; %bb.820:
	s_andn2_b64 vcc, exec, s[50:51]
	s_cbranch_vccnz .LBB23_825
; %bb.821:
	s_add_i32 s77, s76, 1
	s_cmp_eq_u32 s72, 2
	s_cbranch_scc1 .LBB23_826
; %bb.822:
	s_and_b32 s76, s77, 28
	v_mov_b32_e32 v2, 0
	s_mov_b32 s78, 0
	s_mov_b64 s[50:51], s[34:35]
	v_mov_b32_e32 v0, 0
	v_mov_b32_e32 v1, v8
.LBB23_823:                             ; =>This Inner Loop Header: Depth=1
	s_load_dwordx8 s[16:23], s[50:51], 0x4
	s_load_dwordx4 s[0:3], s[50:51], 0x24
	s_load_dwordx8 s[8:15], s[48:49], 0x0
	s_add_u32 s50, s50, 48
	s_addc_u32 s51, s51, 0
	s_waitcnt vmcnt(0) lgkmcnt(0)
	v_mul_hi_u32 v3, s17, v1
	s_add_i32 s78, s78, 4
	s_add_u32 s48, s48, 32
	s_addc_u32 s49, s49, 0
	v_add_u32_e32 v3, v1, v3
	v_lshrrev_b32_e32 v3, s18, v3
	v_mul_lo_u32 v4, v3, s16
	v_mul_hi_u32 v5, s20, v3
	s_cmp_eq_u32 s76, s78
	v_sub_u32_e32 v1, v1, v4
	v_add_u32_e32 v4, v3, v5
	v_mul_lo_u32 v5, v1, s8
	v_mul_lo_u32 v6, v1, s9
	v_lshrrev_b32_e32 v1, s21, v4
	v_mul_lo_u32 v4, v1, s19
	v_mul_hi_u32 v7, s23, v1
	v_sub_u32_e32 v3, v3, v4
	v_add_u32_e32 v4, v1, v7
	v_lshrrev_b32_e32 v4, s0, v4
	v_mul_hi_u32 v9, s2, v4
	v_mul_lo_u32 v10, v4, s22
	v_mul_lo_u32 v7, v3, s10
	;; [unrolled: 1-line block ×3, first 2 shown]
	v_sub_u32_e32 v10, v1, v10
	v_add_u32_e32 v1, v4, v9
	v_lshrrev_b32_e32 v1, s3, v1
	v_mul_lo_u32 v9, v1, s1
	v_mul_lo_u32 v11, v10, s12
	;; [unrolled: 1-line block ×3, first 2 shown]
	v_add3_u32 v0, v5, v0, v7
	v_sub_u32_e32 v4, v4, v9
	v_mul_lo_u32 v9, v4, s14
	v_mul_lo_u32 v4, v4, s15
	v_add3_u32 v2, v6, v2, v3
	v_add3_u32 v0, v11, v0, v9
	v_add3_u32 v2, v10, v2, v4
	s_cbranch_scc0 .LBB23_823
	s_branch .LBB23_827
.LBB23_824:
	s_mov_b64 s[0:1], -1
                                        ; implicit-def: $vgpr0
                                        ; implicit-def: $vgpr2
	s_branch .LBB23_831
.LBB23_825:
	v_mov_b32_e32 v0, 0
	v_mov_b32_e32 v2, 0
	s_branch .LBB23_830
.LBB23_826:
	s_mov_b32 s76, 0
	v_mov_b32_e32 v0, 0
	v_mov_b32_e32 v2, 0
	;; [unrolled: 1-line block ×3, first 2 shown]
.LBB23_827:
	s_and_b32 s8, s77, 3
	s_cmp_eq_u32 s8, 0
	s_cbranch_scc1 .LBB23_830
; %bb.828:
	s_lshl_b32 s0, s76, 3
	s_add_u32 s0, s34, s0
	s_addc_u32 s1, s35, 0
	s_add_u32 s0, s0, 0xc4
	s_addc_u32 s1, s1, 0
	s_mul_i32 s2, s76, 12
	s_add_u32 s2, s34, s2
	s_addc_u32 s3, s35, 0
.LBB23_829:                             ; =>This Inner Loop Header: Depth=1
	s_load_dwordx2 s[10:11], s[2:3], 0x4
	s_load_dword s9, s[2:3], 0xc
	s_load_dwordx2 s[12:13], s[0:1], 0x0
	s_add_u32 s2, s2, 12
	s_addc_u32 s3, s3, 0
	s_waitcnt vmcnt(0) lgkmcnt(0)
	v_mul_hi_u32 v3, s11, v1
	s_add_u32 s0, s0, 8
	s_addc_u32 s1, s1, 0
	s_add_i32 s8, s8, -1
	v_add_u32_e32 v3, v1, v3
	v_lshrrev_b32_e32 v4, s9, v3
	v_mul_lo_u32 v3, v4, s10
	s_cmp_lg_u32 s8, 0
	v_sub_u32_e32 v3, v1, v3
	v_mad_u64_u32 v[0:1], s[10:11], v3, s12, v[0:1]
	v_mad_u64_u32 v[2:3], s[10:11], v3, s13, v[2:3]
	v_mov_b32_e32 v1, v4
	s_cbranch_scc1 .LBB23_829
.LBB23_830:
	s_mov_b64 s[0:1], 0
.LBB23_831:
	s_andn2_b64 vcc, exec, s[0:1]
	s_cbranch_vccnz .LBB23_834
; %bb.832:
	v_mul_hi_u32 v0, s29, v8
	s_andn2_b64 vcc, exec, s[46:47]
	v_add_u32_e32 v0, v8, v0
	v_lshrrev_b32_e32 v1, s30, v0
	v_mul_lo_u32 v0, v1, s28
	v_sub_u32_e32 v2, v8, v0
	v_mul_lo_u32 v0, v2, s36
	v_mul_lo_u32 v2, v2, s37
	s_cbranch_vccnz .LBB23_834
; %bb.833:
	s_waitcnt vmcnt(0)
	v_mul_hi_u32 v3, s44, v1
	v_add_u32_e32 v3, v1, v3
	v_lshrrev_b32_e32 v3, s45, v3
	v_mul_lo_u32 v3, v3, s31
	v_sub_u32_e32 v3, v1, v3
	v_mad_u64_u32 v[0:1], s[0:1], v3, s38, v[0:1]
	v_mad_u64_u32 v[2:3], s[0:1], v3, s39, v[2:3]
.LBB23_834:
	s_waitcnt vmcnt(0)
	v_mov_b32_e32 v3, s27
	s_and_b32 s14, 0xffff, s75
	v_add_co_u32_e32 v1, vcc, s26, v2
	s_cmp_lt_i32 s14, 11
	v_addc_co_u32_e32 v2, vcc, 0, v3, vcc
	s_cbranch_scc1 .LBB23_841
; %bb.835:
	s_cmp_gt_i32 s14, 25
	s_mov_b64 s[2:3], 0
	s_cbranch_scc0 .LBB23_842
; %bb.836:
	s_cmp_gt_i32 s14, 28
	s_cbranch_scc0 .LBB23_843
; %bb.837:
	s_cmp_gt_i32 s14, 43
	s_cbranch_scc0 .LBB23_844
; %bb.838:
	s_cmp_gt_i32 s14, 45
	s_cbranch_scc0 .LBB23_847
; %bb.839:
	s_cmp_eq_u32 s14, 46
	s_mov_b64 s[10:11], 0
	s_cbranch_scc0 .LBB23_850
; %bb.840:
	global_load_dword v3, v[1:2], off
	s_mov_b64 s[0:1], 0
	s_mov_b64 s[8:9], -1
	s_waitcnt vmcnt(0)
	v_lshlrev_b32_e32 v3, 16, v3
	v_cvt_f16_f32_e32 v4, v3
	s_branch .LBB23_851
.LBB23_841:
	s_mov_b64 s[12:13], -1
	s_mov_b64 s[8:9], 0
	s_mov_b64 s[2:3], 0
	;; [unrolled: 1-line block ×3, first 2 shown]
                                        ; implicit-def: $vgpr4
	s_branch .LBB23_914
.LBB23_842:
	s_mov_b64 s[10:11], -1
	s_mov_b64 s[8:9], 0
	s_mov_b64 s[0:1], s[66:67]
                                        ; implicit-def: $vgpr4
	s_branch .LBB23_880
.LBB23_843:
	s_mov_b64 s[10:11], -1
	s_mov_b64 s[8:9], 0
	s_mov_b64 s[0:1], s[66:67]
                                        ; implicit-def: $vgpr4
	s_branch .LBB23_861
.LBB23_844:
	s_mov_b64 s[10:11], -1
	s_mov_b64 s[8:9], 0
	s_mov_b64 s[0:1], s[66:67]
                                        ; implicit-def: $vgpr4
	s_branch .LBB23_856
.LBB23_845:
	s_andn2_saveexec_b64 s[12:13], s[12:13]
	s_cbranch_execz .LBB23_725
.LBB23_846:
	s_mov_b32 s16, 0x46000000
	v_add_f32_e64 v4, |v3|, s16
	v_and_b32_e32 v4, 0xff, v4
	v_cmp_ne_u32_e32 vcc, 0, v4
	s_andn2_b64 s[10:11], s[10:11], exec
	s_and_b64 s[16:17], vcc, exec
	s_or_b64 s[10:11], s[10:11], s[16:17]
	s_or_b64 exec, exec, s[12:13]
	v_mov_b32_e32 v5, 0
	s_and_saveexec_b64 s[12:13], s[10:11]
	s_cbranch_execnz .LBB23_726
	s_branch .LBB23_727
.LBB23_847:
	s_mov_b64 s[10:11], -1
	s_mov_b64 s[8:9], 0
	s_mov_b64 s[0:1], s[66:67]
                                        ; implicit-def: $vgpr4
	s_branch .LBB23_851
.LBB23_848:
	s_andn2_saveexec_b64 s[12:13], s[12:13]
	s_cbranch_execz .LBB23_738
.LBB23_849:
	s_mov_b32 s16, 0x42800000
	v_add_f32_e64 v4, |v3|, s16
	v_and_b32_e32 v4, 0xff, v4
	v_cmp_ne_u32_e32 vcc, 0, v4
	s_andn2_b64 s[10:11], s[10:11], exec
	s_and_b64 s[16:17], vcc, exec
	s_or_b64 s[10:11], s[10:11], s[16:17]
	s_or_b64 exec, exec, s[12:13]
	v_mov_b32_e32 v5, 0
	s_and_saveexec_b64 s[12:13], s[10:11]
	s_cbranch_execnz .LBB23_739
	s_branch .LBB23_740
.LBB23_850:
	s_mov_b64 s[0:1], -1
                                        ; implicit-def: $vgpr4
	s_mov_b64 s[8:9], 0
.LBB23_851:
	s_and_b64 vcc, exec, s[10:11]
	s_cbranch_vccz .LBB23_855
; %bb.852:
	s_cmp_eq_u32 s14, 44
	s_cbranch_scc0 .LBB23_854
; %bb.853:
	global_load_ubyte v3, v[1:2], off
	s_movk_i32 s8, 0xff
	v_mov_b32_e32 v5, 0x7e00
	s_mov_b64 s[0:1], 0
	s_waitcnt vmcnt(0)
	v_lshlrev_b32_e32 v4, 23, v3
	v_cvt_f16_f32_e32 v4, v4
	v_cmp_ne_u32_e32 vcc, s8, v3
	s_mov_b64 s[8:9], -1
	v_cndmask_b32_e32 v4, v5, v4, vcc
	v_cmp_ne_u32_e32 vcc, 0, v3
	v_cndmask_b32_e32 v4, 0, v4, vcc
	s_branch .LBB23_855
.LBB23_854:
	s_mov_b64 s[0:1], -1
                                        ; implicit-def: $vgpr4
.LBB23_855:
	s_mov_b64 s[10:11], 0
.LBB23_856:
	s_and_b64 vcc, exec, s[10:11]
	s_cbranch_vccz .LBB23_860
; %bb.857:
	s_cmp_eq_u32 s14, 29
	s_cbranch_scc0 .LBB23_859
; %bb.858:
	global_load_dwordx2 v[3:4], v[1:2], off
	s_mov_b64 s[0:1], 0
	s_mov_b64 s[8:9], -1
	s_mov_b64 s[10:11], 0
	s_waitcnt vmcnt(0)
	v_ffbh_u32_e32 v5, v4
	v_min_u32_e32 v5, 32, v5
	v_lshlrev_b64 v[3:4], v5, v[3:4]
	v_min_u32_e32 v3, 1, v3
	v_or_b32_e32 v3, v4, v3
	v_cvt_f32_u32_e32 v3, v3
	v_sub_u32_e32 v4, 32, v5
	v_ldexp_f32 v3, v3, v4
	v_cvt_f16_f32_e32 v4, v3
	s_branch .LBB23_861
.LBB23_859:
	s_mov_b64 s[0:1], -1
                                        ; implicit-def: $vgpr4
.LBB23_860:
	s_mov_b64 s[10:11], 0
.LBB23_861:
	s_and_b64 vcc, exec, s[10:11]
	s_cbranch_vccz .LBB23_879
; %bb.862:
	s_cmp_lt_i32 s14, 27
	s_cbranch_scc1 .LBB23_865
; %bb.863:
	s_cmp_gt_i32 s14, 27
	s_cbranch_scc0 .LBB23_866
; %bb.864:
	global_load_dword v3, v[1:2], off
	s_mov_b64 s[8:9], 0
	s_waitcnt vmcnt(0)
	v_cvt_f32_u32_e32 v3, v3
	v_cvt_f16_f32_e32 v4, v3
	s_branch .LBB23_867
.LBB23_865:
	s_mov_b64 s[8:9], -1
                                        ; implicit-def: $vgpr4
	s_branch .LBB23_870
.LBB23_866:
	s_mov_b64 s[8:9], -1
                                        ; implicit-def: $vgpr4
.LBB23_867:
	s_andn2_b64 vcc, exec, s[8:9]
	s_cbranch_vccnz .LBB23_869
; %bb.868:
	global_load_ushort v3, v[1:2], off
	s_waitcnt vmcnt(0)
	v_cvt_f16_u16_e32 v4, v3
.LBB23_869:
	s_mov_b64 s[8:9], 0
.LBB23_870:
	s_andn2_b64 vcc, exec, s[8:9]
	s_cbranch_vccnz .LBB23_878
; %bb.871:
	global_load_ubyte v3, v[1:2], off
	s_movk_i32 s8, 0x7f
	s_waitcnt vmcnt(0)
	v_cmp_lt_i16_e32 vcc, s8, v3
	s_mov_b64 s[8:9], 0
	s_and_saveexec_b64 s[10:11], vcc
	s_xor_b64 s[10:11], exec, s[10:11]
	s_cbranch_execz .LBB23_892
; %bb.872:
	s_movk_i32 s8, 0x80
	v_cmp_eq_u16_e32 vcc, s8, v3
	s_mov_b64 s[8:9], -1
	s_and_saveexec_b64 s[12:13], vcc
; %bb.873:
	s_xor_b64 s[8:9], exec, -1
; %bb.874:
	s_or_b64 exec, exec, s[12:13]
	s_and_b64 s[8:9], s[8:9], exec
	s_or_saveexec_b64 s[10:11], s[10:11]
	v_mov_b32_e32 v4, 0x7e00
	s_xor_b64 exec, exec, s[10:11]
	s_cbranch_execnz .LBB23_893
.LBB23_875:
	s_or_b64 exec, exec, s[10:11]
	s_and_saveexec_b64 s[10:11], s[8:9]
	s_cbranch_execz .LBB23_877
.LBB23_876:
	v_lshlrev_b32_e32 v4, 24, v3
	v_and_b32_e32 v3, 0xffff, v3
	v_and_b32_e32 v5, 7, v3
	v_ffbh_u32_e32 v7, v5
	v_min_u32_e32 v7, 32, v7
	v_subrev_u32_e32 v8, 28, v7
	v_bfe_u32 v6, v3, 3, 4
	v_lshlrev_b32_e32 v3, v8, v3
	v_sub_u32_e32 v7, 29, v7
	v_and_b32_e32 v3, 7, v3
	v_cmp_eq_u32_e32 vcc, 0, v6
	v_cndmask_b32_e32 v6, v6, v7, vcc
	v_cndmask_b32_e32 v3, v5, v3, vcc
	v_mov_b32_e32 v5, 0x3b800000
	v_lshlrev_b32_e32 v3, 20, v3
	v_and_b32_e32 v4, 0x80000000, v4
	v_lshl_add_u32 v5, v6, 23, v5
	v_or3_b32 v3, v4, v5, v3
	v_cvt_f16_f32_e32 v4, v3
.LBB23_877:
	s_or_b64 exec, exec, s[10:11]
.LBB23_878:
	s_mov_b64 s[8:9], -1
.LBB23_879:
	s_mov_b64 s[10:11], 0
.LBB23_880:
	s_and_b64 vcc, exec, s[10:11]
	s_cbranch_vccz .LBB23_913
; %bb.881:
	s_cmp_gt_i32 s14, 22
	s_cbranch_scc0 .LBB23_891
; %bb.882:
	s_cmp_lt_i32 s14, 24
	s_cbranch_scc1 .LBB23_894
; %bb.883:
	s_cmp_gt_i32 s14, 24
	s_cbranch_scc0 .LBB23_895
; %bb.884:
	global_load_ubyte v3, v[1:2], off
	s_movk_i32 s2, 0x7f
	s_waitcnt vmcnt(0)
	v_cmp_lt_i16_e32 vcc, s2, v3
	s_mov_b64 s[2:3], 0
	s_and_saveexec_b64 s[8:9], vcc
	s_xor_b64 s[8:9], exec, s[8:9]
	s_cbranch_execz .LBB23_907
; %bb.885:
	s_movk_i32 s2, 0x80
	v_cmp_eq_u16_e32 vcc, s2, v3
	s_mov_b64 s[2:3], -1
	s_and_saveexec_b64 s[10:11], vcc
; %bb.886:
	s_xor_b64 s[2:3], exec, -1
; %bb.887:
	s_or_b64 exec, exec, s[10:11]
	s_and_b64 s[2:3], s[2:3], exec
	s_or_saveexec_b64 s[8:9], s[8:9]
	v_mov_b32_e32 v4, 0x7e00
	s_xor_b64 exec, exec, s[8:9]
	s_cbranch_execnz .LBB23_908
.LBB23_888:
	s_or_b64 exec, exec, s[8:9]
	s_and_saveexec_b64 s[8:9], s[2:3]
	s_cbranch_execz .LBB23_890
.LBB23_889:
	v_lshlrev_b32_e32 v4, 24, v3
	v_and_b32_e32 v3, 0xffff, v3
	v_and_b32_e32 v5, 3, v3
	v_ffbh_u32_e32 v7, v5
	v_min_u32_e32 v7, 32, v7
	v_subrev_u32_e32 v8, 29, v7
	v_bfe_u32 v6, v3, 2, 5
	v_lshlrev_b32_e32 v3, v8, v3
	v_sub_u32_e32 v7, 30, v7
	v_and_b32_e32 v3, 3, v3
	v_cmp_eq_u32_e32 vcc, 0, v6
	v_cndmask_b32_e32 v6, v6, v7, vcc
	v_cndmask_b32_e32 v3, v5, v3, vcc
	v_mov_b32_e32 v5, 0x37800000
	v_lshlrev_b32_e32 v3, 21, v3
	v_and_b32_e32 v4, 0x80000000, v4
	v_lshl_add_u32 v5, v6, 23, v5
	v_or3_b32 v3, v4, v5, v3
	v_cvt_f16_f32_e32 v4, v3
.LBB23_890:
	s_or_b64 exec, exec, s[8:9]
	s_mov_b64 s[2:3], 0
	s_branch .LBB23_896
.LBB23_891:
	s_mov_b64 s[2:3], -1
                                        ; implicit-def: $vgpr4
	s_branch .LBB23_902
.LBB23_892:
	s_or_saveexec_b64 s[10:11], s[10:11]
	v_mov_b32_e32 v4, 0x7e00
	s_xor_b64 exec, exec, s[10:11]
	s_cbranch_execz .LBB23_875
.LBB23_893:
	v_cmp_ne_u16_e32 vcc, 0, v3
	s_andn2_b64 s[8:9], s[8:9], exec
	s_and_b64 s[12:13], vcc, exec
	s_or_b64 s[8:9], s[8:9], s[12:13]
	v_mov_b32_e32 v4, v3
	s_or_b64 exec, exec, s[10:11]
	s_and_saveexec_b64 s[10:11], s[8:9]
	s_cbranch_execnz .LBB23_876
	s_branch .LBB23_877
.LBB23_894:
	s_mov_b64 s[2:3], -1
                                        ; implicit-def: $vgpr4
	s_branch .LBB23_899
.LBB23_895:
	s_mov_b64 s[2:3], -1
                                        ; implicit-def: $vgpr4
.LBB23_896:
	s_and_b64 vcc, exec, s[2:3]
	s_cbranch_vccz .LBB23_898
; %bb.897:
	global_load_ubyte v3, v[1:2], off
	s_mov_b32 s2, 0x7f800000
	s_waitcnt vmcnt(0)
	v_lshlrev_b32_e32 v3, 24, v3
	v_and_b32_e32 v4, 0x7f000000, v3
	v_ffbh_u32_e32 v5, v4
	v_min_u32_e32 v5, 32, v5
	v_sub_u32_e64 v5, v5, 4 clamp
	v_lshlrev_b32_e32 v7, v5, v4
	v_lshlrev_b32_e32 v5, 23, v5
	v_lshrrev_b32_e32 v7, 4, v7
	v_add_u32_e32 v6, 0x1000000, v4
	v_sub_u32_e32 v5, v7, v5
	v_ashrrev_i32_e32 v6, 8, v6
	v_add_u32_e32 v5, 0x3c000000, v5
	v_and_or_b32 v5, v6, s2, v5
	v_cmp_ne_u32_e32 vcc, 0, v4
	v_cndmask_b32_e32 v4, 0, v5, vcc
	s_brev_b32 s2, 1
	v_and_or_b32 v3, v3, s2, v4
	v_cvt_f16_f32_e32 v4, v3
.LBB23_898:
	s_mov_b64 s[2:3], 0
.LBB23_899:
	s_andn2_b64 vcc, exec, s[2:3]
	s_cbranch_vccnz .LBB23_901
; %bb.900:
	global_load_ubyte v3, v[1:2], off
	s_movk_i32 s2, 0x7f00
	s_brev_b32 s3, 16
	s_waitcnt vmcnt(0)
	v_lshlrev_b16_e32 v4, 8, v3
	v_lshlrev_b32_e32 v3, 25, v3
	v_lshrrev_b32_e32 v5, 4, v3
	v_and_or_b32 v6, v4, s2, 0.5
	v_or_b32_e32 v5, 0x70000000, v5
	v_add_f32_e32 v6, -0.5, v6
	v_mul_f32_e32 v5, 0x7800000, v5
	v_cmp_gt_u32_e32 vcc, s3, v3
	v_bfe_i32 v4, v4, 0, 16
	v_cndmask_b32_e32 v3, v5, v6, vcc
	s_brev_b32 s2, 1
	v_and_or_b32 v3, v4, s2, v3
	v_cvt_f16_f32_e32 v4, v3
.LBB23_901:
	s_mov_b64 s[2:3], 0
	s_mov_b64 s[8:9], -1
.LBB23_902:
	s_andn2_b64 vcc, exec, s[2:3]
	s_mov_b64 s[2:3], 0
	s_cbranch_vccnz .LBB23_913
; %bb.903:
	s_cmp_gt_i32 s14, 14
	s_cbranch_scc0 .LBB23_906
; %bb.904:
	s_cmp_eq_u32 s14, 15
	s_cbranch_scc0 .LBB23_909
; %bb.905:
	global_load_ushort v3, v[1:2], off
	s_mov_b64 s[0:1], 0
	s_mov_b64 s[8:9], -1
	s_waitcnt vmcnt(0)
	v_lshlrev_b32_e32 v3, 16, v3
	v_cvt_f16_f32_e32 v4, v3
	s_branch .LBB23_910
.LBB23_906:
	s_mov_b64 s[10:11], -1
                                        ; implicit-def: $vgpr4
	s_branch .LBB23_911
.LBB23_907:
	s_or_saveexec_b64 s[8:9], s[8:9]
	v_mov_b32_e32 v4, 0x7e00
	s_xor_b64 exec, exec, s[8:9]
	s_cbranch_execz .LBB23_888
.LBB23_908:
	v_cmp_ne_u16_e32 vcc, 0, v3
	s_andn2_b64 s[2:3], s[2:3], exec
	s_and_b64 s[10:11], vcc, exec
	s_or_b64 s[2:3], s[2:3], s[10:11]
	v_mov_b32_e32 v4, v3
	s_or_b64 exec, exec, s[8:9]
	s_and_saveexec_b64 s[8:9], s[2:3]
	s_cbranch_execnz .LBB23_889
	s_branch .LBB23_890
.LBB23_909:
	s_mov_b64 s[0:1], -1
                                        ; implicit-def: $vgpr4
.LBB23_910:
	s_mov_b64 s[10:11], 0
.LBB23_911:
	s_and_b64 vcc, exec, s[10:11]
	s_cbranch_vccz .LBB23_913
; %bb.912:
	s_cmp_lg_u32 s14, 11
	s_cselect_b64 s[10:11], -1, 0
	s_andn2_b64 s[0:1], s[0:1], exec
	s_and_b64 s[10:11], s[10:11], exec
	s_mov_b64 s[2:3], -1
	s_or_b64 s[0:1], s[0:1], s[10:11]
.LBB23_913:
	s_mov_b64 s[12:13], 0
.LBB23_914:
	s_and_b64 s[10:11], s[8:9], exec
	s_and_b64 s[8:9], s[12:13], exec
	s_andn2_b64 s[12:13], s[66:67], exec
	s_and_b64 s[0:1], s[0:1], exec
	s_and_b64 s[2:3], s[2:3], exec
	s_or_b64 s[12:13], s[12:13], s[0:1]
.LBB23_915:
	s_or_b64 exec, exec, s[70:71]
	s_and_b64 s[0:1], s[2:3], exec
	s_andn2_b64 s[2:3], s[66:67], exec
	s_and_b64 s[12:13], s[12:13], exec
	s_and_b64 s[10:11], s[10:11], exec
	;; [unrolled: 1-line block ×3, first 2 shown]
	s_or_b64 s[66:67], s[2:3], s[12:13]
.LBB23_916:
	s_or_b64 exec, exec, s[64:65]
	s_andn2_b64 s[2:3], s[60:61], exec
	s_and_b64 s[12:13], s[68:69], exec
	s_or_b64 s[60:61], s[2:3], s[12:13]
	s_and_b64 s[2:3], s[0:1], exec
	s_andn2_b64 s[0:1], s[58:59], exec
	s_and_b64 s[12:13], s[66:67], exec
	s_and_b64 s[10:11], s[10:11], exec
	;; [unrolled: 1-line block ×3, first 2 shown]
	s_or_b64 s[58:59], s[0:1], s[12:13]
.LBB23_917:
	s_or_b64 exec, exec, s[62:63]
	s_andn2_b64 s[0:1], s[52:53], exec
	s_and_b64 s[12:13], s[60:61], exec
	s_or_b64 s[52:53], s[0:1], s[12:13]
	s_and_b64 s[0:1], s[10:11], exec
	s_and_b64 s[10:11], s[8:9], exec
	;; [unrolled: 1-line block ×3, first 2 shown]
	s_andn2_b64 s[2:3], s[54:55], exec
	s_and_b64 s[8:9], s[58:59], exec
	s_or_b64 s[54:55], s[2:3], s[8:9]
	s_or_b64 exec, exec, s[56:57]
	s_mov_b64 s[2:3], 0
	s_and_saveexec_b64 s[8:9], s[54:55]
	s_cbranch_execz .LBB23_274
.LBB23_918:
	s_mov_b64 s[2:3], exec
	s_andn2_b64 s[60:61], s[60:61], exec
	s_trap 2
	s_or_b64 exec, exec, s[8:9]
	s_and_saveexec_b64 s[8:9], s[60:61]
	s_xor_b64 s[8:9], exec, s[8:9]
	s_cbranch_execnz .LBB23_275
.LBB23_919:
	s_or_b64 exec, exec, s[8:9]
	s_and_saveexec_b64 s[8:9], s[10:11]
	s_cbranch_execz .LBB23_965
.LBB23_920:
	s_sext_i32_i16 s10, s75
	s_cmp_lt_i32 s10, 5
	s_cbranch_scc1 .LBB23_925
; %bb.921:
	s_cmp_lt_i32 s10, 8
	s_cbranch_scc1 .LBB23_926
; %bb.922:
	;; [unrolled: 3-line block ×3, first 2 shown]
	s_cmp_gt_i32 s10, 9
	s_cbranch_scc0 .LBB23_928
; %bb.924:
	global_load_dwordx2 v[3:4], v[1:2], off
	s_movk_i32 s10, 0x1ff
	s_movk_i32 s11, 0xffe
	v_mov_b32_e32 v5, 0x7c00
	v_mov_b32_e32 v6, 0x7e00
	s_movk_i32 s12, 0x40f
	s_mov_b32 s13, 0x8000
	s_waitcnt vmcnt(0)
	v_and_or_b32 v3, v4, s10, v3
	v_cmp_ne_u32_e32 vcc, 0, v3
	v_lshrrev_b32_e32 v7, 8, v4
	v_bfe_u32 v8, v4, 20, 11
	v_cndmask_b32_e64 v3, 0, 1, vcc
	v_sub_u32_e32 v9, 0x3f1, v8
	v_and_or_b32 v3, v7, s11, v3
	v_add_u32_e32 v8, 0xfffffc10, v8
	v_med3_i32 v7, v9, 0, 13
	v_or_b32_e32 v9, 0x1000, v3
	v_cmp_ne_u32_e32 vcc, 0, v3
	v_lshl_or_b32 v10, v8, 12, v3
	v_cndmask_b32_e32 v3, v5, v6, vcc
	v_lshrrev_b32_e32 v6, v7, v9
	v_lshlrev_b32_e32 v7, v7, v6
	v_cmp_ne_u32_e32 vcc, v7, v9
	v_cndmask_b32_e64 v7, 0, 1, vcc
	v_or_b32_e32 v6, v6, v7
	v_cmp_gt_i32_e32 vcc, 1, v8
	v_cndmask_b32_e32 v6, v10, v6, vcc
	v_and_b32_e32 v7, 7, v6
	v_cmp_lt_i32_e32 vcc, 5, v7
	v_cndmask_b32_e64 v9, 0, 1, vcc
	v_cmp_eq_u32_e32 vcc, 3, v7
	v_cndmask_b32_e64 v7, 0, 1, vcc
	v_lshrrev_b32_e32 v6, 2, v6
	v_or_b32_e32 v7, v7, v9
	v_add_u32_e32 v6, v6, v7
	v_cmp_gt_i32_e32 vcc, 31, v8
	v_cndmask_b32_e32 v5, v5, v6, vcc
	v_cmp_eq_u32_e32 vcc, s12, v8
	v_lshrrev_b32_e32 v4, 16, v4
	v_cndmask_b32_e32 v3, v5, v3, vcc
	v_and_or_b32 v4, v4, s13, v3
	s_mov_b64 s[10:11], 0
	s_branch .LBB23_929
.LBB23_925:
                                        ; implicit-def: $vgpr4
	s_branch .LBB23_946
.LBB23_926:
                                        ; implicit-def: $vgpr4
	s_branch .LBB23_935
.LBB23_927:
	s_mov_b64 s[10:11], -1
                                        ; implicit-def: $vgpr4
	s_branch .LBB23_932
.LBB23_928:
	s_mov_b64 s[10:11], -1
                                        ; implicit-def: $vgpr4
.LBB23_929:
	s_andn2_b64 vcc, exec, s[10:11]
	s_cbranch_vccnz .LBB23_931
; %bb.930:
	global_load_dword v3, v[1:2], off
	s_waitcnt vmcnt(0)
	v_cvt_f16_f32_e32 v4, v3
.LBB23_931:
	s_mov_b64 s[10:11], 0
.LBB23_932:
	s_andn2_b64 vcc, exec, s[10:11]
	s_cbranch_vccnz .LBB23_934
; %bb.933:
	global_load_dword v4, v[1:2], off
.LBB23_934:
	s_cbranch_execnz .LBB23_945
.LBB23_935:
	s_sext_i32_i16 s10, s75
	s_cmp_lt_i32 s10, 6
	s_cbranch_scc1 .LBB23_938
; %bb.936:
	s_cmp_gt_i32 s10, 6
	s_cbranch_scc0 .LBB23_939
; %bb.937:
	global_load_dwordx2 v[3:4], v[1:2], off
	s_movk_i32 s10, 0x1ff
	s_movk_i32 s11, 0xffe
	v_mov_b32_e32 v5, 0x7c00
	v_mov_b32_e32 v6, 0x7e00
	s_movk_i32 s12, 0x40f
	s_mov_b32 s13, 0x8000
	s_waitcnt vmcnt(0)
	v_and_or_b32 v3, v4, s10, v3
	v_cmp_ne_u32_e32 vcc, 0, v3
	v_lshrrev_b32_e32 v7, 8, v4
	v_bfe_u32 v8, v4, 20, 11
	v_cndmask_b32_e64 v3, 0, 1, vcc
	v_sub_u32_e32 v9, 0x3f1, v8
	v_and_or_b32 v3, v7, s11, v3
	v_add_u32_e32 v8, 0xfffffc10, v8
	v_med3_i32 v7, v9, 0, 13
	v_or_b32_e32 v9, 0x1000, v3
	v_cmp_ne_u32_e32 vcc, 0, v3
	v_lshl_or_b32 v10, v8, 12, v3
	v_cndmask_b32_e32 v3, v5, v6, vcc
	v_lshrrev_b32_e32 v6, v7, v9
	v_lshlrev_b32_e32 v7, v7, v6
	v_cmp_ne_u32_e32 vcc, v7, v9
	v_cndmask_b32_e64 v7, 0, 1, vcc
	v_or_b32_e32 v6, v6, v7
	v_cmp_gt_i32_e32 vcc, 1, v8
	v_cndmask_b32_e32 v6, v10, v6, vcc
	v_and_b32_e32 v7, 7, v6
	v_cmp_lt_i32_e32 vcc, 5, v7
	v_cndmask_b32_e64 v9, 0, 1, vcc
	v_cmp_eq_u32_e32 vcc, 3, v7
	v_cndmask_b32_e64 v7, 0, 1, vcc
	v_lshrrev_b32_e32 v6, 2, v6
	v_or_b32_e32 v7, v7, v9
	v_add_u32_e32 v6, v6, v7
	v_cmp_gt_i32_e32 vcc, 31, v8
	v_cndmask_b32_e32 v5, v5, v6, vcc
	v_cmp_eq_u32_e32 vcc, s12, v8
	v_lshrrev_b32_e32 v4, 16, v4
	v_cndmask_b32_e32 v3, v5, v3, vcc
	v_and_or_b32 v4, v4, s13, v3
	s_mov_b64 s[10:11], 0
	s_branch .LBB23_940
.LBB23_938:
	s_mov_b64 s[10:11], -1
                                        ; implicit-def: $vgpr4
	s_branch .LBB23_943
.LBB23_939:
	s_mov_b64 s[10:11], -1
                                        ; implicit-def: $vgpr4
.LBB23_940:
	s_andn2_b64 vcc, exec, s[10:11]
	s_cbranch_vccnz .LBB23_942
; %bb.941:
	global_load_dword v3, v[1:2], off
	s_waitcnt vmcnt(0)
	v_cvt_f16_f32_e32 v4, v3
.LBB23_942:
	s_mov_b64 s[10:11], 0
.LBB23_943:
	s_andn2_b64 vcc, exec, s[10:11]
	s_cbranch_vccnz .LBB23_945
; %bb.944:
	global_load_ushort v4, v[1:2], off
.LBB23_945:
	s_cbranch_execnz .LBB23_964
.LBB23_946:
	s_sext_i32_i16 s10, s75
	s_cmp_lt_i32 s10, 2
	s_cbranch_scc1 .LBB23_950
; %bb.947:
	s_cmp_lt_i32 s10, 3
	s_cbranch_scc1 .LBB23_951
; %bb.948:
	s_cmp_gt_i32 s10, 3
	s_cbranch_scc0 .LBB23_952
; %bb.949:
	global_load_dwordx2 v[3:4], v[1:2], off
	s_mov_b64 s[10:11], 0
	s_waitcnt vmcnt(0)
	v_xor_b32_e32 v6, v3, v4
	v_ffbh_i32_e32 v5, v4
	v_ashrrev_i32_e32 v6, 31, v6
	v_add_u32_e32 v5, -1, v5
	v_add_u32_e32 v6, 32, v6
	v_min_u32_e32 v5, v5, v6
	v_lshlrev_b64 v[3:4], v5, v[3:4]
	v_min_u32_e32 v3, 1, v3
	v_or_b32_e32 v3, v4, v3
	v_cvt_f32_i32_e32 v3, v3
	v_sub_u32_e32 v4, 32, v5
	v_ldexp_f32 v3, v3, v4
	v_cvt_f16_f32_e32 v4, v3
	s_branch .LBB23_953
.LBB23_950:
                                        ; implicit-def: $vgpr4
	s_branch .LBB23_959
.LBB23_951:
	s_mov_b64 s[10:11], -1
                                        ; implicit-def: $vgpr4
	s_branch .LBB23_956
.LBB23_952:
	s_mov_b64 s[10:11], -1
                                        ; implicit-def: $vgpr4
.LBB23_953:
	s_andn2_b64 vcc, exec, s[10:11]
	s_cbranch_vccnz .LBB23_955
; %bb.954:
	global_load_dword v3, v[1:2], off
	s_waitcnt vmcnt(0)
	v_cvt_f32_i32_e32 v3, v3
	v_cvt_f16_f32_e32 v4, v3
.LBB23_955:
	s_mov_b64 s[10:11], 0
.LBB23_956:
	s_andn2_b64 vcc, exec, s[10:11]
	s_cbranch_vccnz .LBB23_958
; %bb.957:
	global_load_ushort v3, v[1:2], off
	s_waitcnt vmcnt(0)
	v_cvt_f16_i16_e32 v4, v3
.LBB23_958:
	s_cbranch_execnz .LBB23_964
.LBB23_959:
	s_sext_i32_i16 s10, s75
	s_cmp_gt_i32 s10, 0
	s_cbranch_scc0 .LBB23_961
; %bb.960:
	global_load_sbyte v3, v[1:2], off
	s_mov_b64 s[10:11], 0
	s_waitcnt vmcnt(0)
	v_cvt_f16_i16_e32 v4, v3
	s_branch .LBB23_962
.LBB23_961:
	s_mov_b64 s[10:11], -1
                                        ; implicit-def: $vgpr4
.LBB23_962:
	s_andn2_b64 vcc, exec, s[10:11]
	s_cbranch_vccnz .LBB23_964
; %bb.963:
	global_load_ubyte v1, v[1:2], off
	s_waitcnt vmcnt(0)
	v_cvt_f16_u16_e32 v4, v1
.LBB23_964:
	s_or_b64 s[0:1], s[0:1], exec
.LBB23_965:
	s_or_b64 exec, exec, s[8:9]
	s_mov_b64 s[12:13], 0
	s_mov_b64 s[10:11], 0
                                        ; implicit-def: $sgpr18
                                        ; implicit-def: $vgpr1_vgpr2
                                        ; implicit-def: $vgpr3
	s_and_saveexec_b64 s[8:9], s[0:1]
	s_cbranch_execz .LBB23_983
; %bb.966:
	s_waitcnt vmcnt(0)
	v_cmp_nge_f16_e64 s[0:1], v4, -s74
	v_cmp_nge_f16_e32 vcc, s74, v4
	s_or_b64 vcc, s[0:1], vcc
	v_cndmask_b32_e32 v3, 0, v4, vcc
	v_mov_b32_e32 v2, s25
	s_and_b32 s18, s73, 0xff
	v_add_co_u32_e32 v1, vcc, s24, v0
	s_cmp_lt_i32 s18, 11
	v_addc_co_u32_e32 v2, vcc, 0, v2, vcc
	s_cbranch_scc1 .LBB23_986
; %bb.967:
	s_and_b32 s19, 0xffff, s18
	s_mov_b64 s[12:13], -1
	s_cmp_gt_i32 s19, 25
	s_mov_b64 s[0:1], s[52:53]
	s_cbranch_scc0 .LBB23_1004
; %bb.968:
	s_mov_b64 s[10:11], -1
	s_cmp_gt_i32 s19, 28
	s_mov_b64 s[0:1], s[52:53]
	s_cbranch_scc0 .LBB23_988
; %bb.969:
	s_cmp_gt_i32 s19, 43
	s_mov_b64 s[0:1], s[52:53]
	s_cbranch_scc0 .LBB23_980
; %bb.970:
	;; [unrolled: 4-line block ×3, first 2 shown]
	s_cmp_eq_u32 s19, 46
	s_mov_b64 s[0:1], -1
	s_cbranch_scc0 .LBB23_973
; %bb.972:
	v_cvt_f32_f16_e32 v0, v3
	s_movk_i32 s0, 0x7fff
	v_cmp_o_f16_e32 vcc, v3, v3
	v_mov_b32_e32 v4, 0x7fc0
	v_bfe_u32 v5, v0, 16, 1
	v_add3_u32 v0, v0, v5, s0
	v_cndmask_b32_sdwa v0, v4, v0, vcc dst_sel:DWORD dst_unused:UNUSED_PAD src0_sel:DWORD src1_sel:WORD_1
	global_store_dword v[1:2], v0, off
	s_mov_b64 s[0:1], 0
.LBB23_973:
	s_mov_b64 s[10:11], 0
.LBB23_974:
	s_and_b64 vcc, exec, s[10:11]
	s_cbranch_vccz .LBB23_979
; %bb.975:
	s_cmp_eq_u32 s19, 44
	s_mov_b64 s[0:1], -1
	s_cbranch_scc0 .LBB23_979
; %bb.976:
	v_cvt_f32_f16_e32 v0, v3
	s_movk_i32 s0, 0xff
	v_mov_b32_e32 v5, 0xff
	v_bfe_u32 v4, v0, 23, 8
	v_cmp_ne_u32_e32 vcc, s0, v4
	s_and_saveexec_b64 s[10:11], vcc
; %bb.977:
	s_mov_b32 s0, 0x3fffff
	v_lshrrev_b32_e32 v5, 23, v0
	v_and_b32_e32 v6, 0x400000, v0
	v_and_or_b32 v0, v0, s0, v4
	v_cmp_ne_u32_e32 vcc, 0, v6
	v_cmp_ne_u32_e64 s[0:1], 0, v0
	s_and_b64 s[0:1], vcc, s[0:1]
	v_cndmask_b32_e64 v0, 0, 1, s[0:1]
	v_add_u32_e32 v5, v5, v0
; %bb.978:
	s_or_b64 exec, exec, s[10:11]
	s_mov_b64 s[0:1], 0
	global_store_byte v[1:2], v5, off
.LBB23_979:
	s_mov_b64 s[10:11], 0
.LBB23_980:
	s_and_b64 vcc, exec, s[10:11]
	s_cbranch_vccz .LBB23_987
; %bb.981:
	s_cmp_eq_u32 s19, 29
	s_mov_b64 s[0:1], -1
	s_cbranch_scc0 .LBB23_987
; %bb.982:
	v_cvt_f32_f16_e32 v0, v3
	v_mov_b32_e32 v5, 0
	s_mov_b64 s[0:1], 0
	s_mov_b64 s[10:11], 0
	v_cvt_u32_f32_e32 v4, v0
	global_store_dwordx2 v[1:2], v[4:5], off
	s_branch .LBB23_988
.LBB23_983:
	s_or_b64 exec, exec, s[8:9]
	s_and_saveexec_b64 s[0:1], s[52:53]
	s_cbranch_execnz .LBB23_1046
.LBB23_984:
	s_or_b64 exec, exec, s[0:1]
	s_and_saveexec_b64 s[0:1], s[12:13]
	s_xor_b64 s[0:1], exec, s[0:1]
	s_cbranch_execz .LBB23_1047
.LBB23_985:
	s_waitcnt vmcnt(0)
	v_and_b32_e32 v0, 0x7fff, v3
	v_cmp_ne_u16_e32 vcc, 0, v0
	v_cndmask_b32_e64 v0, 0, 1, vcc
	global_store_byte v[1:2], v0, off
	s_or_b64 exec, exec, s[0:1]
	s_and_saveexec_b64 s[0:1], s[10:11]
	s_xor_b64 s[0:1], exec, s[0:1]
	s_cbranch_execz .LBB23_1085
	s_branch .LBB23_1048
.LBB23_986:
	s_mov_b64 s[10:11], -1
	s_mov_b64 s[0:1], s[52:53]
	s_branch .LBB23_1045
.LBB23_987:
	s_mov_b64 s[10:11], 0
.LBB23_988:
	s_and_b64 vcc, exec, s[10:11]
	s_cbranch_vccz .LBB23_1003
; %bb.989:
	s_cmp_lt_i32 s19, 27
	s_mov_b64 s[10:11], -1
	s_cbranch_scc1 .LBB23_995
; %bb.990:
	s_cmp_gt_i32 s19, 27
	s_cbranch_scc0 .LBB23_992
; %bb.991:
	v_cvt_f32_f16_e32 v0, v3
	s_mov_b64 s[10:11], 0
	v_cvt_u32_f32_e32 v0, v0
	global_store_dword v[1:2], v0, off
.LBB23_992:
	s_andn2_b64 vcc, exec, s[10:11]
	s_cbranch_vccnz .LBB23_994
; %bb.993:
	v_cvt_u16_f16_e32 v0, v3
	global_store_short v[1:2], v0, off
.LBB23_994:
	s_mov_b64 s[10:11], 0
.LBB23_995:
	s_andn2_b64 vcc, exec, s[10:11]
	s_cbranch_vccnz .LBB23_1003
; %bb.996:
	v_cvt_f32_f16_e32 v0, v3
	s_mov_b32 s10, 0x43800000
	v_mov_b32_e32 v5, 0x80
	v_and_b32_e32 v4, 0x7fffffff, v0
	v_cmp_gt_u32_e32 vcc, s10, v4
	s_and_saveexec_b64 s[10:11], vcc
	s_cbranch_execz .LBB23_1002
; %bb.997:
	s_mov_b32 s12, 0x3bffffff
	v_cmp_lt_u32_e32 vcc, s12, v4
	s_mov_b64 s[12:13], 0
                                        ; implicit-def: $vgpr4
	s_and_saveexec_b64 s[14:15], vcc
	s_xor_b64 s[14:15], exec, s[14:15]
	s_cbranch_execz .LBB23_1156
; %bb.998:
	v_bfe_u32 v4, v0, 20, 1
	s_mov_b32 s16, 0x487ffff
	v_add3_u32 v4, v0, v4, s16
	s_mov_b64 s[12:13], exec
	v_lshrrev_b32_e32 v4, 20, v4
	s_andn2_saveexec_b64 s[14:15], s[14:15]
	s_cbranch_execnz .LBB23_1157
.LBB23_999:
	s_or_b64 exec, exec, s[14:15]
	v_mov_b32_e32 v5, 0
	s_and_saveexec_b64 s[14:15], s[12:13]
.LBB23_1000:
	v_lshrrev_b32_e32 v0, 24, v0
	s_movk_i32 s12, 0x80
	v_and_or_b32 v5, v0, s12, v4
.LBB23_1001:
	s_or_b64 exec, exec, s[14:15]
.LBB23_1002:
	s_or_b64 exec, exec, s[10:11]
	global_store_byte v[1:2], v5, off
.LBB23_1003:
	s_mov_b64 s[12:13], 0
.LBB23_1004:
	s_mov_b64 s[10:11], 0
	s_and_b64 vcc, exec, s[12:13]
	s_cbranch_vccz .LBB23_1044
; %bb.1005:
	s_cmp_gt_i32 s19, 22
	s_mov_b64 s[12:13], -1
	s_cbranch_scc0 .LBB23_1037
; %bb.1006:
	s_cmp_lt_i32 s19, 24
	s_cbranch_scc1 .LBB23_1026
; %bb.1007:
	s_cmp_gt_i32 s19, 24
	s_cbranch_scc0 .LBB23_1015
; %bb.1008:
	v_cvt_f32_f16_e32 v0, v3
	s_mov_b32 s12, 0x47800000
	v_mov_b32_e32 v5, 0x80
	v_and_b32_e32 v4, 0x7fffffff, v0
	v_cmp_gt_u32_e32 vcc, s12, v4
	s_and_saveexec_b64 s[12:13], vcc
	s_cbranch_execz .LBB23_1014
; %bb.1009:
	s_mov_b32 s14, 0x37ffffff
	v_cmp_lt_u32_e32 vcc, s14, v4
	s_mov_b64 s[14:15], 0
                                        ; implicit-def: $vgpr4
	s_and_saveexec_b64 s[16:17], vcc
	s_xor_b64 s[16:17], exec, s[16:17]
	s_cbranch_execz .LBB23_1281
; %bb.1010:
	v_bfe_u32 v4, v0, 21, 1
	s_mov_b32 s20, 0x88fffff
	v_add3_u32 v4, v0, v4, s20
	s_mov_b64 s[14:15], exec
	v_lshrrev_b32_e32 v4, 21, v4
	s_andn2_saveexec_b64 s[16:17], s[16:17]
	s_cbranch_execnz .LBB23_1282
.LBB23_1011:
	s_or_b64 exec, exec, s[16:17]
	v_mov_b32_e32 v5, 0
	s_and_saveexec_b64 s[16:17], s[14:15]
.LBB23_1012:
	v_lshrrev_b32_e32 v0, 24, v0
	s_movk_i32 s14, 0x80
	v_and_or_b32 v5, v0, s14, v4
.LBB23_1013:
	s_or_b64 exec, exec, s[16:17]
.LBB23_1014:
	s_or_b64 exec, exec, s[12:13]
	s_mov_b64 s[12:13], 0
	global_store_byte v[1:2], v5, off
.LBB23_1015:
	s_and_b64 vcc, exec, s[12:13]
	s_cbranch_vccz .LBB23_1025
; %bb.1016:
	v_cvt_f32_f16_e32 v0, v3
	s_mov_b32 s12, 0x43f00000
                                        ; implicit-def: $vgpr4
	v_and_b32_e32 v5, 0x7fffffff, v0
	v_cmp_gt_u32_e32 vcc, s12, v5
	s_and_saveexec_b64 s[12:13], vcc
	s_xor_b64 s[12:13], exec, s[12:13]
	s_cbranch_execz .LBB23_1022
; %bb.1017:
	s_mov_b32 s14, 0x3c7fffff
	v_cmp_lt_u32_e32 vcc, s14, v5
                                        ; implicit-def: $vgpr4
	s_and_saveexec_b64 s[14:15], vcc
	s_xor_b64 s[14:15], exec, s[14:15]
; %bb.1018:
	v_bfe_u32 v4, v0, 20, 1
	s_mov_b32 s16, 0x407ffff
	v_add3_u32 v4, v0, v4, s16
	v_lshrrev_b32_e32 v5, 20, v4
	v_and_b32_e32 v4, 0xff00000, v4
	s_mov_b32 s16, 0x7f00000
	v_mov_b32_e32 v6, 0x7e
	v_cmp_ne_u32_e32 vcc, s16, v4
	v_cndmask_b32_e32 v4, v6, v5, vcc
; %bb.1019:
	s_andn2_saveexec_b64 s[14:15], s[14:15]
; %bb.1020:
	s_mov_b32 s16, 0x46800000
	v_add_f32_e64 v4, |v0|, s16
; %bb.1021:
	s_or_b64 exec, exec, s[14:15]
                                        ; implicit-def: $vgpr5
.LBB23_1022:
	s_andn2_saveexec_b64 s[12:13], s[12:13]
; %bb.1023:
	s_mov_b32 s14, 0x7f800000
	v_mov_b32_e32 v4, 0x7e
	v_mov_b32_e32 v6, 0x7f
	v_cmp_lt_u32_e32 vcc, s14, v5
	v_cndmask_b32_e32 v4, v4, v6, vcc
; %bb.1024:
	s_or_b64 exec, exec, s[12:13]
	v_lshrrev_b32_e32 v0, 24, v0
	s_movk_i32 s12, 0x80
	v_and_or_b32 v0, v0, s12, v4
	global_store_byte v[1:2], v0, off
.LBB23_1025:
	s_mov_b64 s[12:13], 0
.LBB23_1026:
	s_andn2_b64 vcc, exec, s[12:13]
	s_cbranch_vccnz .LBB23_1036
; %bb.1027:
	v_cvt_f32_f16_e32 v0, v3
	s_mov_b32 s12, 0x47800000
                                        ; implicit-def: $vgpr4
	v_and_b32_e32 v5, 0x7fffffff, v0
	v_cmp_gt_u32_e32 vcc, s12, v5
	s_and_saveexec_b64 s[12:13], vcc
	s_xor_b64 s[12:13], exec, s[12:13]
	s_cbranch_execz .LBB23_1033
; %bb.1028:
	s_mov_b32 s14, 0x387fffff
	v_cmp_lt_u32_e32 vcc, s14, v5
                                        ; implicit-def: $vgpr4
	s_and_saveexec_b64 s[14:15], vcc
	s_xor_b64 s[14:15], exec, s[14:15]
; %bb.1029:
	v_bfe_u32 v4, v0, 21, 1
	s_mov_b32 s16, 0x80fffff
	v_add3_u32 v4, v0, v4, s16
	v_lshrrev_b32_e32 v4, 21, v4
; %bb.1030:
	s_andn2_saveexec_b64 s[14:15], s[14:15]
; %bb.1031:
	s_mov_b32 s16, 0x43000000
	v_add_f32_e64 v4, |v0|, s16
; %bb.1032:
	s_or_b64 exec, exec, s[14:15]
                                        ; implicit-def: $vgpr5
.LBB23_1033:
	s_andn2_saveexec_b64 s[12:13], s[12:13]
; %bb.1034:
	s_mov_b32 s14, 0x7f800000
	v_mov_b32_e32 v4, 0x7c
	v_mov_b32_e32 v6, 0x7f
	v_cmp_lt_u32_e32 vcc, s14, v5
	v_cndmask_b32_e32 v4, v4, v6, vcc
; %bb.1035:
	s_or_b64 exec, exec, s[12:13]
	v_lshrrev_b32_e32 v0, 24, v0
	s_movk_i32 s12, 0x80
	v_and_or_b32 v0, v0, s12, v4
	global_store_byte v[1:2], v0, off
.LBB23_1036:
	s_mov_b64 s[12:13], 0
.LBB23_1037:
	s_andn2_b64 vcc, exec, s[12:13]
	s_mov_b64 s[12:13], 0
	s_cbranch_vccnz .LBB23_1045
; %bb.1038:
	s_cmp_gt_i32 s19, 14
	s_mov_b64 s[14:15], -1
	s_cbranch_scc0 .LBB23_1042
; %bb.1039:
	s_cmp_eq_u32 s19, 15
	s_mov_b64 s[0:1], -1
	s_cbranch_scc0 .LBB23_1041
; %bb.1040:
	v_cvt_f32_f16_e32 v0, v3
	s_movk_i32 s0, 0x7fff
	v_cmp_o_f16_e32 vcc, v3, v3
	v_mov_b32_e32 v4, 0x7fc0
	v_bfe_u32 v5, v0, 16, 1
	v_add3_u32 v0, v0, v5, s0
	v_cndmask_b32_sdwa v0, v4, v0, vcc dst_sel:DWORD dst_unused:UNUSED_PAD src0_sel:DWORD src1_sel:WORD_1
	global_store_short v[1:2], v0, off
	s_mov_b64 s[0:1], 0
.LBB23_1041:
	s_mov_b64 s[14:15], 0
.LBB23_1042:
	s_and_b64 vcc, exec, s[14:15]
	s_cbranch_vccz .LBB23_1045
; %bb.1043:
	s_cmp_lg_u32 s19, 11
	s_cselect_b64 s[14:15], -1, 0
	s_andn2_b64 s[0:1], s[0:1], exec
	s_and_b64 s[14:15], s[14:15], exec
	s_mov_b64 s[12:13], -1
	s_or_b64 s[0:1], s[0:1], s[14:15]
	s_branch .LBB23_1045
.LBB23_1044:
	s_mov_b64 s[12:13], 0
.LBB23_1045:
	s_andn2_b64 s[14:15], s[52:53], exec
	s_and_b64 s[0:1], s[0:1], exec
	s_and_b64 s[10:11], s[10:11], exec
	;; [unrolled: 1-line block ×3, first 2 shown]
	s_or_b64 s[52:53], s[14:15], s[0:1]
	s_or_b64 exec, exec, s[8:9]
	s_and_saveexec_b64 s[0:1], s[52:53]
	s_cbranch_execz .LBB23_984
.LBB23_1046:
	s_or_b64 s[2:3], s[2:3], exec
	s_andn2_b64 s[12:13], s[12:13], exec
	s_trap 2
	s_or_b64 exec, exec, s[0:1]
	s_and_saveexec_b64 s[0:1], s[12:13]
	s_xor_b64 s[0:1], exec, s[0:1]
	s_cbranch_execnz .LBB23_985
.LBB23_1047:
	s_or_b64 exec, exec, s[0:1]
	s_and_saveexec_b64 s[0:1], s[10:11]
	s_xor_b64 s[0:1], exec, s[0:1]
	s_cbranch_execz .LBB23_1085
.LBB23_1048:
	s_sext_i32_i16 s10, s18
	s_cmp_lt_i32 s10, 5
	s_mov_b64 s[8:9], -1
	s_cbranch_scc1 .LBB23_1069
; %bb.1049:
	s_cmp_lt_i32 s10, 8
	s_cbranch_scc1 .LBB23_1059
; %bb.1050:
	s_cmp_lt_i32 s10, 9
	s_cbranch_scc1 .LBB23_1056
; %bb.1051:
	s_cmp_gt_i32 s10, 9
	s_cbranch_scc0 .LBB23_1053
; %bb.1052:
	s_waitcnt vmcnt(0)
	v_cvt_f32_f16_e32 v0, v3
	v_mov_b32_e32 v6, 0
	v_mov_b32_e32 v7, v6
	s_mov_b64 s[8:9], 0
	v_cvt_f64_f32_e32 v[4:5], v0
	global_store_dwordx4 v[1:2], v[4:7], off
.LBB23_1053:
	s_andn2_b64 vcc, exec, s[8:9]
	s_cbranch_vccnz .LBB23_1055
; %bb.1054:
	s_waitcnt vmcnt(0)
	v_cvt_f32_f16_e32 v4, v3
	v_mov_b32_e32 v5, 0
	global_store_dwordx2 v[1:2], v[4:5], off
.LBB23_1055:
	s_mov_b64 s[8:9], 0
.LBB23_1056:
	s_andn2_b64 vcc, exec, s[8:9]
	s_cbranch_vccnz .LBB23_1058
; %bb.1057:
	s_waitcnt vmcnt(0)
	v_and_b32_e32 v0, 0xffff, v3
	global_store_dword v[1:2], v0, off
.LBB23_1058:
	s_mov_b64 s[8:9], 0
.LBB23_1059:
	s_andn2_b64 vcc, exec, s[8:9]
	s_cbranch_vccnz .LBB23_1068
; %bb.1060:
	s_sext_i32_i16 s10, s18
	s_cmp_lt_i32 s10, 6
	s_mov_b64 s[8:9], -1
	s_cbranch_scc1 .LBB23_1066
; %bb.1061:
	s_cmp_gt_i32 s10, 6
	s_cbranch_scc0 .LBB23_1063
; %bb.1062:
	s_waitcnt vmcnt(0)
	v_cvt_f32_f16_e32 v0, v3
	s_mov_b64 s[8:9], 0
	v_cvt_f64_f32_e32 v[4:5], v0
	global_store_dwordx2 v[1:2], v[4:5], off
.LBB23_1063:
	s_andn2_b64 vcc, exec, s[8:9]
	s_cbranch_vccnz .LBB23_1065
; %bb.1064:
	s_waitcnt vmcnt(0)
	v_cvt_f32_f16_e32 v0, v3
	global_store_dword v[1:2], v0, off
.LBB23_1065:
	s_mov_b64 s[8:9], 0
.LBB23_1066:
	s_andn2_b64 vcc, exec, s[8:9]
	s_cbranch_vccnz .LBB23_1068
; %bb.1067:
	s_waitcnt vmcnt(0)
	global_store_short v[1:2], v3, off
.LBB23_1068:
	s_mov_b64 s[8:9], 0
.LBB23_1069:
	s_andn2_b64 vcc, exec, s[8:9]
	s_cbranch_vccnz .LBB23_1085
; %bb.1070:
	s_sext_i32_i16 s10, s18
	s_cmp_lt_i32 s10, 2
	s_mov_b64 s[8:9], -1
	s_cbranch_scc1 .LBB23_1080
; %bb.1071:
	s_cmp_lt_i32 s10, 3
	s_cbranch_scc1 .LBB23_1077
; %bb.1072:
	s_cmp_gt_i32 s10, 3
	s_cbranch_scc0 .LBB23_1074
; %bb.1073:
	s_waitcnt vmcnt(0)
	v_cvt_f32_f16_e32 v0, v3
	s_mov_b64 s[8:9], 0
	v_cvt_i32_f32_e32 v4, v0
	v_ashrrev_i32_e32 v5, 31, v4
	global_store_dwordx2 v[1:2], v[4:5], off
.LBB23_1074:
	s_andn2_b64 vcc, exec, s[8:9]
	s_cbranch_vccnz .LBB23_1076
; %bb.1075:
	s_waitcnt vmcnt(0)
	v_cvt_f32_f16_e32 v0, v3
	v_cvt_i32_f32_e32 v0, v0
	global_store_dword v[1:2], v0, off
.LBB23_1076:
	s_mov_b64 s[8:9], 0
.LBB23_1077:
	s_andn2_b64 vcc, exec, s[8:9]
	s_cbranch_vccnz .LBB23_1079
; %bb.1078:
	s_waitcnt vmcnt(0)
	v_cvt_i16_f16_e32 v0, v3
	global_store_short v[1:2], v0, off
.LBB23_1079:
	s_mov_b64 s[8:9], 0
.LBB23_1080:
	s_andn2_b64 vcc, exec, s[8:9]
	s_cbranch_vccnz .LBB23_1085
; %bb.1081:
	s_sext_i32_i16 s8, s18
	s_cmp_gt_i32 s8, 0
	s_mov_b64 s[8:9], -1
	s_cbranch_scc0 .LBB23_1083
; %bb.1082:
	s_waitcnt vmcnt(0)
	v_cvt_i16_f16_e32 v0, v3
	s_mov_b64 s[8:9], 0
	global_store_byte v[1:2], v0, off
.LBB23_1083:
	s_andn2_b64 vcc, exec, s[8:9]
	s_cbranch_vccnz .LBB23_1085
; %bb.1084:
	s_waitcnt vmcnt(0)
	v_cvt_f32_f16_e32 v0, v3
	v_cvt_i32_f32_e32 v0, v0
	global_store_byte v[1:2], v0, off
.LBB23_1085:
	s_or_b64 exec, exec, s[0:1]
	s_and_b64 s[28:29], s[2:3], exec
                                        ; implicit-def: $vgpr15
                                        ; implicit-def: $vgpr8
.LBB23_1086:
	s_or_saveexec_b64 s[30:31], s[42:43]
	s_mov_b64 s[0:1], 0
                                        ; implicit-def: $vgpr0_vgpr1
                                        ; implicit-def: $sgpr14
                                        ; implicit-def: $vgpr2
	s_xor_b64 exec, exec, s[30:31]
	s_cbranch_execz .LBB23_2090
; %bb.1087:
	v_cndmask_b32_e64 v0, 0, 1, s[40:41]
	v_cmp_ne_u32_e64 s[0:1], 1, v0
	s_andn2_b64 vcc, exec, s[40:41]
	s_cbranch_vccnz .LBB23_1093
; %bb.1088:
	s_cmp_lg_u32 s33, 0
	s_mov_b32 s36, 0
	s_cbranch_scc0 .LBB23_1094
; %bb.1089:
	s_min_u32 s37, s72, 15
	s_add_i32 s37, s37, 1
	s_cmp_eq_u32 s72, 2
	s_cbranch_scc1 .LBB23_1095
; %bb.1090:
	s_and_b32 s36, s37, 28
	s_add_u32 s2, s34, 0xc4
	s_addc_u32 s3, s35, 0
	v_mov_b32_e32 v13, 0
	s_mov_b32 s38, 0
	s_mov_b64 s[6:7], s[34:35]
	v_mov_b32_e32 v6, 0
	v_mov_b32_e32 v0, v8
.LBB23_1091:                            ; =>This Inner Loop Header: Depth=1
	s_load_dwordx8 s[16:23], s[6:7], 0x4
	s_load_dwordx4 s[24:27], s[6:7], 0x24
	s_load_dwordx8 s[8:15], s[2:3], 0x0
	s_add_u32 s6, s6, 48
	s_addc_u32 s7, s7, 0
	s_waitcnt lgkmcnt(0)
	v_mul_hi_u32 v1, s17, v0
	s_add_i32 s38, s38, 4
	s_add_u32 s2, s2, 32
	s_addc_u32 s3, s3, 0
	v_add_u32_e32 v1, v0, v1
	v_lshrrev_b32_e32 v1, s18, v1
	v_mul_lo_u32 v2, v1, s16
	s_waitcnt vmcnt(0)
	v_mul_hi_u32 v3, s20, v1
	s_cmp_lg_u32 s36, s38
	v_sub_u32_e32 v0, v0, v2
	v_add_u32_e32 v2, v1, v3
	v_mul_lo_u32 v3, v0, s8
	v_mul_lo_u32 v4, v0, s9
	v_lshrrev_b32_e32 v0, s21, v2
	v_mul_lo_u32 v2, v0, s19
	v_mul_hi_u32 v5, s23, v0
	v_sub_u32_e32 v1, v1, v2
	v_add_u32_e32 v2, v0, v5
	v_lshrrev_b32_e32 v2, s24, v2
	v_mul_hi_u32 v7, s26, v2
	v_mul_lo_u32 v9, v2, s22
	v_mul_lo_u32 v5, v1, s10
	;; [unrolled: 1-line block ×3, first 2 shown]
	v_sub_u32_e32 v9, v0, v9
	v_add_u32_e32 v0, v2, v7
	v_lshrrev_b32_e32 v0, s27, v0
	v_mul_lo_u32 v7, v0, s25
	v_mul_lo_u32 v10, v9, s12
	;; [unrolled: 1-line block ×3, first 2 shown]
	v_add3_u32 v3, v3, v6, v5
	v_sub_u32_e32 v2, v2, v7
	v_mul_lo_u32 v7, v2, s14
	v_mul_lo_u32 v2, v2, s15
	v_add3_u32 v1, v4, v13, v1
	v_add3_u32 v6, v10, v3, v7
	;; [unrolled: 1-line block ×3, first 2 shown]
	s_cbranch_scc1 .LBB23_1091
; %bb.1092:
	s_and_b32 s8, s37, 3
	s_cmp_eq_u32 s8, 0
	s_cbranch_scc0 .LBB23_1096
	s_branch .LBB23_1098
.LBB23_1093:
                                        ; implicit-def: $vgpr6
                                        ; implicit-def: $vgpr13
	s_branch .LBB23_1099
.LBB23_1094:
	v_mov_b32_e32 v6, 0
	v_mov_b32_e32 v13, 0
	s_branch .LBB23_1098
.LBB23_1095:
	v_mov_b32_e32 v6, 0
	v_mov_b32_e32 v13, 0
	v_mov_b32_e32 v0, v8
	s_and_b32 s8, s37, 3
	s_cmp_eq_u32 s8, 0
	s_cbranch_scc1 .LBB23_1098
.LBB23_1096:
	s_lshl_b32 s2, s36, 3
	s_add_u32 s2, s34, s2
	s_addc_u32 s3, s35, 0
	s_add_u32 s2, s2, 0xc4
	s_addc_u32 s3, s3, 0
	s_mul_i32 s6, s36, 12
	s_add_u32 s6, s34, s6
	s_addc_u32 s7, s35, 0
.LBB23_1097:                            ; =>This Inner Loop Header: Depth=1
	s_load_dwordx2 s[10:11], s[6:7], 0x4
	s_load_dword s9, s[6:7], 0xc
	s_load_dwordx2 s[12:13], s[2:3], 0x0
	s_add_u32 s6, s6, 12
	s_addc_u32 s7, s7, 0
	s_waitcnt lgkmcnt(0)
	v_mul_hi_u32 v1, s11, v0
	s_add_u32 s2, s2, 8
	s_addc_u32 s3, s3, 0
	s_add_i32 s8, s8, -1
	v_add_u32_e32 v1, v0, v1
	v_lshrrev_b32_e32 v1, s9, v1
	v_mul_lo_u32 v2, v1, s10
	s_cmp_lg_u32 s8, 0
	v_sub_u32_e32 v0, v0, v2
	v_mad_u64_u32 v[6:7], s[10:11], v0, s12, v[6:7]
	v_mad_u64_u32 v[13:14], s[10:11], v0, s13, v[13:14]
	v_mov_b32_e32 v0, v1
	s_cbranch_scc1 .LBB23_1097
.LBB23_1098:
	s_cbranch_execnz .LBB23_1101
.LBB23_1099:
	s_load_dwordx4 s[8:11], s[34:35], 0x4
	s_load_dwordx2 s[2:3], s[34:35], 0xc4
	s_cmp_lt_u32 s33, 2
	s_waitcnt lgkmcnt(0)
	v_mul_hi_u32 v0, s9, v8
	v_add_u32_e32 v0, v8, v0
	v_lshrrev_b32_e32 v0, s10, v0
	v_mul_lo_u32 v1, v0, s8
	v_sub_u32_e32 v1, v8, v1
	v_mul_lo_u32 v6, v1, s2
	v_mul_lo_u32 v13, v1, s3
	s_cbranch_scc1 .LBB23_1101
; %bb.1100:
	s_load_dwordx4 s[8:11], s[34:35], 0x10
	s_load_dwordx2 s[2:3], s[34:35], 0xcc
	s_waitcnt lgkmcnt(0)
	v_mul_hi_u32 v1, s9, v0
	v_add_u32_e32 v1, v0, v1
	v_lshrrev_b32_e32 v1, s10, v1
	v_mul_lo_u32 v1, v1, s8
	v_sub_u32_e32 v0, v0, v1
	v_mad_u64_u32 v[6:7], s[6:7], v0, s2, v[6:7]
	v_mad_u64_u32 v[13:14], s[2:3], v0, s3, v[13:14]
.LBB23_1101:
	s_and_b64 vcc, exec, s[0:1]
	v_add_u32_e32 v0, 0x80, v8
	s_cbranch_vccnz .LBB23_1107
; %bb.1102:
	s_cmp_lg_u32 s33, 0
	s_mov_b32 s36, 0
	s_cbranch_scc0 .LBB23_1108
; %bb.1103:
	s_min_u32 s37, s72, 15
	s_add_i32 s37, s37, 1
	s_cmp_eq_u32 s72, 2
	s_cbranch_scc1 .LBB23_1109
; %bb.1104:
	s_and_b32 s36, s37, 28
	s_add_u32 s2, s34, 0xc4
	s_addc_u32 s3, s35, 0
	v_mov_b32_e32 v11, 0
	s_mov_b32 s38, 0
	s_mov_b64 s[6:7], s[34:35]
	s_waitcnt vmcnt(0)
	v_mov_b32_e32 v4, 0
	v_mov_b32_e32 v1, v0
.LBB23_1105:                            ; =>This Inner Loop Header: Depth=1
	s_load_dwordx8 s[16:23], s[6:7], 0x4
	s_load_dwordx4 s[24:27], s[6:7], 0x24
	s_load_dwordx8 s[8:15], s[2:3], 0x0
	s_add_u32 s6, s6, 48
	s_addc_u32 s7, s7, 0
	s_waitcnt lgkmcnt(0)
	v_mul_hi_u32 v2, s17, v1
	s_add_i32 s38, s38, 4
	s_add_u32 s2, s2, 32
	s_addc_u32 s3, s3, 0
	v_add_u32_e32 v2, v1, v2
	v_lshrrev_b32_e32 v2, s18, v2
	v_mul_lo_u32 v3, v2, s16
	v_mul_hi_u32 v5, s20, v2
	s_cmp_lg_u32 s36, s38
	v_sub_u32_e32 v1, v1, v3
	v_add_u32_e32 v3, v2, v5
	v_mul_lo_u32 v5, v1, s8
	v_mul_lo_u32 v7, v1, s9
	v_lshrrev_b32_e32 v1, s21, v3
	v_mul_lo_u32 v3, v1, s19
	v_mul_hi_u32 v9, s23, v1
	v_sub_u32_e32 v2, v2, v3
	v_add_u32_e32 v3, v1, v9
	v_lshrrev_b32_e32 v3, s24, v3
	v_mul_hi_u32 v10, s26, v3
	v_mul_lo_u32 v12, v3, s22
	v_mul_lo_u32 v9, v2, s10
	;; [unrolled: 1-line block ×3, first 2 shown]
	v_sub_u32_e32 v12, v1, v12
	v_add_u32_e32 v1, v3, v10
	v_lshrrev_b32_e32 v1, s27, v1
	v_mul_lo_u32 v10, v1, s25
	v_mul_lo_u32 v14, v12, s12
	;; [unrolled: 1-line block ×3, first 2 shown]
	v_add3_u32 v4, v5, v4, v9
	v_sub_u32_e32 v3, v3, v10
	v_mul_lo_u32 v10, v3, s14
	v_mul_lo_u32 v3, v3, s15
	v_add3_u32 v2, v7, v11, v2
	v_add3_u32 v4, v14, v4, v10
	;; [unrolled: 1-line block ×3, first 2 shown]
	s_cbranch_scc1 .LBB23_1105
; %bb.1106:
	s_and_b32 s8, s37, 3
	s_cmp_eq_u32 s8, 0
	s_cbranch_scc0 .LBB23_1110
	s_branch .LBB23_1112
.LBB23_1107:
                                        ; implicit-def: $vgpr4
                                        ; implicit-def: $vgpr11
	s_branch .LBB23_1113
.LBB23_1108:
	s_waitcnt vmcnt(0)
	v_mov_b32_e32 v4, 0
	v_mov_b32_e32 v11, 0
	s_branch .LBB23_1112
.LBB23_1109:
	s_waitcnt vmcnt(0)
	v_mov_b32_e32 v4, 0
	v_mov_b32_e32 v11, 0
	;; [unrolled: 1-line block ×3, first 2 shown]
	s_and_b32 s8, s37, 3
	s_cmp_eq_u32 s8, 0
	s_cbranch_scc1 .LBB23_1112
.LBB23_1110:
	s_lshl_b32 s2, s36, 3
	s_add_u32 s2, s34, s2
	s_addc_u32 s3, s35, 0
	s_add_u32 s2, s2, 0xc4
	s_addc_u32 s3, s3, 0
	s_mul_i32 s6, s36, 12
	s_add_u32 s6, s34, s6
	s_addc_u32 s7, s35, 0
.LBB23_1111:                            ; =>This Inner Loop Header: Depth=1
	s_load_dwordx2 s[10:11], s[6:7], 0x4
	s_load_dword s9, s[6:7], 0xc
	s_load_dwordx2 s[12:13], s[2:3], 0x0
	s_add_u32 s6, s6, 12
	s_addc_u32 s7, s7, 0
	s_waitcnt lgkmcnt(0)
	v_mul_hi_u32 v2, s11, v1
	s_add_u32 s2, s2, 8
	s_addc_u32 s3, s3, 0
	s_add_i32 s8, s8, -1
	v_add_u32_e32 v2, v1, v2
	v_lshrrev_b32_e32 v2, s9, v2
	v_mul_lo_u32 v3, v2, s10
	s_cmp_lg_u32 s8, 0
	v_sub_u32_e32 v1, v1, v3
	v_mad_u64_u32 v[4:5], s[10:11], v1, s12, v[4:5]
	v_mad_u64_u32 v[11:12], s[10:11], v1, s13, v[11:12]
	v_mov_b32_e32 v1, v2
	s_cbranch_scc1 .LBB23_1111
.LBB23_1112:
	s_cbranch_execnz .LBB23_1115
.LBB23_1113:
	s_load_dwordx4 s[8:11], s[34:35], 0x4
	s_load_dwordx2 s[2:3], s[34:35], 0xc4
	s_cmp_lt_u32 s33, 2
	s_waitcnt lgkmcnt(0)
	v_mul_hi_u32 v1, s9, v0
	v_add_u32_e32 v1, v0, v1
	v_lshrrev_b32_e32 v1, s10, v1
	v_mul_lo_u32 v2, v1, s8
	v_sub_u32_e32 v0, v0, v2
	s_waitcnt vmcnt(0)
	v_mul_lo_u32 v4, v0, s2
	v_mul_lo_u32 v11, v0, s3
	s_cbranch_scc1 .LBB23_1115
; %bb.1114:
	s_load_dwordx4 s[8:11], s[34:35], 0x10
	s_load_dwordx2 s[2:3], s[34:35], 0xcc
	s_waitcnt lgkmcnt(0)
	v_mul_hi_u32 v0, s9, v1
	v_add_u32_e32 v0, v1, v0
	v_lshrrev_b32_e32 v0, s10, v0
	v_mul_lo_u32 v0, v0, s8
	v_sub_u32_e32 v0, v1, v0
	v_mad_u64_u32 v[4:5], s[6:7], v0, s2, v[4:5]
	v_mad_u64_u32 v[11:12], s[2:3], v0, s3, v[11:12]
.LBB23_1115:
	s_and_b64 vcc, exec, s[0:1]
	v_add_u32_e32 v0, 0x100, v8
	s_cbranch_vccnz .LBB23_1121
; %bb.1116:
	s_cmp_lg_u32 s33, 0
	s_mov_b32 s36, 0
	s_cbranch_scc0 .LBB23_1122
; %bb.1117:
	s_min_u32 s37, s72, 15
	s_add_i32 s37, s37, 1
	s_cmp_eq_u32 s72, 2
	s_cbranch_scc1 .LBB23_1123
; %bb.1118:
	s_and_b32 s36, s37, 28
	s_add_u32 s2, s34, 0xc4
	s_addc_u32 s3, s35, 0
	v_mov_b32_e32 v9, 0
	s_mov_b32 s38, 0
	s_mov_b64 s[6:7], s[34:35]
	v_mov_b32_e32 v2, 0
	v_mov_b32_e32 v1, v0
.LBB23_1119:                            ; =>This Inner Loop Header: Depth=1
	s_load_dwordx8 s[16:23], s[6:7], 0x4
	s_load_dwordx4 s[24:27], s[6:7], 0x24
	s_load_dwordx8 s[8:15], s[2:3], 0x0
	s_add_u32 s6, s6, 48
	s_addc_u32 s7, s7, 0
	s_waitcnt vmcnt(0) lgkmcnt(0)
	v_mul_hi_u32 v3, s17, v1
	s_add_i32 s38, s38, 4
	s_add_u32 s2, s2, 32
	s_addc_u32 s3, s3, 0
	v_add_u32_e32 v3, v1, v3
	v_lshrrev_b32_e32 v3, s18, v3
	v_mul_lo_u32 v5, v3, s16
	v_mul_hi_u32 v7, s20, v3
	s_cmp_lg_u32 s36, s38
	v_sub_u32_e32 v1, v1, v5
	v_add_u32_e32 v5, v3, v7
	v_mul_lo_u32 v7, v1, s8
	v_mul_lo_u32 v8, v1, s9
	v_lshrrev_b32_e32 v1, s21, v5
	v_mul_lo_u32 v5, v1, s19
	v_mul_hi_u32 v10, s23, v1
	v_sub_u32_e32 v3, v3, v5
	v_add_u32_e32 v5, v1, v10
	v_lshrrev_b32_e32 v5, s24, v5
	v_mul_hi_u32 v12, s26, v5
	v_mul_lo_u32 v14, v5, s22
	v_mul_lo_u32 v10, v3, s10
	v_mul_lo_u32 v3, v3, s11
	v_sub_u32_e32 v14, v1, v14
	v_add_u32_e32 v1, v5, v12
	v_lshrrev_b32_e32 v1, s27, v1
	v_mul_lo_u32 v12, v1, s25
	v_mul_lo_u32 v16, v14, s12
	;; [unrolled: 1-line block ×3, first 2 shown]
	v_add3_u32 v2, v7, v2, v10
	v_sub_u32_e32 v5, v5, v12
	v_mul_lo_u32 v12, v5, s14
	v_mul_lo_u32 v5, v5, s15
	v_add3_u32 v3, v8, v9, v3
	v_add3_u32 v2, v16, v2, v12
	;; [unrolled: 1-line block ×3, first 2 shown]
	s_cbranch_scc1 .LBB23_1119
; %bb.1120:
	s_and_b32 s8, s37, 3
	s_cmp_eq_u32 s8, 0
	s_cbranch_scc0 .LBB23_1124
	s_branch .LBB23_1126
.LBB23_1121:
                                        ; implicit-def: $vgpr2
                                        ; implicit-def: $vgpr9
	s_branch .LBB23_1127
.LBB23_1122:
	v_mov_b32_e32 v2, 0
	v_mov_b32_e32 v9, 0
	s_branch .LBB23_1126
.LBB23_1123:
	v_mov_b32_e32 v2, 0
	v_mov_b32_e32 v9, 0
	;; [unrolled: 1-line block ×3, first 2 shown]
	s_and_b32 s8, s37, 3
	s_cmp_eq_u32 s8, 0
	s_cbranch_scc1 .LBB23_1126
.LBB23_1124:
	s_lshl_b32 s2, s36, 3
	s_add_u32 s2, s34, s2
	s_addc_u32 s3, s35, 0
	s_add_u32 s2, s2, 0xc4
	s_addc_u32 s3, s3, 0
	s_mul_i32 s6, s36, 12
	s_add_u32 s6, s34, s6
	s_addc_u32 s7, s35, 0
.LBB23_1125:                            ; =>This Inner Loop Header: Depth=1
	s_load_dwordx2 s[10:11], s[6:7], 0x4
	s_load_dword s9, s[6:7], 0xc
	s_load_dwordx2 s[12:13], s[2:3], 0x0
	s_add_u32 s6, s6, 12
	s_addc_u32 s7, s7, 0
	s_waitcnt vmcnt(0) lgkmcnt(0)
	v_mul_hi_u32 v3, s11, v1
	s_add_u32 s2, s2, 8
	s_addc_u32 s3, s3, 0
	s_add_i32 s8, s8, -1
	v_add_u32_e32 v3, v1, v3
	v_lshrrev_b32_e32 v5, s9, v3
	v_mul_lo_u32 v3, v5, s10
	s_cmp_lg_u32 s8, 0
	v_sub_u32_e32 v1, v1, v3
	v_mad_u64_u32 v[2:3], s[10:11], v1, s12, v[2:3]
	v_mad_u64_u32 v[9:10], s[10:11], v1, s13, v[9:10]
	v_mov_b32_e32 v1, v5
	s_cbranch_scc1 .LBB23_1125
.LBB23_1126:
	s_cbranch_execnz .LBB23_1129
.LBB23_1127:
	s_load_dwordx4 s[8:11], s[34:35], 0x4
	s_load_dwordx2 s[2:3], s[34:35], 0xc4
	s_cmp_lt_u32 s33, 2
	s_waitcnt lgkmcnt(0)
	v_mul_hi_u32 v1, s9, v0
	v_add_u32_e32 v1, v0, v1
	v_lshrrev_b32_e32 v1, s10, v1
	v_mul_lo_u32 v2, v1, s8
	v_sub_u32_e32 v0, v0, v2
	v_mul_lo_u32 v2, v0, s2
	v_mul_lo_u32 v9, v0, s3
	s_cbranch_scc1 .LBB23_1129
; %bb.1128:
	s_load_dwordx4 s[8:11], s[34:35], 0x10
	s_load_dwordx2 s[2:3], s[34:35], 0xcc
	s_waitcnt lgkmcnt(0)
	v_mul_hi_u32 v0, s9, v1
	v_add_u32_e32 v0, v1, v0
	v_lshrrev_b32_e32 v0, s10, v0
	v_mul_lo_u32 v0, v0, s8
	v_sub_u32_e32 v0, v1, v0
	s_waitcnt vmcnt(0)
	v_mad_u64_u32 v[2:3], s[6:7], v0, s2, v[2:3]
	v_mad_u64_u32 v[9:10], s[2:3], v0, s3, v[9:10]
.LBB23_1129:
	s_and_b64 vcc, exec, s[0:1]
	s_cbranch_vccnz .LBB23_1135
; %bb.1130:
	s_cmp_lg_u32 s33, 0
	s_mov_b32 s26, 0
	s_cbranch_scc0 .LBB23_1136
; %bb.1131:
	s_min_u32 s27, s72, 15
	s_add_i32 s27, s27, 1
	s_cmp_eq_u32 s72, 2
	s_cbranch_scc1 .LBB23_1137
; %bb.1132:
	s_and_b32 s26, s27, 28
	s_add_u32 s6, s34, 0xc4
	s_addc_u32 s7, s35, 0
	v_mov_b32_e32 v7, 0
	s_mov_b32 s36, 0
	s_mov_b64 s[24:25], s[34:35]
	v_mov_b32_e32 v0, 0
	v_mov_b32_e32 v1, v15
.LBB23_1133:                            ; =>This Inner Loop Header: Depth=1
	s_load_dwordx8 s[16:23], s[24:25], 0x4
	s_load_dwordx4 s[0:3], s[24:25], 0x24
	s_load_dwordx8 s[8:15], s[6:7], 0x0
	s_add_u32 s24, s24, 48
	s_addc_u32 s25, s25, 0
	s_waitcnt vmcnt(0) lgkmcnt(0)
	v_mul_hi_u32 v3, s17, v1
	s_add_i32 s36, s36, 4
	s_add_u32 s6, s6, 32
	s_addc_u32 s7, s7, 0
	v_add_u32_e32 v3, v1, v3
	v_lshrrev_b32_e32 v3, s18, v3
	v_mul_lo_u32 v5, v3, s16
	v_mul_hi_u32 v8, s20, v3
	s_cmp_lg_u32 s26, s36
	v_sub_u32_e32 v1, v1, v5
	v_add_u32_e32 v5, v3, v8
	v_mul_lo_u32 v8, v1, s8
	v_mul_lo_u32 v10, v1, s9
	v_lshrrev_b32_e32 v1, s21, v5
	v_mul_lo_u32 v5, v1, s19
	v_mul_hi_u32 v12, s23, v1
	v_sub_u32_e32 v3, v3, v5
	v_add_u32_e32 v5, v1, v12
	v_lshrrev_b32_e32 v5, s0, v5
	v_mul_hi_u32 v14, s2, v5
	v_mul_lo_u32 v16, v5, s22
	v_mul_lo_u32 v12, v3, s10
	;; [unrolled: 1-line block ×3, first 2 shown]
	v_sub_u32_e32 v16, v1, v16
	v_add_u32_e32 v1, v5, v14
	v_lshrrev_b32_e32 v1, s3, v1
	v_mul_lo_u32 v14, v1, s1
	v_mul_lo_u32 v17, v16, s12
	;; [unrolled: 1-line block ×3, first 2 shown]
	v_add3_u32 v0, v8, v0, v12
	v_sub_u32_e32 v5, v5, v14
	v_mul_lo_u32 v14, v5, s14
	v_mul_lo_u32 v5, v5, s15
	v_add3_u32 v3, v10, v7, v3
	v_add3_u32 v0, v17, v0, v14
	;; [unrolled: 1-line block ×3, first 2 shown]
	s_cbranch_scc1 .LBB23_1133
; %bb.1134:
	s_and_b32 s6, s27, 3
	s_cmp_eq_u32 s6, 0
	s_cbranch_scc0 .LBB23_1138
	s_branch .LBB23_1140
.LBB23_1135:
                                        ; implicit-def: $vgpr0
                                        ; implicit-def: $vgpr7
	s_branch .LBB23_1141
.LBB23_1136:
	v_mov_b32_e32 v0, 0
	v_mov_b32_e32 v7, 0
	s_branch .LBB23_1140
.LBB23_1137:
	v_mov_b32_e32 v0, 0
	v_mov_b32_e32 v7, 0
	;; [unrolled: 1-line block ×3, first 2 shown]
	s_and_b32 s6, s27, 3
	s_cmp_eq_u32 s6, 0
	s_cbranch_scc1 .LBB23_1140
.LBB23_1138:
	s_lshl_b32 s0, s26, 3
	s_add_u32 s0, s34, s0
	s_addc_u32 s1, s35, 0
	s_add_u32 s0, s0, 0xc4
	s_addc_u32 s1, s1, 0
	s_mul_i32 s2, s26, 12
	s_add_u32 s2, s34, s2
	s_addc_u32 s3, s35, 0
.LBB23_1139:                            ; =>This Inner Loop Header: Depth=1
	s_load_dwordx2 s[8:9], s[2:3], 0x4
	s_load_dword s7, s[2:3], 0xc
	s_load_dwordx2 s[10:11], s[0:1], 0x0
	s_add_u32 s2, s2, 12
	s_addc_u32 s3, s3, 0
	s_waitcnt vmcnt(0) lgkmcnt(0)
	v_mul_hi_u32 v3, s9, v1
	s_add_u32 s0, s0, 8
	s_addc_u32 s1, s1, 0
	s_add_i32 s6, s6, -1
	v_add_u32_e32 v3, v1, v3
	v_lshrrev_b32_e32 v3, s7, v3
	v_mul_lo_u32 v5, v3, s8
	s_cmp_lg_u32 s6, 0
	v_sub_u32_e32 v5, v1, v5
	v_mad_u64_u32 v[0:1], s[8:9], v5, s10, v[0:1]
	v_mad_u64_u32 v[7:8], s[8:9], v5, s11, v[7:8]
	v_mov_b32_e32 v1, v3
	s_cbranch_scc1 .LBB23_1139
.LBB23_1140:
	s_cbranch_execnz .LBB23_1143
.LBB23_1141:
	s_load_dwordx4 s[0:3], s[34:35], 0x4
	s_load_dwordx2 s[6:7], s[34:35], 0xc4
	s_cmp_lt_u32 s33, 2
	s_waitcnt lgkmcnt(0)
	v_mul_hi_u32 v0, s1, v15
	v_add_u32_e32 v0, v15, v0
	v_lshrrev_b32_e32 v1, s2, v0
	v_mul_lo_u32 v0, v1, s0
	s_waitcnt vmcnt(0)
	v_sub_u32_e32 v3, v15, v0
	v_mul_lo_u32 v0, v3, s6
	v_mul_lo_u32 v7, v3, s7
	s_cbranch_scc1 .LBB23_1143
; %bb.1142:
	s_load_dwordx4 s[0:3], s[34:35], 0x10
	s_load_dwordx2 s[6:7], s[34:35], 0xcc
	s_waitcnt lgkmcnt(0)
	v_mul_hi_u32 v3, s1, v1
	v_add_u32_e32 v3, v1, v3
	v_lshrrev_b32_e32 v3, s2, v3
	v_mul_lo_u32 v3, v3, s0
	v_sub_u32_e32 v3, v1, v3
	v_mad_u64_u32 v[0:1], s[0:1], v3, s6, v[0:1]
	v_mad_u64_u32 v[7:8], s[0:1], v3, s7, v[7:8]
.LBB23_1143:
	s_load_dword s16, s[4:5], 0x160
	s_load_dwordx4 s[8:11], s[34:35], 0x148
	s_waitcnt lgkmcnt(0)
	s_lshr_b32 s14, s16, 24
	v_mov_b32_e32 v1, s11
	v_add_co_u32_e32 v12, vcc, s10, v13
	s_cmp_lt_i32 s14, 11
	v_addc_co_u32_e32 v13, vcc, 0, v1, vcc
	s_cbranch_scc1 .LBB23_1150
; %bb.1144:
	s_and_b32 s15, 0xffff, s14
	s_cmp_gt_i32 s15, 25
	s_mov_b64 s[4:5], 0
	s_cbranch_scc0 .LBB23_1152
; %bb.1145:
	s_cmp_gt_i32 s15, 28
	s_cbranch_scc0 .LBB23_1153
; %bb.1146:
	s_cmp_gt_i32 s15, 43
	;; [unrolled: 3-line block ×3, first 2 shown]
	s_cbranch_scc0 .LBB23_1155
; %bb.1148:
	s_cmp_eq_u32 s15, 46
	s_mov_b64 s[2:3], 0
	s_cbranch_scc0 .LBB23_1158
; %bb.1149:
	global_load_dword v1, v[12:13], off
	s_mov_b64 s[0:1], 0
	s_mov_b64 s[6:7], -1
	s_waitcnt vmcnt(0)
	v_lshlrev_b32_e32 v1, 16, v1
	v_cvt_f16_f32_e32 v1, v1
	s_branch .LBB23_1159
.LBB23_1150:
	s_mov_b64 s[6:7], 0
                                        ; implicit-def: $vgpr1
	s_mov_b64 s[2:3], s[28:29]
	s_cbranch_execnz .LBB23_1222
.LBB23_1151:
	s_andn2_b64 vcc, exec, s[6:7]
	s_cbranch_vccz .LBB23_1267
	s_branch .LBB23_2088
.LBB23_1152:
	s_mov_b64 s[6:7], 0
	s_mov_b64 s[0:1], 0
                                        ; implicit-def: $vgpr1
	s_cbranch_execnz .LBB23_1187
	s_branch .LBB23_1218
.LBB23_1153:
	s_mov_b64 s[2:3], -1
	s_mov_b64 s[6:7], 0
	s_mov_b64 s[0:1], 0
                                        ; implicit-def: $vgpr1
	s_branch .LBB23_1168
.LBB23_1154:
	s_mov_b64 s[6:7], 0
	s_mov_b64 s[0:1], 0
                                        ; implicit-def: $vgpr1
	s_cbranch_execnz .LBB23_1164
	s_branch .LBB23_1167
.LBB23_1155:
	s_mov_b64 s[2:3], -1
	s_mov_b64 s[6:7], 0
	s_mov_b64 s[0:1], 0
                                        ; implicit-def: $vgpr1
	s_branch .LBB23_1159
.LBB23_1156:
	s_andn2_saveexec_b64 s[14:15], s[14:15]
	s_cbranch_execz .LBB23_999
.LBB23_1157:
	s_mov_b32 s16, 0x46000000
	v_add_f32_e64 v4, |v0|, s16
	v_and_b32_e32 v4, 0xff, v4
	v_cmp_ne_u32_e32 vcc, 0, v4
	s_andn2_b64 s[12:13], s[12:13], exec
	s_and_b64 s[16:17], vcc, exec
	s_or_b64 s[12:13], s[12:13], s[16:17]
	s_or_b64 exec, exec, s[14:15]
	v_mov_b32_e32 v5, 0
	s_and_saveexec_b64 s[14:15], s[12:13]
	s_cbranch_execnz .LBB23_1000
	s_branch .LBB23_1001
.LBB23_1158:
	s_mov_b64 s[0:1], -1
                                        ; implicit-def: $vgpr1
	s_mov_b64 s[6:7], 0
.LBB23_1159:
	s_and_b64 vcc, exec, s[2:3]
	s_cbranch_vccz .LBB23_1162
; %bb.1160:
	s_cmp_eq_u32 s15, 44
	s_cbranch_scc0 .LBB23_1163
; %bb.1161:
	global_load_ubyte v1, v[12:13], off
	s_movk_i32 s2, 0xff
	v_mov_b32_e32 v5, 0x7e00
	s_mov_b64 s[0:1], 0
	s_mov_b64 s[6:7], -1
	s_waitcnt vmcnt(0)
	v_lshlrev_b32_e32 v3, 23, v1
	v_cvt_f16_f32_e32 v3, v3
	v_cmp_ne_u32_e32 vcc, s2, v1
	v_cndmask_b32_e32 v3, v5, v3, vcc
	v_cmp_ne_u32_e32 vcc, 0, v1
	v_cndmask_b32_e32 v1, 0, v3, vcc
.LBB23_1162:
	s_branch .LBB23_1167
.LBB23_1163:
	s_mov_b64 s[0:1], -1
                                        ; implicit-def: $vgpr1
	s_branch .LBB23_1167
.LBB23_1164:
	s_cmp_eq_u32 s15, 29
	s_cbranch_scc0 .LBB23_1166
; %bb.1165:
	global_load_dwordx2 v[14:15], v[12:13], off
	s_mov_b64 s[0:1], 0
	s_mov_b64 s[6:7], -1
	s_mov_b64 s[2:3], 0
	s_waitcnt vmcnt(0)
	v_ffbh_u32_e32 v1, v15
	v_min_u32_e32 v1, 32, v1
	v_lshlrev_b64 v[14:15], v1, v[14:15]
	v_sub_u32_e32 v1, 32, v1
	v_min_u32_e32 v3, 1, v14
	v_or_b32_e32 v3, v15, v3
	v_cvt_f32_u32_e32 v3, v3
	v_ldexp_f32 v1, v3, v1
	v_cvt_f16_f32_e32 v1, v1
	s_branch .LBB23_1168
.LBB23_1166:
	s_mov_b64 s[0:1], -1
                                        ; implicit-def: $vgpr1
.LBB23_1167:
	s_mov_b64 s[2:3], 0
.LBB23_1168:
	s_and_b64 vcc, exec, s[2:3]
	s_cbranch_vccz .LBB23_1186
; %bb.1169:
	s_cmp_lt_i32 s15, 27
	s_cbranch_scc1 .LBB23_1172
; %bb.1170:
	s_cmp_gt_i32 s15, 27
	s_cbranch_scc0 .LBB23_1173
; %bb.1171:
	global_load_dword v1, v[12:13], off
	s_mov_b64 s[2:3], 0
	s_waitcnt vmcnt(0)
	v_cvt_f32_u32_e32 v1, v1
	v_cvt_f16_f32_e32 v1, v1
	s_branch .LBB23_1174
.LBB23_1172:
	s_mov_b64 s[2:3], -1
                                        ; implicit-def: $vgpr1
	s_branch .LBB23_1177
.LBB23_1173:
	s_mov_b64 s[2:3], -1
                                        ; implicit-def: $vgpr1
.LBB23_1174:
	s_andn2_b64 vcc, exec, s[2:3]
	s_cbranch_vccnz .LBB23_1176
; %bb.1175:
	global_load_ushort v1, v[12:13], off
	s_waitcnt vmcnt(0)
	v_cvt_f16_u16_e32 v1, v1
.LBB23_1176:
	s_mov_b64 s[2:3], 0
.LBB23_1177:
	s_andn2_b64 vcc, exec, s[2:3]
	s_cbranch_vccnz .LBB23_1185
; %bb.1178:
	global_load_ubyte v3, v[12:13], off
	s_movk_i32 s2, 0x7f
	s_waitcnt vmcnt(0)
	v_cmp_lt_i16_e32 vcc, s2, v3
	s_mov_b64 s[2:3], 0
	s_and_saveexec_b64 s[6:7], vcc
	s_xor_b64 s[6:7], exec, s[6:7]
	s_cbranch_execz .LBB23_1198
; %bb.1179:
	s_movk_i32 s2, 0x80
	v_cmp_eq_u16_e32 vcc, s2, v3
	s_mov_b64 s[2:3], -1
	s_and_saveexec_b64 s[12:13], vcc
; %bb.1180:
	s_xor_b64 s[2:3], exec, -1
; %bb.1181:
	s_or_b64 exec, exec, s[12:13]
	s_and_b64 s[2:3], s[2:3], exec
	s_or_saveexec_b64 s[6:7], s[6:7]
	v_mov_b32_e32 v1, 0x7e00
	s_xor_b64 exec, exec, s[6:7]
	s_cbranch_execnz .LBB23_1199
.LBB23_1182:
	s_or_b64 exec, exec, s[6:7]
	s_and_saveexec_b64 s[6:7], s[2:3]
	s_cbranch_execz .LBB23_1184
.LBB23_1183:
	v_lshlrev_b32_e32 v1, 24, v3
	v_and_b32_e32 v3, 0xffff, v3
	v_and_b32_e32 v5, 7, v3
	v_ffbh_u32_e32 v10, v5
	v_min_u32_e32 v10, 32, v10
	v_subrev_u32_e32 v14, 28, v10
	v_bfe_u32 v8, v3, 3, 4
	v_lshlrev_b32_e32 v3, v14, v3
	v_sub_u32_e32 v10, 29, v10
	v_and_b32_e32 v3, 7, v3
	v_cmp_eq_u32_e32 vcc, 0, v8
	v_cndmask_b32_e32 v8, v8, v10, vcc
	v_cndmask_b32_e32 v3, v5, v3, vcc
	v_mov_b32_e32 v5, 0x3b800000
	v_lshlrev_b32_e32 v3, 20, v3
	v_and_b32_e32 v1, 0x80000000, v1
	v_lshl_add_u32 v5, v8, 23, v5
	v_or3_b32 v1, v1, v5, v3
	v_cvt_f16_f32_e32 v1, v1
.LBB23_1184:
	s_or_b64 exec, exec, s[6:7]
.LBB23_1185:
	s_mov_b64 s[6:7], -1
.LBB23_1186:
	s_branch .LBB23_1218
.LBB23_1187:
	s_cmp_gt_i32 s15, 22
	s_cbranch_scc0 .LBB23_1197
; %bb.1188:
	s_cmp_lt_i32 s15, 24
	s_cbranch_scc1 .LBB23_1200
; %bb.1189:
	s_cmp_gt_i32 s15, 24
	s_cbranch_scc0 .LBB23_1201
; %bb.1190:
	global_load_ubyte v3, v[12:13], off
	s_movk_i32 s2, 0x7f
	s_waitcnt vmcnt(0)
	v_cmp_lt_i16_e32 vcc, s2, v3
	s_mov_b64 s[2:3], 0
	s_and_saveexec_b64 s[4:5], vcc
	s_xor_b64 s[4:5], exec, s[4:5]
	s_cbranch_execz .LBB23_1212
; %bb.1191:
	s_movk_i32 s2, 0x80
	v_cmp_eq_u16_e32 vcc, s2, v3
	s_mov_b64 s[2:3], -1
	s_and_saveexec_b64 s[6:7], vcc
; %bb.1192:
	s_xor_b64 s[2:3], exec, -1
; %bb.1193:
	s_or_b64 exec, exec, s[6:7]
	s_and_b64 s[2:3], s[2:3], exec
	s_or_saveexec_b64 s[4:5], s[4:5]
	v_mov_b32_e32 v1, 0x7e00
	s_xor_b64 exec, exec, s[4:5]
	s_cbranch_execnz .LBB23_1213
.LBB23_1194:
	s_or_b64 exec, exec, s[4:5]
	s_and_saveexec_b64 s[4:5], s[2:3]
	s_cbranch_execz .LBB23_1196
.LBB23_1195:
	v_lshlrev_b32_e32 v1, 24, v3
	v_and_b32_e32 v3, 0xffff, v3
	v_and_b32_e32 v5, 3, v3
	v_ffbh_u32_e32 v10, v5
	v_min_u32_e32 v10, 32, v10
	v_subrev_u32_e32 v14, 29, v10
	v_bfe_u32 v8, v3, 2, 5
	v_lshlrev_b32_e32 v3, v14, v3
	v_sub_u32_e32 v10, 30, v10
	v_and_b32_e32 v3, 3, v3
	v_cmp_eq_u32_e32 vcc, 0, v8
	v_cndmask_b32_e32 v8, v8, v10, vcc
	v_cndmask_b32_e32 v3, v5, v3, vcc
	v_mov_b32_e32 v5, 0x37800000
	v_lshlrev_b32_e32 v3, 21, v3
	v_and_b32_e32 v1, 0x80000000, v1
	v_lshl_add_u32 v5, v8, 23, v5
	v_or3_b32 v1, v1, v5, v3
	v_cvt_f16_f32_e32 v1, v1
.LBB23_1196:
	s_or_b64 exec, exec, s[4:5]
	s_mov_b64 s[2:3], 0
	s_branch .LBB23_1202
.LBB23_1197:
                                        ; implicit-def: $vgpr1
	s_mov_b64 s[4:5], 0
	s_branch .LBB23_1208
.LBB23_1198:
	s_or_saveexec_b64 s[6:7], s[6:7]
	v_mov_b32_e32 v1, 0x7e00
	s_xor_b64 exec, exec, s[6:7]
	s_cbranch_execz .LBB23_1182
.LBB23_1199:
	v_cmp_ne_u16_e32 vcc, 0, v3
	s_andn2_b64 s[2:3], s[2:3], exec
	s_and_b64 s[12:13], vcc, exec
	s_or_b64 s[2:3], s[2:3], s[12:13]
	v_mov_b32_e32 v1, v3
	s_or_b64 exec, exec, s[6:7]
	s_and_saveexec_b64 s[6:7], s[2:3]
	s_cbranch_execnz .LBB23_1183
	s_branch .LBB23_1184
.LBB23_1200:
	s_mov_b64 s[2:3], -1
                                        ; implicit-def: $vgpr1
	s_branch .LBB23_1205
.LBB23_1201:
	s_mov_b64 s[2:3], -1
                                        ; implicit-def: $vgpr1
.LBB23_1202:
	s_and_b64 vcc, exec, s[2:3]
	s_cbranch_vccz .LBB23_1204
; %bb.1203:
	global_load_ubyte v1, v[12:13], off
	s_mov_b32 s2, 0x7f800000
	s_waitcnt vmcnt(0)
	v_lshlrev_b32_e32 v1, 24, v1
	v_and_b32_e32 v3, 0x7f000000, v1
	v_ffbh_u32_e32 v5, v3
	v_min_u32_e32 v5, 32, v5
	v_sub_u32_e64 v5, v5, 4 clamp
	v_lshlrev_b32_e32 v10, v5, v3
	v_lshlrev_b32_e32 v5, 23, v5
	v_lshrrev_b32_e32 v10, 4, v10
	v_add_u32_e32 v8, 0x1000000, v3
	v_sub_u32_e32 v5, v10, v5
	v_ashrrev_i32_e32 v8, 8, v8
	v_add_u32_e32 v5, 0x3c000000, v5
	v_and_or_b32 v5, v8, s2, v5
	v_cmp_ne_u32_e32 vcc, 0, v3
	v_cndmask_b32_e32 v3, 0, v5, vcc
	s_brev_b32 s2, 1
	v_and_or_b32 v1, v1, s2, v3
	v_cvt_f16_f32_e32 v1, v1
.LBB23_1204:
	s_mov_b64 s[2:3], 0
.LBB23_1205:
	s_andn2_b64 vcc, exec, s[2:3]
	s_cbranch_vccnz .LBB23_1207
; %bb.1206:
	global_load_ubyte v1, v[12:13], off
	s_movk_i32 s2, 0x7f00
	s_brev_b32 s3, 16
	s_waitcnt vmcnt(0)
	v_lshlrev_b16_e32 v3, 8, v1
	v_lshlrev_b32_e32 v1, 25, v1
	v_lshrrev_b32_e32 v5, 4, v1
	v_and_or_b32 v8, v3, s2, 0.5
	v_or_b32_e32 v5, 0x70000000, v5
	v_add_f32_e32 v8, -0.5, v8
	v_mul_f32_e32 v5, 0x7800000, v5
	v_cmp_gt_u32_e32 vcc, s3, v1
	v_bfe_i32 v3, v3, 0, 16
	v_cndmask_b32_e32 v1, v5, v8, vcc
	s_brev_b32 s2, 1
	v_and_or_b32 v1, v3, s2, v1
	v_cvt_f16_f32_e32 v1, v1
.LBB23_1207:
	s_mov_b64 s[6:7], -1
	s_mov_b64 s[4:5], 0
	s_cbranch_execnz .LBB23_1218
.LBB23_1208:
	s_cmp_gt_i32 s15, 14
	s_cbranch_scc0 .LBB23_1211
; %bb.1209:
	s_cmp_eq_u32 s15, 15
	s_cbranch_scc0 .LBB23_1214
; %bb.1210:
	global_load_ushort v1, v[12:13], off
	s_mov_b64 s[0:1], 0
	s_mov_b64 s[6:7], -1
	s_waitcnt vmcnt(0)
	v_lshlrev_b32_e32 v1, 16, v1
	v_cvt_f16_f32_e32 v1, v1
	s_branch .LBB23_1215
.LBB23_1211:
	s_mov_b64 s[2:3], -1
                                        ; implicit-def: $vgpr1
	s_branch .LBB23_1216
.LBB23_1212:
	s_or_saveexec_b64 s[4:5], s[4:5]
	v_mov_b32_e32 v1, 0x7e00
	s_xor_b64 exec, exec, s[4:5]
	s_cbranch_execz .LBB23_1194
.LBB23_1213:
	v_cmp_ne_u16_e32 vcc, 0, v3
	s_andn2_b64 s[2:3], s[2:3], exec
	s_and_b64 s[6:7], vcc, exec
	s_or_b64 s[2:3], s[2:3], s[6:7]
	v_mov_b32_e32 v1, v3
	s_or_b64 exec, exec, s[4:5]
	s_and_saveexec_b64 s[4:5], s[2:3]
	s_cbranch_execnz .LBB23_1195
	s_branch .LBB23_1196
.LBB23_1214:
	s_mov_b64 s[0:1], -1
                                        ; implicit-def: $vgpr1
.LBB23_1215:
	s_mov_b64 s[2:3], 0
.LBB23_1216:
	s_and_b64 vcc, exec, s[2:3]
	s_cbranch_vccz .LBB23_1218
; %bb.1217:
	s_cmp_lg_u32 s15, 11
	s_mov_b64 s[4:5], -1
	s_cselect_b64 s[0:1], -1, 0
.LBB23_1218:
	s_and_b64 vcc, exec, s[0:1]
	s_mov_b64 s[2:3], s[28:29]
	s_cbranch_vccnz .LBB23_1279
; %bb.1219:
	s_andn2_b64 vcc, exec, s[4:5]
	s_cbranch_vccnz .LBB23_1221
.LBB23_1220:
	global_load_ubyte v1, v[12:13], off
	s_waitcnt vmcnt(1)
	v_mov_b32_e32 v3, 0x3c00
	s_mov_b64 s[6:7], -1
	s_waitcnt vmcnt(0)
	v_cmp_ne_u16_e32 vcc, 0, v1
	v_cndmask_b32_e32 v1, 0, v3, vcc
.LBB23_1221:
	s_branch .LBB23_1151
.LBB23_1222:
	s_and_b32 s4, 0xffff, s14
	s_cmp_lt_i32 s4, 5
	s_cbranch_scc1 .LBB23_1227
; %bb.1223:
	s_cmp_lt_i32 s4, 8
	s_cbranch_scc1 .LBB23_1228
; %bb.1224:
	;; [unrolled: 3-line block ×3, first 2 shown]
	s_cmp_gt_i32 s4, 9
	s_cbranch_scc0 .LBB23_1230
; %bb.1226:
	global_load_dwordx2 v[14:15], v[12:13], off
	s_movk_i32 s0, 0x1ff
	s_movk_i32 s1, 0xffe
	v_mov_b32_e32 v1, 0x7c00
	s_waitcnt vmcnt(1)
	v_mov_b32_e32 v3, 0x7e00
	s_movk_i32 s5, 0x40f
	s_mov_b32 s6, 0x8000
	s_waitcnt vmcnt(0)
	v_and_or_b32 v5, v15, s0, v14
	v_cmp_ne_u32_e32 vcc, 0, v5
	v_lshrrev_b32_e32 v8, 8, v15
	v_bfe_u32 v10, v15, 20, 11
	v_cndmask_b32_e64 v5, 0, 1, vcc
	v_lshrrev_b32_e32 v14, 16, v15
	v_sub_u32_e32 v15, 0x3f1, v10
	v_and_or_b32 v5, v8, s1, v5
	v_add_u32_e32 v10, 0xfffffc10, v10
	v_med3_i32 v8, v15, 0, 13
	v_or_b32_e32 v15, 0x1000, v5
	v_lshl_or_b32 v16, v10, 12, v5
	v_cmp_ne_u32_e32 vcc, 0, v5
	v_lshrrev_b32_e32 v5, v8, v15
	v_lshlrev_b32_e32 v8, v8, v5
	v_cndmask_b32_e32 v3, v1, v3, vcc
	v_cmp_ne_u32_e32 vcc, v8, v15
	v_cndmask_b32_e64 v8, 0, 1, vcc
	v_or_b32_e32 v5, v5, v8
	v_cmp_gt_i32_e32 vcc, 1, v10
	v_cndmask_b32_e32 v5, v16, v5, vcc
	v_and_b32_e32 v8, 7, v5
	v_cmp_lt_i32_e32 vcc, 5, v8
	v_cndmask_b32_e64 v15, 0, 1, vcc
	v_cmp_eq_u32_e32 vcc, 3, v8
	v_cndmask_b32_e64 v8, 0, 1, vcc
	v_lshrrev_b32_e32 v5, 2, v5
	v_or_b32_e32 v8, v8, v15
	v_add_u32_e32 v5, v5, v8
	v_cmp_gt_i32_e32 vcc, 31, v10
	v_cndmask_b32_e32 v1, v1, v5, vcc
	v_cmp_eq_u32_e32 vcc, s5, v10
	v_cndmask_b32_e32 v1, v1, v3, vcc
	v_and_or_b32 v1, v14, s6, v1
	s_mov_b64 s[0:1], 0
	s_branch .LBB23_1231
.LBB23_1227:
                                        ; implicit-def: $vgpr1
	s_branch .LBB23_1248
.LBB23_1228:
                                        ; implicit-def: $vgpr1
	s_branch .LBB23_1237
.LBB23_1229:
	s_mov_b64 s[0:1], -1
                                        ; implicit-def: $vgpr1
	s_branch .LBB23_1234
.LBB23_1230:
	s_mov_b64 s[0:1], -1
                                        ; implicit-def: $vgpr1
.LBB23_1231:
	s_andn2_b64 vcc, exec, s[0:1]
	s_cbranch_vccnz .LBB23_1233
; %bb.1232:
	global_load_dword v1, v[12:13], off
	s_waitcnt vmcnt(0)
	v_cvt_f16_f32_e32 v1, v1
.LBB23_1233:
	s_mov_b64 s[0:1], 0
.LBB23_1234:
	s_andn2_b64 vcc, exec, s[0:1]
	s_cbranch_vccnz .LBB23_1236
; %bb.1235:
	global_load_dword v1, v[12:13], off
.LBB23_1236:
	s_cbranch_execnz .LBB23_1247
.LBB23_1237:
	s_cmp_lt_i32 s4, 6
	s_cbranch_scc1 .LBB23_1240
; %bb.1238:
	s_cmp_gt_i32 s4, 6
	s_cbranch_scc0 .LBB23_1241
; %bb.1239:
	global_load_dwordx2 v[14:15], v[12:13], off
	s_movk_i32 s0, 0x1ff
	s_movk_i32 s1, 0xffe
	s_waitcnt vmcnt(1)
	v_mov_b32_e32 v1, 0x7c00
	v_mov_b32_e32 v3, 0x7e00
	s_movk_i32 s5, 0x40f
	s_mov_b32 s6, 0x8000
	s_waitcnt vmcnt(0)
	v_and_or_b32 v5, v15, s0, v14
	v_cmp_ne_u32_e32 vcc, 0, v5
	v_lshrrev_b32_e32 v8, 8, v15
	v_bfe_u32 v10, v15, 20, 11
	v_cndmask_b32_e64 v5, 0, 1, vcc
	v_lshrrev_b32_e32 v14, 16, v15
	v_sub_u32_e32 v15, 0x3f1, v10
	v_and_or_b32 v5, v8, s1, v5
	v_add_u32_e32 v10, 0xfffffc10, v10
	v_med3_i32 v8, v15, 0, 13
	v_or_b32_e32 v15, 0x1000, v5
	v_lshl_or_b32 v16, v10, 12, v5
	v_cmp_ne_u32_e32 vcc, 0, v5
	v_lshrrev_b32_e32 v5, v8, v15
	v_lshlrev_b32_e32 v8, v8, v5
	v_cndmask_b32_e32 v3, v1, v3, vcc
	v_cmp_ne_u32_e32 vcc, v8, v15
	v_cndmask_b32_e64 v8, 0, 1, vcc
	v_or_b32_e32 v5, v5, v8
	v_cmp_gt_i32_e32 vcc, 1, v10
	v_cndmask_b32_e32 v5, v16, v5, vcc
	v_and_b32_e32 v8, 7, v5
	v_cmp_lt_i32_e32 vcc, 5, v8
	v_cndmask_b32_e64 v15, 0, 1, vcc
	v_cmp_eq_u32_e32 vcc, 3, v8
	v_cndmask_b32_e64 v8, 0, 1, vcc
	v_lshrrev_b32_e32 v5, 2, v5
	v_or_b32_e32 v8, v8, v15
	v_add_u32_e32 v5, v5, v8
	v_cmp_gt_i32_e32 vcc, 31, v10
	v_cndmask_b32_e32 v1, v1, v5, vcc
	v_cmp_eq_u32_e32 vcc, s5, v10
	v_cndmask_b32_e32 v1, v1, v3, vcc
	v_and_or_b32 v1, v14, s6, v1
	s_mov_b64 s[0:1], 0
	s_branch .LBB23_1242
.LBB23_1240:
	s_mov_b64 s[0:1], -1
                                        ; implicit-def: $vgpr1
	s_branch .LBB23_1245
.LBB23_1241:
	s_mov_b64 s[0:1], -1
                                        ; implicit-def: $vgpr1
.LBB23_1242:
	s_andn2_b64 vcc, exec, s[0:1]
	s_cbranch_vccnz .LBB23_1244
; %bb.1243:
	global_load_dword v1, v[12:13], off
	s_waitcnt vmcnt(0)
	v_cvt_f16_f32_e32 v1, v1
.LBB23_1244:
	s_mov_b64 s[0:1], 0
.LBB23_1245:
	s_andn2_b64 vcc, exec, s[0:1]
	s_cbranch_vccnz .LBB23_1247
; %bb.1246:
	global_load_ushort v1, v[12:13], off
.LBB23_1247:
	s_cbranch_execnz .LBB23_1266
.LBB23_1248:
	s_cmp_lt_i32 s4, 2
	s_cbranch_scc1 .LBB23_1252
; %bb.1249:
	s_cmp_lt_i32 s4, 3
	s_cbranch_scc1 .LBB23_1253
; %bb.1250:
	s_cmp_gt_i32 s4, 3
	s_cbranch_scc0 .LBB23_1254
; %bb.1251:
	global_load_dwordx2 v[14:15], v[12:13], off
	s_mov_b64 s[0:1], 0
	s_waitcnt vmcnt(0)
	v_xor_b32_e32 v3, v14, v15
	v_ffbh_i32_e32 v1, v15
	v_ashrrev_i32_e32 v3, 31, v3
	v_add_u32_e32 v1, -1, v1
	v_add_u32_e32 v3, 32, v3
	v_min_u32_e32 v1, v1, v3
	v_lshlrev_b64 v[14:15], v1, v[14:15]
	v_sub_u32_e32 v1, 32, v1
	v_min_u32_e32 v3, 1, v14
	v_or_b32_e32 v3, v15, v3
	v_cvt_f32_i32_e32 v3, v3
	v_ldexp_f32 v1, v3, v1
	v_cvt_f16_f32_e32 v1, v1
	s_branch .LBB23_1255
.LBB23_1252:
                                        ; implicit-def: $vgpr1
	s_branch .LBB23_1261
.LBB23_1253:
	s_mov_b64 s[0:1], -1
                                        ; implicit-def: $vgpr1
	s_branch .LBB23_1258
.LBB23_1254:
	s_mov_b64 s[0:1], -1
                                        ; implicit-def: $vgpr1
.LBB23_1255:
	s_andn2_b64 vcc, exec, s[0:1]
	s_cbranch_vccnz .LBB23_1257
; %bb.1256:
	global_load_dword v1, v[12:13], off
	s_waitcnt vmcnt(0)
	v_cvt_f32_i32_e32 v1, v1
	v_cvt_f16_f32_e32 v1, v1
.LBB23_1257:
	s_mov_b64 s[0:1], 0
.LBB23_1258:
	s_andn2_b64 vcc, exec, s[0:1]
	s_cbranch_vccnz .LBB23_1260
; %bb.1259:
	global_load_ushort v1, v[12:13], off
	s_waitcnt vmcnt(0)
	v_cvt_f16_i16_e32 v1, v1
.LBB23_1260:
	s_cbranch_execnz .LBB23_1266
.LBB23_1261:
	s_cmp_gt_i32 s4, 0
	s_cbranch_scc0 .LBB23_1263
; %bb.1262:
	global_load_sbyte v1, v[12:13], off
	s_mov_b64 s[0:1], 0
	s_waitcnt vmcnt(0)
	v_cvt_f16_i16_e32 v1, v1
	s_branch .LBB23_1264
.LBB23_1263:
	s_mov_b64 s[0:1], -1
                                        ; implicit-def: $vgpr1
.LBB23_1264:
	s_andn2_b64 vcc, exec, s[0:1]
	s_cbranch_vccnz .LBB23_1266
; %bb.1265:
	global_load_ubyte v1, v[12:13], off
	s_waitcnt vmcnt(0)
	v_cvt_f16_u16_e32 v1, v1
.LBB23_1266:
.LBB23_1267:
	s_waitcnt vmcnt(0)
	v_mov_b32_e32 v3, s11
	s_and_b32 s17, 0xffff, s14
	v_add_co_u32_e32 v10, vcc, s10, v11
	s_cmp_lt_i32 s17, 11
	v_addc_co_u32_e32 v11, vcc, 0, v3, vcc
	s_cbranch_scc1 .LBB23_1274
; %bb.1268:
	s_cmp_gt_i32 s17, 25
	s_mov_b64 s[4:5], 0
	s_cbranch_scc0 .LBB23_1276
; %bb.1269:
	s_cmp_gt_i32 s17, 28
	s_cbranch_scc0 .LBB23_1277
; %bb.1270:
	s_cmp_gt_i32 s17, 43
	;; [unrolled: 3-line block ×3, first 2 shown]
	s_cbranch_scc0 .LBB23_1280
; %bb.1272:
	s_cmp_eq_u32 s17, 46
	s_mov_b64 s[12:13], 0
	s_cbranch_scc0 .LBB23_1283
; %bb.1273:
	global_load_dword v3, v[10:11], off
	s_mov_b64 s[0:1], 0
	s_mov_b64 s[6:7], -1
	s_waitcnt vmcnt(0)
	v_lshlrev_b32_e32 v3, 16, v3
	v_cvt_f16_f32_e32 v3, v3
	s_branch .LBB23_1284
.LBB23_1274:
	s_mov_b64 s[6:7], 0
                                        ; implicit-def: $vgpr3
	s_cbranch_execnz .LBB23_1349
.LBB23_1275:
	s_andn2_b64 vcc, exec, s[6:7]
	s_cbranch_vccnz .LBB23_2088
	s_branch .LBB23_1396
.LBB23_1276:
	s_mov_b64 s[6:7], 0
	s_mov_b64 s[0:1], 0
                                        ; implicit-def: $vgpr3
	s_cbranch_execnz .LBB23_1313
	s_branch .LBB23_1345
.LBB23_1277:
	s_mov_b64 s[12:13], -1
	s_mov_b64 s[6:7], 0
	s_mov_b64 s[0:1], 0
                                        ; implicit-def: $vgpr3
	s_branch .LBB23_1294
.LBB23_1278:
	s_mov_b64 s[12:13], -1
	s_mov_b64 s[6:7], 0
	s_mov_b64 s[0:1], 0
                                        ; implicit-def: $vgpr3
	s_branch .LBB23_1289
.LBB23_1279:
	s_or_b64 s[2:3], s[28:29], exec
	s_trap 2
	s_cbranch_execz .LBB23_1220
	s_branch .LBB23_1221
.LBB23_1280:
	s_mov_b64 s[12:13], -1
	s_mov_b64 s[6:7], 0
	s_mov_b64 s[0:1], 0
                                        ; implicit-def: $vgpr3
	s_branch .LBB23_1284
.LBB23_1281:
	s_andn2_saveexec_b64 s[16:17], s[16:17]
	s_cbranch_execz .LBB23_1011
.LBB23_1282:
	s_mov_b32 s20, 0x42800000
	v_add_f32_e64 v4, |v0|, s20
	v_and_b32_e32 v4, 0xff, v4
	v_cmp_ne_u32_e32 vcc, 0, v4
	s_andn2_b64 s[14:15], s[14:15], exec
	s_and_b64 s[20:21], vcc, exec
	s_or_b64 s[14:15], s[14:15], s[20:21]
	s_or_b64 exec, exec, s[16:17]
	v_mov_b32_e32 v5, 0
	s_and_saveexec_b64 s[16:17], s[14:15]
	s_cbranch_execnz .LBB23_1012
	s_branch .LBB23_1013
.LBB23_1283:
	s_mov_b64 s[0:1], -1
                                        ; implicit-def: $vgpr3
	s_mov_b64 s[6:7], 0
.LBB23_1284:
	s_and_b64 vcc, exec, s[12:13]
	s_cbranch_vccz .LBB23_1288
; %bb.1285:
	s_cmp_eq_u32 s17, 44
	s_cbranch_scc0 .LBB23_1287
; %bb.1286:
	global_load_ubyte v3, v[10:11], off
	s_movk_i32 s6, 0xff
	v_mov_b32_e32 v8, 0x7e00
	s_mov_b64 s[0:1], 0
	s_waitcnt vmcnt(0)
	v_lshlrev_b32_e32 v5, 23, v3
	v_cvt_f16_f32_e32 v5, v5
	v_cmp_ne_u32_e32 vcc, s6, v3
	s_mov_b64 s[6:7], -1
	v_cndmask_b32_e32 v5, v8, v5, vcc
	v_cmp_ne_u32_e32 vcc, 0, v3
	v_cndmask_b32_e32 v3, 0, v5, vcc
	s_branch .LBB23_1288
.LBB23_1287:
	s_mov_b64 s[0:1], -1
                                        ; implicit-def: $vgpr3
.LBB23_1288:
	s_mov_b64 s[12:13], 0
.LBB23_1289:
	s_and_b64 vcc, exec, s[12:13]
	s_cbranch_vccz .LBB23_1293
; %bb.1290:
	s_cmp_eq_u32 s17, 29
	s_cbranch_scc0 .LBB23_1292
; %bb.1291:
	global_load_dwordx2 v[12:13], v[10:11], off
	s_mov_b64 s[0:1], 0
	s_mov_b64 s[6:7], -1
	s_mov_b64 s[12:13], 0
	s_waitcnt vmcnt(0)
	v_ffbh_u32_e32 v3, v13
	v_min_u32_e32 v3, 32, v3
	v_lshlrev_b64 v[12:13], v3, v[12:13]
	v_sub_u32_e32 v3, 32, v3
	v_min_u32_e32 v5, 1, v12
	v_or_b32_e32 v5, v13, v5
	v_cvt_f32_u32_e32 v5, v5
	v_ldexp_f32 v3, v5, v3
	v_cvt_f16_f32_e32 v3, v3
	s_branch .LBB23_1294
.LBB23_1292:
	s_mov_b64 s[0:1], -1
                                        ; implicit-def: $vgpr3
.LBB23_1293:
	s_mov_b64 s[12:13], 0
.LBB23_1294:
	s_and_b64 vcc, exec, s[12:13]
	s_cbranch_vccz .LBB23_1312
; %bb.1295:
	s_cmp_lt_i32 s17, 27
	s_cbranch_scc1 .LBB23_1298
; %bb.1296:
	s_cmp_gt_i32 s17, 27
	s_cbranch_scc0 .LBB23_1299
; %bb.1297:
	global_load_dword v3, v[10:11], off
	s_mov_b64 s[6:7], 0
	s_waitcnt vmcnt(0)
	v_cvt_f32_u32_e32 v3, v3
	v_cvt_f16_f32_e32 v3, v3
	s_branch .LBB23_1300
.LBB23_1298:
	s_mov_b64 s[6:7], -1
                                        ; implicit-def: $vgpr3
	s_branch .LBB23_1303
.LBB23_1299:
	s_mov_b64 s[6:7], -1
                                        ; implicit-def: $vgpr3
.LBB23_1300:
	s_andn2_b64 vcc, exec, s[6:7]
	s_cbranch_vccnz .LBB23_1302
; %bb.1301:
	global_load_ushort v3, v[10:11], off
	s_waitcnt vmcnt(0)
	v_cvt_f16_u16_e32 v3, v3
.LBB23_1302:
	s_mov_b64 s[6:7], 0
.LBB23_1303:
	s_andn2_b64 vcc, exec, s[6:7]
	s_cbranch_vccnz .LBB23_1311
; %bb.1304:
	global_load_ubyte v5, v[10:11], off
	s_movk_i32 s6, 0x7f
	s_waitcnt vmcnt(0)
	v_cmp_lt_i16_e32 vcc, s6, v5
	s_mov_b64 s[6:7], 0
	s_and_saveexec_b64 s[12:13], vcc
	s_xor_b64 s[12:13], exec, s[12:13]
	s_cbranch_execz .LBB23_1324
; %bb.1305:
	s_movk_i32 s6, 0x80
	v_cmp_eq_u16_e32 vcc, s6, v5
	s_mov_b64 s[6:7], -1
	s_and_saveexec_b64 s[14:15], vcc
; %bb.1306:
	s_xor_b64 s[6:7], exec, -1
; %bb.1307:
	s_or_b64 exec, exec, s[14:15]
	s_and_b64 s[6:7], s[6:7], exec
	s_or_saveexec_b64 s[12:13], s[12:13]
	v_mov_b32_e32 v3, 0x7e00
	s_xor_b64 exec, exec, s[12:13]
	s_cbranch_execnz .LBB23_1325
.LBB23_1308:
	s_or_b64 exec, exec, s[12:13]
	s_and_saveexec_b64 s[12:13], s[6:7]
	s_cbranch_execz .LBB23_1310
.LBB23_1309:
	v_lshlrev_b32_e32 v3, 24, v5
	v_and_b32_e32 v5, 0xffff, v5
	v_and_b32_e32 v8, 7, v5
	v_ffbh_u32_e32 v13, v8
	v_min_u32_e32 v13, 32, v13
	v_subrev_u32_e32 v14, 28, v13
	v_bfe_u32 v12, v5, 3, 4
	v_lshlrev_b32_e32 v5, v14, v5
	v_sub_u32_e32 v13, 29, v13
	v_and_b32_e32 v5, 7, v5
	v_cmp_eq_u32_e32 vcc, 0, v12
	v_cndmask_b32_e32 v12, v12, v13, vcc
	v_cndmask_b32_e32 v5, v8, v5, vcc
	v_mov_b32_e32 v8, 0x3b800000
	v_lshlrev_b32_e32 v5, 20, v5
	v_and_b32_e32 v3, 0x80000000, v3
	v_lshl_add_u32 v8, v12, 23, v8
	v_or3_b32 v3, v3, v8, v5
	v_cvt_f16_f32_e32 v3, v3
.LBB23_1310:
	s_or_b64 exec, exec, s[12:13]
.LBB23_1311:
	s_mov_b64 s[6:7], -1
.LBB23_1312:
	s_branch .LBB23_1345
.LBB23_1313:
	s_cmp_gt_i32 s17, 22
	s_cbranch_scc0 .LBB23_1323
; %bb.1314:
	s_cmp_lt_i32 s17, 24
	s_cbranch_scc1 .LBB23_1326
; %bb.1315:
	s_cmp_gt_i32 s17, 24
	s_cbranch_scc0 .LBB23_1327
; %bb.1316:
	global_load_ubyte v5, v[10:11], off
	s_movk_i32 s4, 0x7f
	s_waitcnt vmcnt(0)
	v_cmp_lt_i16_e32 vcc, s4, v5
	s_mov_b64 s[4:5], 0
	s_and_saveexec_b64 s[6:7], vcc
	s_xor_b64 s[6:7], exec, s[6:7]
	s_cbranch_execz .LBB23_1339
; %bb.1317:
	s_movk_i32 s4, 0x80
	v_cmp_eq_u16_e32 vcc, s4, v5
	s_mov_b64 s[4:5], -1
	s_and_saveexec_b64 s[12:13], vcc
; %bb.1318:
	s_xor_b64 s[4:5], exec, -1
; %bb.1319:
	s_or_b64 exec, exec, s[12:13]
	s_and_b64 s[4:5], s[4:5], exec
	s_or_saveexec_b64 s[6:7], s[6:7]
	v_mov_b32_e32 v3, 0x7e00
	s_xor_b64 exec, exec, s[6:7]
	s_cbranch_execnz .LBB23_1340
.LBB23_1320:
	s_or_b64 exec, exec, s[6:7]
	s_and_saveexec_b64 s[6:7], s[4:5]
	s_cbranch_execz .LBB23_1322
.LBB23_1321:
	v_lshlrev_b32_e32 v3, 24, v5
	v_and_b32_e32 v5, 0xffff, v5
	v_and_b32_e32 v8, 3, v5
	v_ffbh_u32_e32 v13, v8
	v_min_u32_e32 v13, 32, v13
	v_subrev_u32_e32 v14, 29, v13
	v_bfe_u32 v12, v5, 2, 5
	v_lshlrev_b32_e32 v5, v14, v5
	v_sub_u32_e32 v13, 30, v13
	v_and_b32_e32 v5, 3, v5
	v_cmp_eq_u32_e32 vcc, 0, v12
	v_cndmask_b32_e32 v12, v12, v13, vcc
	v_cndmask_b32_e32 v5, v8, v5, vcc
	v_mov_b32_e32 v8, 0x37800000
	v_lshlrev_b32_e32 v5, 21, v5
	v_and_b32_e32 v3, 0x80000000, v3
	v_lshl_add_u32 v8, v12, 23, v8
	v_or3_b32 v3, v3, v8, v5
	v_cvt_f16_f32_e32 v3, v3
.LBB23_1322:
	s_or_b64 exec, exec, s[6:7]
	s_mov_b64 s[4:5], 0
	s_branch .LBB23_1328
.LBB23_1323:
	s_mov_b64 s[4:5], -1
                                        ; implicit-def: $vgpr3
	s_branch .LBB23_1334
.LBB23_1324:
	s_or_saveexec_b64 s[12:13], s[12:13]
	v_mov_b32_e32 v3, 0x7e00
	s_xor_b64 exec, exec, s[12:13]
	s_cbranch_execz .LBB23_1308
.LBB23_1325:
	v_cmp_ne_u16_e32 vcc, 0, v5
	s_andn2_b64 s[6:7], s[6:7], exec
	s_and_b64 s[14:15], vcc, exec
	s_or_b64 s[6:7], s[6:7], s[14:15]
	v_mov_b32_e32 v3, v5
	s_or_b64 exec, exec, s[12:13]
	s_and_saveexec_b64 s[12:13], s[6:7]
	s_cbranch_execnz .LBB23_1309
	s_branch .LBB23_1310
.LBB23_1326:
	s_mov_b64 s[4:5], -1
                                        ; implicit-def: $vgpr3
	s_branch .LBB23_1331
.LBB23_1327:
	s_mov_b64 s[4:5], -1
                                        ; implicit-def: $vgpr3
.LBB23_1328:
	s_and_b64 vcc, exec, s[4:5]
	s_cbranch_vccz .LBB23_1330
; %bb.1329:
	global_load_ubyte v3, v[10:11], off
	s_mov_b32 s4, 0x7f800000
	s_waitcnt vmcnt(0)
	v_lshlrev_b32_e32 v3, 24, v3
	v_and_b32_e32 v5, 0x7f000000, v3
	v_ffbh_u32_e32 v8, v5
	v_min_u32_e32 v8, 32, v8
	v_sub_u32_e64 v8, v8, 4 clamp
	v_lshlrev_b32_e32 v13, v8, v5
	v_lshlrev_b32_e32 v8, 23, v8
	v_lshrrev_b32_e32 v13, 4, v13
	v_add_u32_e32 v12, 0x1000000, v5
	v_sub_u32_e32 v8, v13, v8
	v_ashrrev_i32_e32 v12, 8, v12
	v_add_u32_e32 v8, 0x3c000000, v8
	v_and_or_b32 v8, v12, s4, v8
	v_cmp_ne_u32_e32 vcc, 0, v5
	v_cndmask_b32_e32 v5, 0, v8, vcc
	s_brev_b32 s4, 1
	v_and_or_b32 v3, v3, s4, v5
	v_cvt_f16_f32_e32 v3, v3
.LBB23_1330:
	s_mov_b64 s[4:5], 0
.LBB23_1331:
	s_andn2_b64 vcc, exec, s[4:5]
	s_cbranch_vccnz .LBB23_1333
; %bb.1332:
	global_load_ubyte v3, v[10:11], off
	s_movk_i32 s4, 0x7f00
	s_brev_b32 s5, 16
	s_waitcnt vmcnt(0)
	v_lshlrev_b16_e32 v5, 8, v3
	v_lshlrev_b32_e32 v3, 25, v3
	v_lshrrev_b32_e32 v8, 4, v3
	v_and_or_b32 v12, v5, s4, 0.5
	v_or_b32_e32 v8, 0x70000000, v8
	v_add_f32_e32 v12, -0.5, v12
	v_mul_f32_e32 v8, 0x7800000, v8
	v_cmp_gt_u32_e32 vcc, s5, v3
	v_bfe_i32 v5, v5, 0, 16
	v_cndmask_b32_e32 v3, v8, v12, vcc
	s_brev_b32 s4, 1
	v_and_or_b32 v3, v5, s4, v3
	v_cvt_f16_f32_e32 v3, v3
.LBB23_1333:
	s_mov_b64 s[4:5], 0
	s_mov_b64 s[6:7], -1
.LBB23_1334:
	s_andn2_b64 vcc, exec, s[4:5]
	s_mov_b64 s[4:5], 0
	s_cbranch_vccnz .LBB23_1345
; %bb.1335:
	s_cmp_gt_i32 s17, 14
	s_cbranch_scc0 .LBB23_1338
; %bb.1336:
	s_cmp_eq_u32 s17, 15
	s_cbranch_scc0 .LBB23_1341
; %bb.1337:
	global_load_ushort v3, v[10:11], off
	s_mov_b64 s[0:1], 0
	s_mov_b64 s[6:7], -1
	s_waitcnt vmcnt(0)
	v_lshlrev_b32_e32 v3, 16, v3
	v_cvt_f16_f32_e32 v3, v3
	s_branch .LBB23_1342
.LBB23_1338:
	s_mov_b64 s[12:13], -1
                                        ; implicit-def: $vgpr3
	s_branch .LBB23_1343
.LBB23_1339:
	s_or_saveexec_b64 s[6:7], s[6:7]
	v_mov_b32_e32 v3, 0x7e00
	s_xor_b64 exec, exec, s[6:7]
	s_cbranch_execz .LBB23_1320
.LBB23_1340:
	v_cmp_ne_u16_e32 vcc, 0, v5
	s_andn2_b64 s[4:5], s[4:5], exec
	s_and_b64 s[12:13], vcc, exec
	s_or_b64 s[4:5], s[4:5], s[12:13]
	v_mov_b32_e32 v3, v5
	s_or_b64 exec, exec, s[6:7]
	s_and_saveexec_b64 s[6:7], s[4:5]
	s_cbranch_execnz .LBB23_1321
	s_branch .LBB23_1322
.LBB23_1341:
	s_mov_b64 s[0:1], -1
                                        ; implicit-def: $vgpr3
.LBB23_1342:
	s_mov_b64 s[12:13], 0
.LBB23_1343:
	s_and_b64 vcc, exec, s[12:13]
	s_cbranch_vccz .LBB23_1345
; %bb.1344:
	s_cmp_lg_u32 s17, 11
	s_mov_b64 s[4:5], -1
	s_cselect_b64 s[0:1], -1, 0
.LBB23_1345:
	s_and_b64 vcc, exec, s[0:1]
	s_cbranch_vccnz .LBB23_1408
; %bb.1346:
	s_andn2_b64 vcc, exec, s[4:5]
	s_cbranch_vccnz .LBB23_1348
.LBB23_1347:
	global_load_ubyte v3, v[10:11], off
	v_mov_b32_e32 v5, 0x3c00
	s_mov_b64 s[6:7], -1
	s_waitcnt vmcnt(0)
	v_cmp_ne_u16_e32 vcc, 0, v3
	v_cndmask_b32_e32 v3, 0, v5, vcc
.LBB23_1348:
	s_branch .LBB23_1275
.LBB23_1349:
	s_cmp_lt_i32 s17, 5
	s_cbranch_scc1 .LBB23_1354
; %bb.1350:
	s_cmp_lt_i32 s17, 8
	s_cbranch_scc1 .LBB23_1355
; %bb.1351:
	;; [unrolled: 3-line block ×3, first 2 shown]
	s_cmp_gt_i32 s17, 9
	s_cbranch_scc0 .LBB23_1357
; %bb.1353:
	global_load_dwordx2 v[12:13], v[10:11], off
	s_movk_i32 s0, 0x1ff
	s_movk_i32 s1, 0xffe
	v_mov_b32_e32 v3, 0x7c00
	v_mov_b32_e32 v5, 0x7e00
	s_movk_i32 s4, 0x40f
	s_mov_b32 s5, 0x8000
	s_waitcnt vmcnt(0)
	v_and_or_b32 v8, v13, s0, v12
	v_cmp_ne_u32_e32 vcc, 0, v8
	v_lshrrev_b32_e32 v12, 8, v13
	v_bfe_u32 v14, v13, 20, 11
	v_cndmask_b32_e64 v8, 0, 1, vcc
	v_sub_u32_e32 v15, 0x3f1, v14
	v_and_or_b32 v8, v12, s1, v8
	v_add_u32_e32 v14, 0xfffffc10, v14
	v_med3_i32 v12, v15, 0, 13
	v_or_b32_e32 v15, 0x1000, v8
	v_lshl_or_b32 v16, v14, 12, v8
	v_cmp_ne_u32_e32 vcc, 0, v8
	v_lshrrev_b32_e32 v8, v12, v15
	v_lshlrev_b32_e32 v12, v12, v8
	v_cndmask_b32_e32 v5, v3, v5, vcc
	v_cmp_ne_u32_e32 vcc, v12, v15
	v_cndmask_b32_e64 v12, 0, 1, vcc
	v_or_b32_e32 v8, v8, v12
	v_cmp_gt_i32_e32 vcc, 1, v14
	v_cndmask_b32_e32 v8, v16, v8, vcc
	v_and_b32_e32 v12, 7, v8
	v_cmp_lt_i32_e32 vcc, 5, v12
	v_cndmask_b32_e64 v15, 0, 1, vcc
	v_cmp_eq_u32_e32 vcc, 3, v12
	v_cndmask_b32_e64 v12, 0, 1, vcc
	v_lshrrev_b32_e32 v8, 2, v8
	v_or_b32_e32 v12, v12, v15
	v_add_u32_e32 v8, v8, v12
	v_cmp_gt_i32_e32 vcc, 31, v14
	v_cndmask_b32_e32 v3, v3, v8, vcc
	v_cmp_eq_u32_e32 vcc, s4, v14
	v_lshrrev_b32_e32 v13, 16, v13
	v_cndmask_b32_e32 v3, v3, v5, vcc
	v_and_or_b32 v3, v13, s5, v3
	s_mov_b64 s[0:1], 0
	s_branch .LBB23_1358
.LBB23_1354:
                                        ; implicit-def: $vgpr3
	s_branch .LBB23_1376
.LBB23_1355:
	s_mov_b64 s[0:1], -1
                                        ; implicit-def: $vgpr3
	s_branch .LBB23_1364
.LBB23_1356:
	s_mov_b64 s[0:1], -1
                                        ; implicit-def: $vgpr3
	s_branch .LBB23_1361
.LBB23_1357:
	s_mov_b64 s[0:1], -1
                                        ; implicit-def: $vgpr3
.LBB23_1358:
	s_andn2_b64 vcc, exec, s[0:1]
	s_cbranch_vccnz .LBB23_1360
; %bb.1359:
	global_load_dword v3, v[10:11], off
	s_waitcnt vmcnt(0)
	v_cvt_f16_f32_e32 v3, v3
.LBB23_1360:
	s_mov_b64 s[0:1], 0
.LBB23_1361:
	s_andn2_b64 vcc, exec, s[0:1]
	s_cbranch_vccnz .LBB23_1363
; %bb.1362:
	global_load_dword v3, v[10:11], off
.LBB23_1363:
	s_mov_b64 s[0:1], 0
.LBB23_1364:
	s_andn2_b64 vcc, exec, s[0:1]
	s_cbranch_vccnz .LBB23_1375
; %bb.1365:
	s_cmp_lt_i32 s17, 6
	s_cbranch_scc1 .LBB23_1368
; %bb.1366:
	s_cmp_gt_i32 s17, 6
	s_cbranch_scc0 .LBB23_1369
; %bb.1367:
	global_load_dwordx2 v[12:13], v[10:11], off
	s_movk_i32 s0, 0x1ff
	s_movk_i32 s1, 0xffe
	s_waitcnt vmcnt(1)
	v_mov_b32_e32 v3, 0x7c00
	v_mov_b32_e32 v5, 0x7e00
	s_movk_i32 s4, 0x40f
	s_mov_b32 s5, 0x8000
	s_waitcnt vmcnt(0)
	v_and_or_b32 v8, v13, s0, v12
	v_cmp_ne_u32_e32 vcc, 0, v8
	v_lshrrev_b32_e32 v12, 8, v13
	v_bfe_u32 v14, v13, 20, 11
	v_cndmask_b32_e64 v8, 0, 1, vcc
	v_sub_u32_e32 v15, 0x3f1, v14
	v_and_or_b32 v8, v12, s1, v8
	v_add_u32_e32 v14, 0xfffffc10, v14
	v_med3_i32 v12, v15, 0, 13
	v_or_b32_e32 v15, 0x1000, v8
	v_lshl_or_b32 v16, v14, 12, v8
	v_cmp_ne_u32_e32 vcc, 0, v8
	v_lshrrev_b32_e32 v8, v12, v15
	v_lshlrev_b32_e32 v12, v12, v8
	v_cndmask_b32_e32 v5, v3, v5, vcc
	v_cmp_ne_u32_e32 vcc, v12, v15
	v_cndmask_b32_e64 v12, 0, 1, vcc
	v_or_b32_e32 v8, v8, v12
	v_cmp_gt_i32_e32 vcc, 1, v14
	v_cndmask_b32_e32 v8, v16, v8, vcc
	v_and_b32_e32 v12, 7, v8
	v_cmp_lt_i32_e32 vcc, 5, v12
	v_cndmask_b32_e64 v15, 0, 1, vcc
	v_cmp_eq_u32_e32 vcc, 3, v12
	v_cndmask_b32_e64 v12, 0, 1, vcc
	v_lshrrev_b32_e32 v8, 2, v8
	v_or_b32_e32 v12, v12, v15
	v_add_u32_e32 v8, v8, v12
	v_cmp_gt_i32_e32 vcc, 31, v14
	v_cndmask_b32_e32 v3, v3, v8, vcc
	v_cmp_eq_u32_e32 vcc, s4, v14
	v_lshrrev_b32_e32 v13, 16, v13
	v_cndmask_b32_e32 v3, v3, v5, vcc
	v_and_or_b32 v3, v13, s5, v3
	s_mov_b64 s[0:1], 0
	s_branch .LBB23_1370
.LBB23_1368:
	s_mov_b64 s[0:1], -1
                                        ; implicit-def: $vgpr3
	s_branch .LBB23_1373
.LBB23_1369:
	s_mov_b64 s[0:1], -1
                                        ; implicit-def: $vgpr3
.LBB23_1370:
	s_andn2_b64 vcc, exec, s[0:1]
	s_cbranch_vccnz .LBB23_1372
; %bb.1371:
	global_load_dword v3, v[10:11], off
	s_waitcnt vmcnt(0)
	v_cvt_f16_f32_e32 v3, v3
.LBB23_1372:
	s_mov_b64 s[0:1], 0
.LBB23_1373:
	s_andn2_b64 vcc, exec, s[0:1]
	s_cbranch_vccnz .LBB23_1375
; %bb.1374:
	global_load_ushort v3, v[10:11], off
.LBB23_1375:
	s_cbranch_execnz .LBB23_1395
.LBB23_1376:
	s_cmp_lt_i32 s17, 2
	s_cbranch_scc1 .LBB23_1380
; %bb.1377:
	s_cmp_lt_i32 s17, 3
	s_cbranch_scc1 .LBB23_1381
; %bb.1378:
	s_cmp_gt_i32 s17, 3
	s_cbranch_scc0 .LBB23_1382
; %bb.1379:
	global_load_dwordx2 v[12:13], v[10:11], off
	s_mov_b64 s[0:1], 0
	s_waitcnt vmcnt(0)
	v_xor_b32_e32 v5, v12, v13
	v_ffbh_i32_e32 v3, v13
	v_ashrrev_i32_e32 v5, 31, v5
	v_add_u32_e32 v3, -1, v3
	v_add_u32_e32 v5, 32, v5
	v_min_u32_e32 v3, v3, v5
	v_lshlrev_b64 v[12:13], v3, v[12:13]
	v_sub_u32_e32 v3, 32, v3
	v_min_u32_e32 v5, 1, v12
	v_or_b32_e32 v5, v13, v5
	v_cvt_f32_i32_e32 v5, v5
	v_ldexp_f32 v3, v5, v3
	v_cvt_f16_f32_e32 v3, v3
	s_branch .LBB23_1383
.LBB23_1380:
	s_mov_b64 s[0:1], -1
                                        ; implicit-def: $vgpr3
	s_branch .LBB23_1389
.LBB23_1381:
	s_mov_b64 s[0:1], -1
                                        ; implicit-def: $vgpr3
	s_branch .LBB23_1386
.LBB23_1382:
	s_mov_b64 s[0:1], -1
                                        ; implicit-def: $vgpr3
.LBB23_1383:
	s_andn2_b64 vcc, exec, s[0:1]
	s_cbranch_vccnz .LBB23_1385
; %bb.1384:
	global_load_dword v3, v[10:11], off
	s_waitcnt vmcnt(0)
	v_cvt_f32_i32_e32 v3, v3
	v_cvt_f16_f32_e32 v3, v3
.LBB23_1385:
	s_mov_b64 s[0:1], 0
.LBB23_1386:
	s_andn2_b64 vcc, exec, s[0:1]
	s_cbranch_vccnz .LBB23_1388
; %bb.1387:
	global_load_ushort v3, v[10:11], off
	s_waitcnt vmcnt(0)
	v_cvt_f16_i16_e32 v3, v3
.LBB23_1388:
	s_mov_b64 s[0:1], 0
.LBB23_1389:
	s_andn2_b64 vcc, exec, s[0:1]
	s_cbranch_vccnz .LBB23_1395
; %bb.1390:
	s_cmp_gt_i32 s17, 0
	s_cbranch_scc0 .LBB23_1392
; %bb.1391:
	global_load_sbyte v3, v[10:11], off
	s_mov_b64 s[0:1], 0
	s_waitcnt vmcnt(0)
	v_cvt_f16_i16_e32 v3, v3
	s_branch .LBB23_1393
.LBB23_1392:
	s_mov_b64 s[0:1], -1
                                        ; implicit-def: $vgpr3
.LBB23_1393:
	s_andn2_b64 vcc, exec, s[0:1]
	s_cbranch_vccnz .LBB23_1395
; %bb.1394:
	global_load_ubyte v3, v[10:11], off
	s_waitcnt vmcnt(0)
	v_cvt_f16_u16_e32 v3, v3
.LBB23_1395:
.LBB23_1396:
	v_mov_b32_e32 v5, s11
	v_add_co_u32_e32 v8, vcc, s10, v9
	s_cmp_lt_i32 s17, 11
	v_addc_co_u32_e32 v9, vcc, 0, v5, vcc
	s_cbranch_scc1 .LBB23_1403
; %bb.1397:
	s_cmp_gt_i32 s17, 25
	s_mov_b64 s[4:5], 0
	s_cbranch_scc0 .LBB23_1405
; %bb.1398:
	s_cmp_gt_i32 s17, 28
	s_cbranch_scc0 .LBB23_1406
; %bb.1399:
	s_cmp_gt_i32 s17, 43
	;; [unrolled: 3-line block ×3, first 2 shown]
	s_cbranch_scc0 .LBB23_1409
; %bb.1401:
	s_cmp_eq_u32 s17, 46
	s_mov_b64 s[12:13], 0
	s_cbranch_scc0 .LBB23_1410
; %bb.1402:
	global_load_dword v5, v[8:9], off
	s_mov_b64 s[0:1], 0
	s_mov_b64 s[6:7], -1
	s_waitcnt vmcnt(0)
	v_lshlrev_b32_e32 v5, 16, v5
	v_cvt_f16_f32_e32 v10, v5
	s_branch .LBB23_1411
.LBB23_1403:
	s_mov_b64 s[6:7], 0
                                        ; implicit-def: $vgpr10
	s_cbranch_execnz .LBB23_1477
.LBB23_1404:
	s_andn2_b64 vcc, exec, s[6:7]
	s_cbranch_vccnz .LBB23_2088
	s_branch .LBB23_1525
.LBB23_1405:
	s_mov_b64 s[12:13], -1
	s_mov_b64 s[6:7], 0
	s_mov_b64 s[0:1], 0
                                        ; implicit-def: $vgpr10
	s_branch .LBB23_1440
.LBB23_1406:
	s_mov_b64 s[12:13], -1
	s_mov_b64 s[6:7], 0
	s_mov_b64 s[0:1], 0
                                        ; implicit-def: $vgpr10
	s_branch .LBB23_1421
.LBB23_1407:
	s_mov_b64 s[12:13], -1
	s_mov_b64 s[6:7], 0
	s_mov_b64 s[0:1], 0
                                        ; implicit-def: $vgpr10
	s_branch .LBB23_1416
.LBB23_1408:
	s_trap 2
	s_or_b64 s[2:3], s[2:3], exec
	s_cbranch_execz .LBB23_1347
	s_branch .LBB23_1348
.LBB23_1409:
	s_mov_b64 s[12:13], -1
	s_mov_b64 s[6:7], 0
	s_mov_b64 s[0:1], 0
                                        ; implicit-def: $vgpr10
	s_branch .LBB23_1411
.LBB23_1410:
	s_mov_b64 s[0:1], -1
                                        ; implicit-def: $vgpr10
	s_mov_b64 s[6:7], 0
.LBB23_1411:
	s_and_b64 vcc, exec, s[12:13]
	s_cbranch_vccz .LBB23_1415
; %bb.1412:
	s_cmp_eq_u32 s17, 44
	s_cbranch_scc0 .LBB23_1414
; %bb.1413:
	global_load_ubyte v5, v[8:9], off
	s_movk_i32 s6, 0xff
	v_mov_b32_e32 v11, 0x7e00
	s_mov_b64 s[0:1], 0
	s_waitcnt vmcnt(0)
	v_lshlrev_b32_e32 v10, 23, v5
	v_cvt_f16_f32_e32 v10, v10
	v_cmp_ne_u32_e32 vcc, s6, v5
	s_mov_b64 s[6:7], -1
	v_cndmask_b32_e32 v10, v11, v10, vcc
	v_cmp_ne_u32_e32 vcc, 0, v5
	v_cndmask_b32_e32 v10, 0, v10, vcc
	s_branch .LBB23_1415
.LBB23_1414:
	s_mov_b64 s[0:1], -1
                                        ; implicit-def: $vgpr10
.LBB23_1415:
	s_mov_b64 s[12:13], 0
.LBB23_1416:
	s_and_b64 vcc, exec, s[12:13]
	s_cbranch_vccz .LBB23_1420
; %bb.1417:
	s_cmp_eq_u32 s17, 29
	s_cbranch_scc0 .LBB23_1419
; %bb.1418:
	global_load_dwordx2 v[10:11], v[8:9], off
	s_mov_b64 s[0:1], 0
	s_mov_b64 s[6:7], -1
	s_mov_b64 s[12:13], 0
	s_waitcnt vmcnt(0)
	v_ffbh_u32_e32 v5, v11
	v_min_u32_e32 v5, 32, v5
	v_lshlrev_b64 v[10:11], v5, v[10:11]
	v_sub_u32_e32 v5, 32, v5
	v_min_u32_e32 v10, 1, v10
	v_or_b32_e32 v10, v11, v10
	v_cvt_f32_u32_e32 v10, v10
	v_ldexp_f32 v5, v10, v5
	v_cvt_f16_f32_e32 v10, v5
	s_branch .LBB23_1421
.LBB23_1419:
	s_mov_b64 s[0:1], -1
                                        ; implicit-def: $vgpr10
.LBB23_1420:
	s_mov_b64 s[12:13], 0
.LBB23_1421:
	s_and_b64 vcc, exec, s[12:13]
	s_cbranch_vccz .LBB23_1439
; %bb.1422:
	s_cmp_lt_i32 s17, 27
	s_cbranch_scc1 .LBB23_1425
; %bb.1423:
	s_cmp_gt_i32 s17, 27
	s_cbranch_scc0 .LBB23_1426
; %bb.1424:
	global_load_dword v5, v[8:9], off
	s_mov_b64 s[6:7], 0
	s_waitcnt vmcnt(0)
	v_cvt_f32_u32_e32 v5, v5
	v_cvt_f16_f32_e32 v10, v5
	s_branch .LBB23_1427
.LBB23_1425:
	s_mov_b64 s[6:7], -1
                                        ; implicit-def: $vgpr10
	s_branch .LBB23_1430
.LBB23_1426:
	s_mov_b64 s[6:7], -1
                                        ; implicit-def: $vgpr10
.LBB23_1427:
	s_andn2_b64 vcc, exec, s[6:7]
	s_cbranch_vccnz .LBB23_1429
; %bb.1428:
	global_load_ushort v5, v[8:9], off
	s_waitcnt vmcnt(0)
	v_cvt_f16_u16_e32 v10, v5
.LBB23_1429:
	s_mov_b64 s[6:7], 0
.LBB23_1430:
	s_andn2_b64 vcc, exec, s[6:7]
	s_cbranch_vccnz .LBB23_1438
; %bb.1431:
	global_load_ubyte v5, v[8:9], off
	s_movk_i32 s6, 0x7f
	s_waitcnt vmcnt(0)
	v_cmp_lt_i16_e32 vcc, s6, v5
	s_mov_b64 s[6:7], 0
	s_and_saveexec_b64 s[12:13], vcc
	s_xor_b64 s[12:13], exec, s[12:13]
	s_cbranch_execz .LBB23_1452
; %bb.1432:
	s_movk_i32 s6, 0x80
	v_cmp_eq_u16_e32 vcc, s6, v5
	s_mov_b64 s[6:7], -1
	s_and_saveexec_b64 s[14:15], vcc
; %bb.1433:
	s_xor_b64 s[6:7], exec, -1
; %bb.1434:
	s_or_b64 exec, exec, s[14:15]
	s_and_b64 s[6:7], s[6:7], exec
	s_or_saveexec_b64 s[12:13], s[12:13]
	v_mov_b32_e32 v10, 0x7e00
	s_xor_b64 exec, exec, s[12:13]
	s_cbranch_execnz .LBB23_1453
.LBB23_1435:
	s_or_b64 exec, exec, s[12:13]
	s_and_saveexec_b64 s[12:13], s[6:7]
	s_cbranch_execz .LBB23_1437
.LBB23_1436:
	v_lshlrev_b32_e32 v10, 24, v5
	v_and_b32_e32 v5, 0xffff, v5
	v_and_b32_e32 v11, 7, v5
	v_ffbh_u32_e32 v13, v11
	v_min_u32_e32 v13, 32, v13
	v_subrev_u32_e32 v14, 28, v13
	v_bfe_u32 v12, v5, 3, 4
	v_lshlrev_b32_e32 v5, v14, v5
	v_sub_u32_e32 v13, 29, v13
	v_and_b32_e32 v5, 7, v5
	v_cmp_eq_u32_e32 vcc, 0, v12
	v_cndmask_b32_e32 v12, v12, v13, vcc
	v_cndmask_b32_e32 v5, v11, v5, vcc
	v_mov_b32_e32 v11, 0x3b800000
	v_lshlrev_b32_e32 v5, 20, v5
	v_and_b32_e32 v10, 0x80000000, v10
	v_lshl_add_u32 v11, v12, 23, v11
	v_or3_b32 v5, v10, v11, v5
	v_cvt_f16_f32_e32 v10, v5
.LBB23_1437:
	s_or_b64 exec, exec, s[12:13]
.LBB23_1438:
	s_mov_b64 s[6:7], -1
.LBB23_1439:
	s_mov_b64 s[12:13], 0
.LBB23_1440:
	s_and_b64 vcc, exec, s[12:13]
	s_cbranch_vccz .LBB23_1473
; %bb.1441:
	s_cmp_gt_i32 s17, 22
	s_cbranch_scc0 .LBB23_1451
; %bb.1442:
	s_cmp_lt_i32 s17, 24
	s_cbranch_scc1 .LBB23_1454
; %bb.1443:
	s_cmp_gt_i32 s17, 24
	s_cbranch_scc0 .LBB23_1455
; %bb.1444:
	global_load_ubyte v5, v[8:9], off
	s_movk_i32 s4, 0x7f
	s_waitcnt vmcnt(0)
	v_cmp_lt_i16_e32 vcc, s4, v5
	s_mov_b64 s[4:5], 0
	s_and_saveexec_b64 s[6:7], vcc
	s_xor_b64 s[6:7], exec, s[6:7]
	s_cbranch_execz .LBB23_1467
; %bb.1445:
	s_movk_i32 s4, 0x80
	v_cmp_eq_u16_e32 vcc, s4, v5
	s_mov_b64 s[4:5], -1
	s_and_saveexec_b64 s[12:13], vcc
; %bb.1446:
	s_xor_b64 s[4:5], exec, -1
; %bb.1447:
	s_or_b64 exec, exec, s[12:13]
	s_and_b64 s[4:5], s[4:5], exec
	s_or_saveexec_b64 s[6:7], s[6:7]
	v_mov_b32_e32 v10, 0x7e00
	s_xor_b64 exec, exec, s[6:7]
	s_cbranch_execnz .LBB23_1468
.LBB23_1448:
	s_or_b64 exec, exec, s[6:7]
	s_and_saveexec_b64 s[6:7], s[4:5]
	s_cbranch_execz .LBB23_1450
.LBB23_1449:
	v_lshlrev_b32_e32 v10, 24, v5
	v_and_b32_e32 v5, 0xffff, v5
	v_and_b32_e32 v11, 3, v5
	v_ffbh_u32_e32 v13, v11
	v_min_u32_e32 v13, 32, v13
	v_subrev_u32_e32 v14, 29, v13
	v_bfe_u32 v12, v5, 2, 5
	v_lshlrev_b32_e32 v5, v14, v5
	v_sub_u32_e32 v13, 30, v13
	v_and_b32_e32 v5, 3, v5
	v_cmp_eq_u32_e32 vcc, 0, v12
	v_cndmask_b32_e32 v12, v12, v13, vcc
	v_cndmask_b32_e32 v5, v11, v5, vcc
	v_mov_b32_e32 v11, 0x37800000
	v_lshlrev_b32_e32 v5, 21, v5
	v_and_b32_e32 v10, 0x80000000, v10
	v_lshl_add_u32 v11, v12, 23, v11
	v_or3_b32 v5, v10, v11, v5
	v_cvt_f16_f32_e32 v10, v5
.LBB23_1450:
	s_or_b64 exec, exec, s[6:7]
	s_mov_b64 s[4:5], 0
	s_branch .LBB23_1456
.LBB23_1451:
	s_mov_b64 s[4:5], -1
                                        ; implicit-def: $vgpr10
	s_branch .LBB23_1462
.LBB23_1452:
	s_or_saveexec_b64 s[12:13], s[12:13]
	v_mov_b32_e32 v10, 0x7e00
	s_xor_b64 exec, exec, s[12:13]
	s_cbranch_execz .LBB23_1435
.LBB23_1453:
	v_cmp_ne_u16_e32 vcc, 0, v5
	s_andn2_b64 s[6:7], s[6:7], exec
	s_and_b64 s[14:15], vcc, exec
	s_or_b64 s[6:7], s[6:7], s[14:15]
	v_mov_b32_e32 v10, v5
	s_or_b64 exec, exec, s[12:13]
	s_and_saveexec_b64 s[12:13], s[6:7]
	s_cbranch_execnz .LBB23_1436
	s_branch .LBB23_1437
.LBB23_1454:
	s_mov_b64 s[4:5], -1
                                        ; implicit-def: $vgpr10
	s_branch .LBB23_1459
.LBB23_1455:
	s_mov_b64 s[4:5], -1
                                        ; implicit-def: $vgpr10
.LBB23_1456:
	s_and_b64 vcc, exec, s[4:5]
	s_cbranch_vccz .LBB23_1458
; %bb.1457:
	global_load_ubyte v5, v[8:9], off
	s_mov_b32 s4, 0x7f800000
	s_waitcnt vmcnt(0)
	v_lshlrev_b32_e32 v5, 24, v5
	v_and_b32_e32 v10, 0x7f000000, v5
	v_ffbh_u32_e32 v11, v10
	v_min_u32_e32 v11, 32, v11
	v_sub_u32_e64 v11, v11, 4 clamp
	v_lshlrev_b32_e32 v13, v11, v10
	v_lshlrev_b32_e32 v11, 23, v11
	v_lshrrev_b32_e32 v13, 4, v13
	v_add_u32_e32 v12, 0x1000000, v10
	v_sub_u32_e32 v11, v13, v11
	v_ashrrev_i32_e32 v12, 8, v12
	v_add_u32_e32 v11, 0x3c000000, v11
	v_and_or_b32 v11, v12, s4, v11
	v_cmp_ne_u32_e32 vcc, 0, v10
	v_cndmask_b32_e32 v10, 0, v11, vcc
	s_brev_b32 s4, 1
	v_and_or_b32 v5, v5, s4, v10
	v_cvt_f16_f32_e32 v10, v5
.LBB23_1458:
	s_mov_b64 s[4:5], 0
.LBB23_1459:
	s_andn2_b64 vcc, exec, s[4:5]
	s_cbranch_vccnz .LBB23_1461
; %bb.1460:
	global_load_ubyte v5, v[8:9], off
	s_movk_i32 s4, 0x7f00
	s_brev_b32 s5, 16
	s_waitcnt vmcnt(0)
	v_lshlrev_b16_e32 v10, 8, v5
	v_lshlrev_b32_e32 v5, 25, v5
	v_lshrrev_b32_e32 v11, 4, v5
	v_and_or_b32 v12, v10, s4, 0.5
	v_or_b32_e32 v11, 0x70000000, v11
	v_add_f32_e32 v12, -0.5, v12
	v_mul_f32_e32 v11, 0x7800000, v11
	v_cmp_gt_u32_e32 vcc, s5, v5
	v_bfe_i32 v10, v10, 0, 16
	v_cndmask_b32_e32 v5, v11, v12, vcc
	s_brev_b32 s4, 1
	v_and_or_b32 v5, v10, s4, v5
	v_cvt_f16_f32_e32 v10, v5
.LBB23_1461:
	s_mov_b64 s[4:5], 0
	s_mov_b64 s[6:7], -1
.LBB23_1462:
	s_andn2_b64 vcc, exec, s[4:5]
	s_mov_b64 s[4:5], 0
	s_cbranch_vccnz .LBB23_1473
; %bb.1463:
	s_cmp_gt_i32 s17, 14
	s_cbranch_scc0 .LBB23_1466
; %bb.1464:
	s_cmp_eq_u32 s17, 15
	s_cbranch_scc0 .LBB23_1469
; %bb.1465:
	global_load_ushort v5, v[8:9], off
	s_mov_b64 s[0:1], 0
	s_mov_b64 s[6:7], -1
	s_waitcnt vmcnt(0)
	v_lshlrev_b32_e32 v5, 16, v5
	v_cvt_f16_f32_e32 v10, v5
	s_branch .LBB23_1470
.LBB23_1466:
	s_mov_b64 s[12:13], -1
                                        ; implicit-def: $vgpr10
	s_branch .LBB23_1471
.LBB23_1467:
	s_or_saveexec_b64 s[6:7], s[6:7]
	v_mov_b32_e32 v10, 0x7e00
	s_xor_b64 exec, exec, s[6:7]
	s_cbranch_execz .LBB23_1448
.LBB23_1468:
	v_cmp_ne_u16_e32 vcc, 0, v5
	s_andn2_b64 s[4:5], s[4:5], exec
	s_and_b64 s[12:13], vcc, exec
	s_or_b64 s[4:5], s[4:5], s[12:13]
	v_mov_b32_e32 v10, v5
	s_or_b64 exec, exec, s[6:7]
	s_and_saveexec_b64 s[6:7], s[4:5]
	s_cbranch_execnz .LBB23_1449
	s_branch .LBB23_1450
.LBB23_1469:
	s_mov_b64 s[0:1], -1
                                        ; implicit-def: $vgpr10
.LBB23_1470:
	s_mov_b64 s[12:13], 0
.LBB23_1471:
	s_and_b64 vcc, exec, s[12:13]
	s_cbranch_vccz .LBB23_1473
; %bb.1472:
	s_cmp_lg_u32 s17, 11
	s_mov_b64 s[4:5], -1
	s_cselect_b64 s[0:1], -1, 0
.LBB23_1473:
	s_and_b64 vcc, exec, s[0:1]
	s_cbranch_vccnz .LBB23_1536
; %bb.1474:
	s_andn2_b64 vcc, exec, s[4:5]
	s_cbranch_vccnz .LBB23_1476
.LBB23_1475:
	global_load_ubyte v5, v[8:9], off
	v_mov_b32_e32 v10, 0x3c00
	s_mov_b64 s[6:7], -1
	s_waitcnt vmcnt(0)
	v_cmp_ne_u16_e32 vcc, 0, v5
	v_cndmask_b32_e32 v10, 0, v10, vcc
.LBB23_1476:
	s_branch .LBB23_1404
.LBB23_1477:
	s_cmp_lt_i32 s17, 5
	s_cbranch_scc1 .LBB23_1482
; %bb.1478:
	s_cmp_lt_i32 s17, 8
	s_cbranch_scc1 .LBB23_1483
; %bb.1479:
	;; [unrolled: 3-line block ×3, first 2 shown]
	s_cmp_gt_i32 s17, 9
	s_cbranch_scc0 .LBB23_1485
; %bb.1481:
	global_load_dwordx2 v[10:11], v[8:9], off
	s_movk_i32 s0, 0x1ff
	s_movk_i32 s1, 0xffe
	v_mov_b32_e32 v5, 0x7c00
	v_mov_b32_e32 v12, 0x7e00
	s_movk_i32 s4, 0x40f
	s_mov_b32 s5, 0x8000
	s_waitcnt vmcnt(0)
	v_and_or_b32 v10, v11, s0, v10
	v_cmp_ne_u32_e32 vcc, 0, v10
	v_lshrrev_b32_e32 v13, 8, v11
	v_bfe_u32 v14, v11, 20, 11
	v_cndmask_b32_e64 v10, 0, 1, vcc
	v_sub_u32_e32 v15, 0x3f1, v14
	v_and_or_b32 v10, v13, s1, v10
	v_add_u32_e32 v14, 0xfffffc10, v14
	v_med3_i32 v13, v15, 0, 13
	v_or_b32_e32 v15, 0x1000, v10
	v_cmp_ne_u32_e32 vcc, 0, v10
	v_lshl_or_b32 v16, v14, 12, v10
	v_cndmask_b32_e32 v10, v5, v12, vcc
	v_lshrrev_b32_e32 v12, v13, v15
	v_lshlrev_b32_e32 v13, v13, v12
	v_cmp_ne_u32_e32 vcc, v13, v15
	v_cndmask_b32_e64 v13, 0, 1, vcc
	v_or_b32_e32 v12, v12, v13
	v_cmp_gt_i32_e32 vcc, 1, v14
	v_cndmask_b32_e32 v12, v16, v12, vcc
	v_and_b32_e32 v13, 7, v12
	v_cmp_lt_i32_e32 vcc, 5, v13
	v_cndmask_b32_e64 v15, 0, 1, vcc
	v_cmp_eq_u32_e32 vcc, 3, v13
	v_cndmask_b32_e64 v13, 0, 1, vcc
	v_lshrrev_b32_e32 v12, 2, v12
	v_or_b32_e32 v13, v13, v15
	v_add_u32_e32 v12, v12, v13
	v_cmp_gt_i32_e32 vcc, 31, v14
	v_cndmask_b32_e32 v5, v5, v12, vcc
	v_cmp_eq_u32_e32 vcc, s4, v14
	v_lshrrev_b32_e32 v11, 16, v11
	v_cndmask_b32_e32 v5, v5, v10, vcc
	v_and_or_b32 v10, v11, s5, v5
	s_mov_b64 s[0:1], 0
	s_branch .LBB23_1486
.LBB23_1482:
	s_mov_b64 s[0:1], -1
                                        ; implicit-def: $vgpr10
	s_branch .LBB23_1504
.LBB23_1483:
	s_mov_b64 s[0:1], -1
                                        ; implicit-def: $vgpr10
	s_branch .LBB23_1492
.LBB23_1484:
	s_mov_b64 s[0:1], -1
                                        ; implicit-def: $vgpr10
	s_branch .LBB23_1489
.LBB23_1485:
	s_mov_b64 s[0:1], -1
                                        ; implicit-def: $vgpr10
.LBB23_1486:
	s_andn2_b64 vcc, exec, s[0:1]
	s_cbranch_vccnz .LBB23_1488
; %bb.1487:
	global_load_dword v5, v[8:9], off
	s_waitcnt vmcnt(0)
	v_cvt_f16_f32_e32 v10, v5
.LBB23_1488:
	s_mov_b64 s[0:1], 0
.LBB23_1489:
	s_andn2_b64 vcc, exec, s[0:1]
	s_cbranch_vccnz .LBB23_1491
; %bb.1490:
	global_load_dword v10, v[8:9], off
.LBB23_1491:
	s_mov_b64 s[0:1], 0
.LBB23_1492:
	s_andn2_b64 vcc, exec, s[0:1]
	s_cbranch_vccnz .LBB23_1503
; %bb.1493:
	s_cmp_lt_i32 s17, 6
	s_cbranch_scc1 .LBB23_1496
; %bb.1494:
	s_cmp_gt_i32 s17, 6
	s_cbranch_scc0 .LBB23_1497
; %bb.1495:
	global_load_dwordx2 v[10:11], v[8:9], off
	s_movk_i32 s0, 0x1ff
	s_movk_i32 s1, 0xffe
	v_mov_b32_e32 v5, 0x7c00
	v_mov_b32_e32 v12, 0x7e00
	s_movk_i32 s4, 0x40f
	s_mov_b32 s5, 0x8000
	s_waitcnt vmcnt(0)
	v_and_or_b32 v10, v11, s0, v10
	v_cmp_ne_u32_e32 vcc, 0, v10
	v_lshrrev_b32_e32 v13, 8, v11
	v_bfe_u32 v14, v11, 20, 11
	v_cndmask_b32_e64 v10, 0, 1, vcc
	v_sub_u32_e32 v15, 0x3f1, v14
	v_and_or_b32 v10, v13, s1, v10
	v_add_u32_e32 v14, 0xfffffc10, v14
	v_med3_i32 v13, v15, 0, 13
	v_or_b32_e32 v15, 0x1000, v10
	v_cmp_ne_u32_e32 vcc, 0, v10
	v_lshl_or_b32 v16, v14, 12, v10
	v_cndmask_b32_e32 v10, v5, v12, vcc
	v_lshrrev_b32_e32 v12, v13, v15
	v_lshlrev_b32_e32 v13, v13, v12
	v_cmp_ne_u32_e32 vcc, v13, v15
	v_cndmask_b32_e64 v13, 0, 1, vcc
	v_or_b32_e32 v12, v12, v13
	v_cmp_gt_i32_e32 vcc, 1, v14
	v_cndmask_b32_e32 v12, v16, v12, vcc
	v_and_b32_e32 v13, 7, v12
	v_cmp_lt_i32_e32 vcc, 5, v13
	v_cndmask_b32_e64 v15, 0, 1, vcc
	v_cmp_eq_u32_e32 vcc, 3, v13
	v_cndmask_b32_e64 v13, 0, 1, vcc
	v_lshrrev_b32_e32 v12, 2, v12
	v_or_b32_e32 v13, v13, v15
	v_add_u32_e32 v12, v12, v13
	v_cmp_gt_i32_e32 vcc, 31, v14
	v_cndmask_b32_e32 v5, v5, v12, vcc
	v_cmp_eq_u32_e32 vcc, s4, v14
	v_lshrrev_b32_e32 v11, 16, v11
	v_cndmask_b32_e32 v5, v5, v10, vcc
	v_and_or_b32 v10, v11, s5, v5
	s_mov_b64 s[0:1], 0
	s_branch .LBB23_1498
.LBB23_1496:
	s_mov_b64 s[0:1], -1
                                        ; implicit-def: $vgpr10
	s_branch .LBB23_1501
.LBB23_1497:
	s_mov_b64 s[0:1], -1
                                        ; implicit-def: $vgpr10
.LBB23_1498:
	s_andn2_b64 vcc, exec, s[0:1]
	s_cbranch_vccnz .LBB23_1500
; %bb.1499:
	global_load_dword v5, v[8:9], off
	s_waitcnt vmcnt(0)
	v_cvt_f16_f32_e32 v10, v5
.LBB23_1500:
	s_mov_b64 s[0:1], 0
.LBB23_1501:
	s_andn2_b64 vcc, exec, s[0:1]
	s_cbranch_vccnz .LBB23_1503
; %bb.1502:
	global_load_ushort v10, v[8:9], off
.LBB23_1503:
	s_mov_b64 s[0:1], 0
.LBB23_1504:
	s_andn2_b64 vcc, exec, s[0:1]
	s_cbranch_vccnz .LBB23_1524
; %bb.1505:
	s_cmp_lt_i32 s17, 2
	s_cbranch_scc1 .LBB23_1509
; %bb.1506:
	s_cmp_lt_i32 s17, 3
	s_cbranch_scc1 .LBB23_1510
; %bb.1507:
	s_cmp_gt_i32 s17, 3
	s_cbranch_scc0 .LBB23_1511
; %bb.1508:
	global_load_dwordx2 v[10:11], v[8:9], off
	s_mov_b64 s[0:1], 0
	s_waitcnt vmcnt(0)
	v_xor_b32_e32 v12, v10, v11
	v_ffbh_i32_e32 v5, v11
	v_ashrrev_i32_e32 v12, 31, v12
	v_add_u32_e32 v5, -1, v5
	v_add_u32_e32 v12, 32, v12
	v_min_u32_e32 v5, v5, v12
	v_lshlrev_b64 v[10:11], v5, v[10:11]
	v_sub_u32_e32 v5, 32, v5
	v_min_u32_e32 v10, 1, v10
	v_or_b32_e32 v10, v11, v10
	v_cvt_f32_i32_e32 v10, v10
	v_ldexp_f32 v5, v10, v5
	v_cvt_f16_f32_e32 v10, v5
	s_branch .LBB23_1512
.LBB23_1509:
	s_mov_b64 s[0:1], -1
                                        ; implicit-def: $vgpr10
	s_branch .LBB23_1518
.LBB23_1510:
	s_mov_b64 s[0:1], -1
                                        ; implicit-def: $vgpr10
	s_branch .LBB23_1515
.LBB23_1511:
	s_mov_b64 s[0:1], -1
                                        ; implicit-def: $vgpr10
.LBB23_1512:
	s_andn2_b64 vcc, exec, s[0:1]
	s_cbranch_vccnz .LBB23_1514
; %bb.1513:
	global_load_dword v5, v[8:9], off
	s_waitcnt vmcnt(0)
	v_cvt_f32_i32_e32 v5, v5
	v_cvt_f16_f32_e32 v10, v5
.LBB23_1514:
	s_mov_b64 s[0:1], 0
.LBB23_1515:
	s_andn2_b64 vcc, exec, s[0:1]
	s_cbranch_vccnz .LBB23_1517
; %bb.1516:
	global_load_ushort v5, v[8:9], off
	s_waitcnt vmcnt(0)
	v_cvt_f16_i16_e32 v10, v5
.LBB23_1517:
	s_mov_b64 s[0:1], 0
.LBB23_1518:
	s_andn2_b64 vcc, exec, s[0:1]
	s_cbranch_vccnz .LBB23_1524
; %bb.1519:
	s_cmp_gt_i32 s17, 0
	s_cbranch_scc0 .LBB23_1521
; %bb.1520:
	global_load_sbyte v5, v[8:9], off
	s_mov_b64 s[0:1], 0
	s_waitcnt vmcnt(0)
	v_cvt_f16_i16_e32 v10, v5
	s_branch .LBB23_1522
.LBB23_1521:
	s_mov_b64 s[0:1], -1
                                        ; implicit-def: $vgpr10
.LBB23_1522:
	s_andn2_b64 vcc, exec, s[0:1]
	s_cbranch_vccnz .LBB23_1524
; %bb.1523:
	global_load_ubyte v5, v[8:9], off
	s_waitcnt vmcnt(0)
	v_cvt_f16_u16_e32 v10, v5
.LBB23_1524:
.LBB23_1525:
	v_mov_b32_e32 v5, s11
	v_add_co_u32_e32 v7, vcc, s10, v7
	s_cmp_lt_i32 s17, 11
	v_addc_co_u32_e32 v8, vcc, 0, v5, vcc
	s_cbranch_scc1 .LBB23_1532
; %bb.1526:
	s_cmp_gt_i32 s17, 25
	s_mov_b64 s[4:5], 0
	s_cbranch_scc0 .LBB23_1533
; %bb.1527:
	s_cmp_gt_i32 s17, 28
	s_cbranch_scc0 .LBB23_1534
; %bb.1528:
	s_cmp_gt_i32 s17, 43
	;; [unrolled: 3-line block ×3, first 2 shown]
	s_cbranch_scc0 .LBB23_1537
; %bb.1530:
	s_cmp_eq_u32 s17, 46
	s_mov_b64 s[10:11], 0
	s_cbranch_scc0 .LBB23_1538
; %bb.1531:
	global_load_dword v5, v[7:8], off
	s_mov_b64 s[0:1], 0
	s_mov_b64 s[6:7], -1
	s_waitcnt vmcnt(0)
	v_lshlrev_b32_e32 v5, 16, v5
	v_cvt_f16_f32_e32 v9, v5
	s_branch .LBB23_1539
.LBB23_1532:
	s_mov_b64 s[0:1], -1
	s_mov_b64 s[6:7], 0
                                        ; implicit-def: $vgpr9
	s_branch .LBB23_1605
.LBB23_1533:
	s_mov_b64 s[10:11], -1
	s_mov_b64 s[6:7], 0
	s_mov_b64 s[0:1], 0
                                        ; implicit-def: $vgpr9
	s_branch .LBB23_1568
.LBB23_1534:
	s_mov_b64 s[10:11], -1
	s_mov_b64 s[6:7], 0
	s_mov_b64 s[0:1], 0
                                        ; implicit-def: $vgpr9
	s_branch .LBB23_1549
.LBB23_1535:
	s_mov_b64 s[10:11], -1
	s_mov_b64 s[6:7], 0
	s_mov_b64 s[0:1], 0
                                        ; implicit-def: $vgpr9
	s_branch .LBB23_1544
.LBB23_1536:
	s_trap 2
	s_or_b64 s[2:3], s[2:3], exec
	s_cbranch_execz .LBB23_1475
	s_branch .LBB23_1476
.LBB23_1537:
	s_mov_b64 s[10:11], -1
	s_mov_b64 s[6:7], 0
	s_mov_b64 s[0:1], 0
                                        ; implicit-def: $vgpr9
	s_branch .LBB23_1539
.LBB23_1538:
	s_mov_b64 s[0:1], -1
                                        ; implicit-def: $vgpr9
	s_mov_b64 s[6:7], 0
.LBB23_1539:
	s_and_b64 vcc, exec, s[10:11]
	s_cbranch_vccz .LBB23_1543
; %bb.1540:
	s_cmp_eq_u32 s17, 44
	s_cbranch_scc0 .LBB23_1542
; %bb.1541:
	global_load_ubyte v5, v[7:8], off
	s_movk_i32 s6, 0xff
	v_mov_b32_e32 v11, 0x7e00
	s_mov_b64 s[0:1], 0
	s_waitcnt vmcnt(0)
	v_lshlrev_b32_e32 v9, 23, v5
	v_cvt_f16_f32_e32 v9, v9
	v_cmp_ne_u32_e32 vcc, s6, v5
	s_mov_b64 s[6:7], -1
	v_cndmask_b32_e32 v9, v11, v9, vcc
	v_cmp_ne_u32_e32 vcc, 0, v5
	v_cndmask_b32_e32 v9, 0, v9, vcc
	s_branch .LBB23_1543
.LBB23_1542:
	s_mov_b64 s[0:1], -1
                                        ; implicit-def: $vgpr9
.LBB23_1543:
	s_mov_b64 s[10:11], 0
.LBB23_1544:
	s_and_b64 vcc, exec, s[10:11]
	s_cbranch_vccz .LBB23_1548
; %bb.1545:
	s_cmp_eq_u32 s17, 29
	s_cbranch_scc0 .LBB23_1547
; %bb.1546:
	global_load_dwordx2 v[11:12], v[7:8], off
	s_mov_b64 s[0:1], 0
	s_mov_b64 s[6:7], -1
	s_mov_b64 s[10:11], 0
	s_waitcnt vmcnt(0)
	v_ffbh_u32_e32 v5, v12
	v_min_u32_e32 v5, 32, v5
	v_lshlrev_b64 v[11:12], v5, v[11:12]
	v_sub_u32_e32 v5, 32, v5
	v_min_u32_e32 v9, 1, v11
	v_or_b32_e32 v9, v12, v9
	v_cvt_f32_u32_e32 v9, v9
	v_ldexp_f32 v5, v9, v5
	v_cvt_f16_f32_e32 v9, v5
	s_branch .LBB23_1549
.LBB23_1547:
	s_mov_b64 s[0:1], -1
                                        ; implicit-def: $vgpr9
.LBB23_1548:
	s_mov_b64 s[10:11], 0
.LBB23_1549:
	s_and_b64 vcc, exec, s[10:11]
	s_cbranch_vccz .LBB23_1567
; %bb.1550:
	s_cmp_lt_i32 s17, 27
	s_cbranch_scc1 .LBB23_1553
; %bb.1551:
	s_cmp_gt_i32 s17, 27
	s_cbranch_scc0 .LBB23_1554
; %bb.1552:
	global_load_dword v5, v[7:8], off
	s_mov_b64 s[6:7], 0
	s_waitcnt vmcnt(0)
	v_cvt_f32_u32_e32 v5, v5
	v_cvt_f16_f32_e32 v9, v5
	s_branch .LBB23_1555
.LBB23_1553:
	s_mov_b64 s[6:7], -1
                                        ; implicit-def: $vgpr9
	s_branch .LBB23_1558
.LBB23_1554:
	s_mov_b64 s[6:7], -1
                                        ; implicit-def: $vgpr9
.LBB23_1555:
	s_andn2_b64 vcc, exec, s[6:7]
	s_cbranch_vccnz .LBB23_1557
; %bb.1556:
	global_load_ushort v5, v[7:8], off
	s_waitcnt vmcnt(0)
	v_cvt_f16_u16_e32 v9, v5
.LBB23_1557:
	s_mov_b64 s[6:7], 0
.LBB23_1558:
	s_andn2_b64 vcc, exec, s[6:7]
	s_cbranch_vccnz .LBB23_1566
; %bb.1559:
	global_load_ubyte v5, v[7:8], off
	s_movk_i32 s6, 0x7f
	s_waitcnt vmcnt(0)
	v_cmp_lt_i16_e32 vcc, s6, v5
	s_mov_b64 s[6:7], 0
	s_and_saveexec_b64 s[10:11], vcc
	s_xor_b64 s[10:11], exec, s[10:11]
	s_cbranch_execz .LBB23_1580
; %bb.1560:
	s_movk_i32 s6, 0x80
	v_cmp_eq_u16_e32 vcc, s6, v5
	s_mov_b64 s[6:7], -1
	s_and_saveexec_b64 s[12:13], vcc
; %bb.1561:
	s_xor_b64 s[6:7], exec, -1
; %bb.1562:
	s_or_b64 exec, exec, s[12:13]
	s_and_b64 s[6:7], s[6:7], exec
	s_or_saveexec_b64 s[10:11], s[10:11]
	v_mov_b32_e32 v9, 0x7e00
	s_xor_b64 exec, exec, s[10:11]
	s_cbranch_execnz .LBB23_1581
.LBB23_1563:
	s_or_b64 exec, exec, s[10:11]
	s_and_saveexec_b64 s[10:11], s[6:7]
	s_cbranch_execz .LBB23_1565
.LBB23_1564:
	v_lshlrev_b32_e32 v9, 24, v5
	v_and_b32_e32 v5, 0xffff, v5
	v_and_b32_e32 v11, 7, v5
	v_ffbh_u32_e32 v13, v11
	v_min_u32_e32 v13, 32, v13
	v_subrev_u32_e32 v14, 28, v13
	v_bfe_u32 v12, v5, 3, 4
	v_lshlrev_b32_e32 v5, v14, v5
	v_sub_u32_e32 v13, 29, v13
	v_and_b32_e32 v5, 7, v5
	v_cmp_eq_u32_e32 vcc, 0, v12
	v_cndmask_b32_e32 v12, v12, v13, vcc
	v_cndmask_b32_e32 v5, v11, v5, vcc
	v_mov_b32_e32 v11, 0x3b800000
	v_lshlrev_b32_e32 v5, 20, v5
	v_and_b32_e32 v9, 0x80000000, v9
	v_lshl_add_u32 v11, v12, 23, v11
	v_or3_b32 v5, v9, v11, v5
	v_cvt_f16_f32_e32 v9, v5
.LBB23_1565:
	s_or_b64 exec, exec, s[10:11]
.LBB23_1566:
	s_mov_b64 s[6:7], -1
.LBB23_1567:
	s_mov_b64 s[10:11], 0
.LBB23_1568:
	s_and_b64 vcc, exec, s[10:11]
	s_cbranch_vccz .LBB23_1601
; %bb.1569:
	s_cmp_gt_i32 s17, 22
	s_cbranch_scc0 .LBB23_1579
; %bb.1570:
	s_cmp_lt_i32 s17, 24
	s_cbranch_scc1 .LBB23_1582
; %bb.1571:
	s_cmp_gt_i32 s17, 24
	s_cbranch_scc0 .LBB23_1583
; %bb.1572:
	global_load_ubyte v5, v[7:8], off
	s_movk_i32 s4, 0x7f
	s_waitcnt vmcnt(0)
	v_cmp_lt_i16_e32 vcc, s4, v5
	s_mov_b64 s[4:5], 0
	s_and_saveexec_b64 s[6:7], vcc
	s_xor_b64 s[6:7], exec, s[6:7]
	s_cbranch_execz .LBB23_1595
; %bb.1573:
	s_movk_i32 s4, 0x80
	v_cmp_eq_u16_e32 vcc, s4, v5
	s_mov_b64 s[4:5], -1
	s_and_saveexec_b64 s[10:11], vcc
; %bb.1574:
	s_xor_b64 s[4:5], exec, -1
; %bb.1575:
	s_or_b64 exec, exec, s[10:11]
	s_and_b64 s[4:5], s[4:5], exec
	s_or_saveexec_b64 s[6:7], s[6:7]
	v_mov_b32_e32 v9, 0x7e00
	s_xor_b64 exec, exec, s[6:7]
	s_cbranch_execnz .LBB23_1596
.LBB23_1576:
	s_or_b64 exec, exec, s[6:7]
	s_and_saveexec_b64 s[6:7], s[4:5]
	s_cbranch_execz .LBB23_1578
.LBB23_1577:
	v_lshlrev_b32_e32 v9, 24, v5
	v_and_b32_e32 v5, 0xffff, v5
	v_and_b32_e32 v11, 3, v5
	v_ffbh_u32_e32 v13, v11
	v_min_u32_e32 v13, 32, v13
	v_subrev_u32_e32 v14, 29, v13
	v_bfe_u32 v12, v5, 2, 5
	v_lshlrev_b32_e32 v5, v14, v5
	v_sub_u32_e32 v13, 30, v13
	v_and_b32_e32 v5, 3, v5
	v_cmp_eq_u32_e32 vcc, 0, v12
	v_cndmask_b32_e32 v12, v12, v13, vcc
	v_cndmask_b32_e32 v5, v11, v5, vcc
	v_mov_b32_e32 v11, 0x37800000
	v_lshlrev_b32_e32 v5, 21, v5
	v_and_b32_e32 v9, 0x80000000, v9
	v_lshl_add_u32 v11, v12, 23, v11
	v_or3_b32 v5, v9, v11, v5
	v_cvt_f16_f32_e32 v9, v5
.LBB23_1578:
	s_or_b64 exec, exec, s[6:7]
	s_mov_b64 s[4:5], 0
	s_branch .LBB23_1584
.LBB23_1579:
	s_mov_b64 s[4:5], -1
                                        ; implicit-def: $vgpr9
	s_branch .LBB23_1590
.LBB23_1580:
	s_or_saveexec_b64 s[10:11], s[10:11]
	v_mov_b32_e32 v9, 0x7e00
	s_xor_b64 exec, exec, s[10:11]
	s_cbranch_execz .LBB23_1563
.LBB23_1581:
	v_cmp_ne_u16_e32 vcc, 0, v5
	s_andn2_b64 s[6:7], s[6:7], exec
	s_and_b64 s[12:13], vcc, exec
	s_or_b64 s[6:7], s[6:7], s[12:13]
	v_mov_b32_e32 v9, v5
	s_or_b64 exec, exec, s[10:11]
	s_and_saveexec_b64 s[10:11], s[6:7]
	s_cbranch_execnz .LBB23_1564
	s_branch .LBB23_1565
.LBB23_1582:
	s_mov_b64 s[4:5], -1
                                        ; implicit-def: $vgpr9
	s_branch .LBB23_1587
.LBB23_1583:
	s_mov_b64 s[4:5], -1
                                        ; implicit-def: $vgpr9
.LBB23_1584:
	s_and_b64 vcc, exec, s[4:5]
	s_cbranch_vccz .LBB23_1586
; %bb.1585:
	global_load_ubyte v5, v[7:8], off
	s_mov_b32 s4, 0x7f800000
	s_waitcnt vmcnt(0)
	v_lshlrev_b32_e32 v5, 24, v5
	v_and_b32_e32 v9, 0x7f000000, v5
	v_ffbh_u32_e32 v11, v9
	v_min_u32_e32 v11, 32, v11
	v_sub_u32_e64 v11, v11, 4 clamp
	v_lshlrev_b32_e32 v13, v11, v9
	v_lshlrev_b32_e32 v11, 23, v11
	v_lshrrev_b32_e32 v13, 4, v13
	v_add_u32_e32 v12, 0x1000000, v9
	v_sub_u32_e32 v11, v13, v11
	v_ashrrev_i32_e32 v12, 8, v12
	v_add_u32_e32 v11, 0x3c000000, v11
	v_and_or_b32 v11, v12, s4, v11
	v_cmp_ne_u32_e32 vcc, 0, v9
	v_cndmask_b32_e32 v9, 0, v11, vcc
	s_brev_b32 s4, 1
	v_and_or_b32 v5, v5, s4, v9
	v_cvt_f16_f32_e32 v9, v5
.LBB23_1586:
	s_mov_b64 s[4:5], 0
.LBB23_1587:
	s_andn2_b64 vcc, exec, s[4:5]
	s_cbranch_vccnz .LBB23_1589
; %bb.1588:
	global_load_ubyte v5, v[7:8], off
	s_movk_i32 s4, 0x7f00
	s_brev_b32 s5, 16
	s_waitcnt vmcnt(0)
	v_lshlrev_b16_e32 v9, 8, v5
	v_lshlrev_b32_e32 v5, 25, v5
	v_lshrrev_b32_e32 v11, 4, v5
	v_and_or_b32 v12, v9, s4, 0.5
	v_or_b32_e32 v11, 0x70000000, v11
	v_add_f32_e32 v12, -0.5, v12
	v_mul_f32_e32 v11, 0x7800000, v11
	v_cmp_gt_u32_e32 vcc, s5, v5
	v_bfe_i32 v9, v9, 0, 16
	v_cndmask_b32_e32 v5, v11, v12, vcc
	s_brev_b32 s4, 1
	v_and_or_b32 v5, v9, s4, v5
	v_cvt_f16_f32_e32 v9, v5
.LBB23_1589:
	s_mov_b64 s[4:5], 0
	s_mov_b64 s[6:7], -1
.LBB23_1590:
	s_andn2_b64 vcc, exec, s[4:5]
	s_mov_b64 s[4:5], 0
	s_cbranch_vccnz .LBB23_1601
; %bb.1591:
	s_cmp_gt_i32 s17, 14
	s_cbranch_scc0 .LBB23_1594
; %bb.1592:
	s_cmp_eq_u32 s17, 15
	s_cbranch_scc0 .LBB23_1597
; %bb.1593:
	global_load_ushort v5, v[7:8], off
	s_mov_b64 s[0:1], 0
	s_mov_b64 s[6:7], -1
	s_waitcnt vmcnt(0)
	v_lshlrev_b32_e32 v5, 16, v5
	v_cvt_f16_f32_e32 v9, v5
	s_branch .LBB23_1598
.LBB23_1594:
	s_mov_b64 s[10:11], -1
                                        ; implicit-def: $vgpr9
	s_branch .LBB23_1599
.LBB23_1595:
	s_or_saveexec_b64 s[6:7], s[6:7]
	v_mov_b32_e32 v9, 0x7e00
	s_xor_b64 exec, exec, s[6:7]
	s_cbranch_execz .LBB23_1576
.LBB23_1596:
	v_cmp_ne_u16_e32 vcc, 0, v5
	s_andn2_b64 s[4:5], s[4:5], exec
	s_and_b64 s[10:11], vcc, exec
	s_or_b64 s[4:5], s[4:5], s[10:11]
	v_mov_b32_e32 v9, v5
	s_or_b64 exec, exec, s[6:7]
	s_and_saveexec_b64 s[6:7], s[4:5]
	s_cbranch_execnz .LBB23_1577
	s_branch .LBB23_1578
.LBB23_1597:
	s_mov_b64 s[0:1], -1
                                        ; implicit-def: $vgpr9
.LBB23_1598:
	s_mov_b64 s[10:11], 0
.LBB23_1599:
	s_and_b64 vcc, exec, s[10:11]
	s_cbranch_vccz .LBB23_1601
; %bb.1600:
	s_cmp_lg_u32 s17, 11
	s_mov_b64 s[4:5], -1
	s_cselect_b64 s[0:1], -1, 0
.LBB23_1601:
	s_and_b64 vcc, exec, s[0:1]
	s_cbranch_vccnz .LBB23_2134
; %bb.1602:
	s_andn2_b64 vcc, exec, s[4:5]
	s_cbranch_vccnz .LBB23_1604
.LBB23_1603:
	global_load_ubyte v5, v[7:8], off
	v_mov_b32_e32 v9, 0x3c00
	s_mov_b64 s[6:7], -1
	s_waitcnt vmcnt(0)
	v_cmp_ne_u16_e32 vcc, 0, v5
	v_cndmask_b32_e32 v9, 0, v9, vcc
.LBB23_1604:
	s_mov_b64 s[0:1], 0
.LBB23_1605:
	s_and_b64 vcc, exec, s[0:1]
	s_cbranch_vccz .LBB23_1654
; %bb.1606:
	s_cmp_lt_i32 s17, 5
	s_cbranch_scc1 .LBB23_1611
; %bb.1607:
	s_cmp_lt_i32 s17, 8
	s_cbranch_scc1 .LBB23_1612
	;; [unrolled: 3-line block ×3, first 2 shown]
; %bb.1609:
	s_cmp_gt_i32 s17, 9
	s_cbranch_scc0 .LBB23_1614
; %bb.1610:
	global_load_dwordx2 v[11:12], v[7:8], off
	s_movk_i32 s0, 0x1ff
	s_movk_i32 s1, 0xffe
	v_mov_b32_e32 v5, 0x7c00
	v_mov_b32_e32 v9, 0x7e00
	s_movk_i32 s4, 0x40f
	s_mov_b32 s5, 0x8000
	s_waitcnt vmcnt(0)
	v_and_or_b32 v11, v12, s0, v11
	v_cmp_ne_u32_e32 vcc, 0, v11
	v_lshrrev_b32_e32 v13, 8, v12
	v_bfe_u32 v14, v12, 20, 11
	v_cndmask_b32_e64 v11, 0, 1, vcc
	v_sub_u32_e32 v15, 0x3f1, v14
	v_and_or_b32 v11, v13, s1, v11
	v_add_u32_e32 v14, 0xfffffc10, v14
	v_med3_i32 v13, v15, 0, 13
	v_or_b32_e32 v15, 0x1000, v11
	v_lshl_or_b32 v16, v14, 12, v11
	v_cmp_ne_u32_e32 vcc, 0, v11
	v_lshrrev_b32_e32 v11, v13, v15
	v_lshlrev_b32_e32 v13, v13, v11
	v_cndmask_b32_e32 v9, v5, v9, vcc
	v_cmp_ne_u32_e32 vcc, v13, v15
	v_cndmask_b32_e64 v13, 0, 1, vcc
	v_or_b32_e32 v11, v11, v13
	v_cmp_gt_i32_e32 vcc, 1, v14
	v_cndmask_b32_e32 v11, v16, v11, vcc
	v_and_b32_e32 v13, 7, v11
	v_cmp_lt_i32_e32 vcc, 5, v13
	v_cndmask_b32_e64 v15, 0, 1, vcc
	v_cmp_eq_u32_e32 vcc, 3, v13
	v_cndmask_b32_e64 v13, 0, 1, vcc
	v_lshrrev_b32_e32 v11, 2, v11
	v_or_b32_e32 v13, v13, v15
	v_add_u32_e32 v11, v11, v13
	v_cmp_gt_i32_e32 vcc, 31, v14
	v_cndmask_b32_e32 v5, v5, v11, vcc
	v_cmp_eq_u32_e32 vcc, s4, v14
	v_lshrrev_b32_e32 v12, 16, v12
	v_cndmask_b32_e32 v5, v5, v9, vcc
	v_and_or_b32 v9, v12, s5, v5
	s_mov_b64 s[0:1], 0
	s_branch .LBB23_1615
.LBB23_1611:
	s_mov_b64 s[0:1], -1
                                        ; implicit-def: $vgpr9
	s_branch .LBB23_1633
.LBB23_1612:
	s_mov_b64 s[0:1], -1
                                        ; implicit-def: $vgpr9
	s_branch .LBB23_1621
.LBB23_1613:
	s_mov_b64 s[0:1], -1
                                        ; implicit-def: $vgpr9
	s_branch .LBB23_1618
.LBB23_1614:
	s_mov_b64 s[0:1], -1
                                        ; implicit-def: $vgpr9
.LBB23_1615:
	s_andn2_b64 vcc, exec, s[0:1]
	s_cbranch_vccnz .LBB23_1617
; %bb.1616:
	global_load_dword v5, v[7:8], off
	s_waitcnt vmcnt(0)
	v_cvt_f16_f32_e32 v9, v5
.LBB23_1617:
	s_mov_b64 s[0:1], 0
.LBB23_1618:
	s_andn2_b64 vcc, exec, s[0:1]
	s_cbranch_vccnz .LBB23_1620
; %bb.1619:
	global_load_dword v9, v[7:8], off
.LBB23_1620:
	s_mov_b64 s[0:1], 0
.LBB23_1621:
	s_andn2_b64 vcc, exec, s[0:1]
	s_cbranch_vccnz .LBB23_1632
; %bb.1622:
	s_cmp_lt_i32 s17, 6
	s_cbranch_scc1 .LBB23_1625
; %bb.1623:
	s_cmp_gt_i32 s17, 6
	s_cbranch_scc0 .LBB23_1626
; %bb.1624:
	global_load_dwordx2 v[11:12], v[7:8], off
	s_movk_i32 s0, 0x1ff
	s_movk_i32 s1, 0xffe
	v_mov_b32_e32 v5, 0x7c00
	s_waitcnt vmcnt(1)
	v_mov_b32_e32 v9, 0x7e00
	s_movk_i32 s4, 0x40f
	s_mov_b32 s5, 0x8000
	s_waitcnt vmcnt(0)
	v_and_or_b32 v11, v12, s0, v11
	v_cmp_ne_u32_e32 vcc, 0, v11
	v_lshrrev_b32_e32 v13, 8, v12
	v_bfe_u32 v14, v12, 20, 11
	v_cndmask_b32_e64 v11, 0, 1, vcc
	v_sub_u32_e32 v15, 0x3f1, v14
	v_and_or_b32 v11, v13, s1, v11
	v_add_u32_e32 v14, 0xfffffc10, v14
	v_med3_i32 v13, v15, 0, 13
	v_or_b32_e32 v15, 0x1000, v11
	v_lshl_or_b32 v16, v14, 12, v11
	v_cmp_ne_u32_e32 vcc, 0, v11
	v_lshrrev_b32_e32 v11, v13, v15
	v_lshlrev_b32_e32 v13, v13, v11
	v_cndmask_b32_e32 v9, v5, v9, vcc
	v_cmp_ne_u32_e32 vcc, v13, v15
	v_cndmask_b32_e64 v13, 0, 1, vcc
	v_or_b32_e32 v11, v11, v13
	v_cmp_gt_i32_e32 vcc, 1, v14
	v_cndmask_b32_e32 v11, v16, v11, vcc
	v_and_b32_e32 v13, 7, v11
	v_cmp_lt_i32_e32 vcc, 5, v13
	v_cndmask_b32_e64 v15, 0, 1, vcc
	v_cmp_eq_u32_e32 vcc, 3, v13
	v_cndmask_b32_e64 v13, 0, 1, vcc
	v_lshrrev_b32_e32 v11, 2, v11
	v_or_b32_e32 v13, v13, v15
	v_add_u32_e32 v11, v11, v13
	v_cmp_gt_i32_e32 vcc, 31, v14
	v_cndmask_b32_e32 v5, v5, v11, vcc
	v_cmp_eq_u32_e32 vcc, s4, v14
	v_lshrrev_b32_e32 v12, 16, v12
	v_cndmask_b32_e32 v5, v5, v9, vcc
	v_and_or_b32 v9, v12, s5, v5
	s_mov_b64 s[0:1], 0
	s_branch .LBB23_1627
.LBB23_1625:
	s_mov_b64 s[0:1], -1
                                        ; implicit-def: $vgpr9
	s_branch .LBB23_1630
.LBB23_1626:
	s_mov_b64 s[0:1], -1
                                        ; implicit-def: $vgpr9
.LBB23_1627:
	s_andn2_b64 vcc, exec, s[0:1]
	s_cbranch_vccnz .LBB23_1629
; %bb.1628:
	global_load_dword v5, v[7:8], off
	s_waitcnt vmcnt(0)
	v_cvt_f16_f32_e32 v9, v5
.LBB23_1629:
	s_mov_b64 s[0:1], 0
.LBB23_1630:
	s_andn2_b64 vcc, exec, s[0:1]
	s_cbranch_vccnz .LBB23_1632
; %bb.1631:
	global_load_ushort v9, v[7:8], off
.LBB23_1632:
	s_mov_b64 s[0:1], 0
.LBB23_1633:
	s_andn2_b64 vcc, exec, s[0:1]
	s_cbranch_vccnz .LBB23_1653
; %bb.1634:
	s_cmp_lt_i32 s17, 2
	s_cbranch_scc1 .LBB23_1638
; %bb.1635:
	s_cmp_lt_i32 s17, 3
	s_cbranch_scc1 .LBB23_1639
; %bb.1636:
	s_cmp_gt_i32 s17, 3
	s_cbranch_scc0 .LBB23_1640
; %bb.1637:
	global_load_dwordx2 v[11:12], v[7:8], off
	s_mov_b64 s[0:1], 0
	s_waitcnt vmcnt(0)
	v_xor_b32_e32 v9, v11, v12
	v_ffbh_i32_e32 v5, v12
	v_ashrrev_i32_e32 v9, 31, v9
	v_add_u32_e32 v5, -1, v5
	v_add_u32_e32 v9, 32, v9
	v_min_u32_e32 v5, v5, v9
	v_lshlrev_b64 v[11:12], v5, v[11:12]
	v_sub_u32_e32 v5, 32, v5
	v_min_u32_e32 v9, 1, v11
	v_or_b32_e32 v9, v12, v9
	v_cvt_f32_i32_e32 v9, v9
	v_ldexp_f32 v5, v9, v5
	v_cvt_f16_f32_e32 v9, v5
	s_branch .LBB23_1641
.LBB23_1638:
	s_mov_b64 s[0:1], -1
                                        ; implicit-def: $vgpr9
	s_branch .LBB23_1647
.LBB23_1639:
	s_mov_b64 s[0:1], -1
                                        ; implicit-def: $vgpr9
	s_branch .LBB23_1644
.LBB23_1640:
	s_mov_b64 s[0:1], -1
                                        ; implicit-def: $vgpr9
.LBB23_1641:
	s_andn2_b64 vcc, exec, s[0:1]
	s_cbranch_vccnz .LBB23_1643
; %bb.1642:
	global_load_dword v5, v[7:8], off
	s_waitcnt vmcnt(0)
	v_cvt_f32_i32_e32 v5, v5
	v_cvt_f16_f32_e32 v9, v5
.LBB23_1643:
	s_mov_b64 s[0:1], 0
.LBB23_1644:
	s_andn2_b64 vcc, exec, s[0:1]
	s_cbranch_vccnz .LBB23_1646
; %bb.1645:
	global_load_ushort v5, v[7:8], off
	s_waitcnt vmcnt(0)
	v_cvt_f16_i16_e32 v9, v5
.LBB23_1646:
	s_mov_b64 s[0:1], 0
.LBB23_1647:
	s_andn2_b64 vcc, exec, s[0:1]
	s_cbranch_vccnz .LBB23_1653
; %bb.1648:
	s_cmp_gt_i32 s17, 0
	s_cbranch_scc0 .LBB23_1650
; %bb.1649:
	global_load_sbyte v5, v[7:8], off
	s_mov_b64 s[0:1], 0
	s_waitcnt vmcnt(0)
	v_cvt_f16_i16_e32 v9, v5
	s_branch .LBB23_1651
.LBB23_1650:
	s_mov_b64 s[0:1], -1
                                        ; implicit-def: $vgpr9
.LBB23_1651:
	s_andn2_b64 vcc, exec, s[0:1]
	s_cbranch_vccnz .LBB23_1653
; %bb.1652:
	global_load_ubyte v5, v[7:8], off
	s_waitcnt vmcnt(0)
	v_cvt_f16_u16_e32 v9, v5
.LBB23_1653:
	s_mov_b64 s[6:7], -1
.LBB23_1654:
	s_andn2_b64 vcc, exec, s[6:7]
	s_cbranch_vccnz .LBB23_2088
; %bb.1655:
	s_load_dword s15, s[34:35], 0x158
	s_bfe_u32 s14, s16, 0x80010
	v_mov_b32_e32 v7, s9
	s_waitcnt lgkmcnt(0)
	v_cmp_nge_f16_e64 s[0:1], v1, -s15
	v_cmp_nge_f16_e32 vcc, s15, v1
	s_or_b64 vcc, s[0:1], vcc
	v_cndmask_b32_e32 v1, 0, v1, vcc
	v_add_co_u32_e32 v5, vcc, s8, v6
	s_cmp_lt_i32 s14, 11
	v_addc_co_u32_e32 v6, vcc, 0, v7, vcc
	s_cbranch_scc1 .LBB23_1733
; %bb.1656:
	s_and_b32 s17, 0xffff, s14
	s_mov_b64 s[10:11], -1
	s_mov_b64 s[4:5], 0
	s_cmp_gt_i32 s17, 25
	s_mov_b64 s[6:7], 0
	s_mov_b64 s[0:1], 0
	s_cbranch_scc0 .LBB23_1689
; %bb.1657:
	s_cmp_gt_i32 s17, 28
	s_cbranch_scc0 .LBB23_1672
; %bb.1658:
	s_cmp_gt_i32 s17, 43
	;; [unrolled: 3-line block ×3, first 2 shown]
	s_cbranch_scc0 .LBB23_1662
; %bb.1660:
	s_mov_b64 s[0:1], -1
	s_mov_b64 s[10:11], 0
	s_cmp_eq_u32 s17, 46
	s_cbranch_scc0 .LBB23_1662
; %bb.1661:
	v_cvt_f32_f16_e32 v7, v1
	s_movk_i32 s0, 0x7fff
	v_cmp_o_f16_e32 vcc, v1, v1
	v_mov_b32_e32 v8, 0x7fc0
	v_bfe_u32 v11, v7, 16, 1
	v_add3_u32 v7, v7, v11, s0
	v_cndmask_b32_sdwa v7, v8, v7, vcc dst_sel:DWORD dst_unused:UNUSED_PAD src0_sel:DWORD src1_sel:WORD_1
	global_store_dword v[5:6], v7, off
	s_mov_b64 s[0:1], 0
	s_mov_b64 s[6:7], -1
.LBB23_1662:
	s_and_b64 vcc, exec, s[10:11]
	s_cbranch_vccz .LBB23_1667
; %bb.1663:
	s_cmp_eq_u32 s17, 44
	s_mov_b64 s[0:1], -1
	s_cbranch_scc0 .LBB23_1667
; %bb.1664:
	v_cvt_f32_f16_e32 v7, v1
	s_movk_i32 s0, 0xff
	v_mov_b32_e32 v11, 0xff
	v_bfe_u32 v8, v7, 23, 8
	v_cmp_ne_u32_e32 vcc, s0, v8
	s_and_saveexec_b64 s[6:7], vcc
; %bb.1665:
	s_mov_b32 s0, 0x3fffff
	v_lshrrev_b32_e32 v11, 23, v7
	v_and_b32_e32 v12, 0x400000, v7
	v_and_or_b32 v7, v7, s0, v8
	v_cmp_ne_u32_e32 vcc, 0, v12
	v_cmp_ne_u32_e64 s[0:1], 0, v7
	s_and_b64 s[0:1], vcc, s[0:1]
	v_cndmask_b32_e64 v7, 0, 1, s[0:1]
	v_add_u32_e32 v11, v11, v7
; %bb.1666:
	s_or_b64 exec, exec, s[6:7]
	s_mov_b64 s[0:1], 0
	s_mov_b64 s[6:7], -1
	global_store_byte v[5:6], v11, off
.LBB23_1667:
	s_mov_b64 s[10:11], 0
.LBB23_1668:
	s_and_b64 vcc, exec, s[10:11]
	s_cbranch_vccz .LBB23_1671
; %bb.1669:
	s_cmp_eq_u32 s17, 29
	s_mov_b64 s[0:1], -1
	s_cbranch_scc0 .LBB23_1671
; %bb.1670:
	v_cvt_f32_f16_e32 v7, v1
	v_mov_b32_e32 v8, 0
	s_mov_b64 s[0:1], 0
	s_mov_b64 s[6:7], -1
	v_cvt_u32_f32_e32 v7, v7
	global_store_dwordx2 v[5:6], v[7:8], off
.LBB23_1671:
	s_mov_b64 s[10:11], 0
.LBB23_1672:
	s_and_b64 vcc, exec, s[10:11]
	s_cbranch_vccz .LBB23_1688
; %bb.1673:
	s_cmp_lt_i32 s17, 27
	s_mov_b64 s[6:7], -1
	s_cbranch_scc1 .LBB23_1679
; %bb.1674:
	s_cmp_gt_i32 s17, 27
	s_cbranch_scc0 .LBB23_1676
; %bb.1675:
	v_cvt_f32_f16_e32 v7, v1
	s_mov_b64 s[6:7], 0
	v_cvt_u32_f32_e32 v7, v7
	global_store_dword v[5:6], v7, off
.LBB23_1676:
	s_andn2_b64 vcc, exec, s[6:7]
	s_cbranch_vccnz .LBB23_1678
; %bb.1677:
	v_cvt_u16_f16_e32 v7, v1
	global_store_short v[5:6], v7, off
.LBB23_1678:
	s_mov_b64 s[6:7], 0
.LBB23_1679:
	s_andn2_b64 vcc, exec, s[6:7]
	s_cbranch_vccnz .LBB23_1687
; %bb.1680:
	v_cvt_f32_f16_e32 v7, v1
	s_mov_b32 s6, 0x43800000
	v_mov_b32_e32 v11, 0x80
	v_and_b32_e32 v8, 0x7fffffff, v7
	v_cmp_gt_u32_e32 vcc, s6, v8
	s_and_saveexec_b64 s[6:7], vcc
	s_cbranch_execz .LBB23_1686
; %bb.1681:
	s_mov_b32 s10, 0x3bffffff
	v_cmp_lt_u32_e32 vcc, s10, v8
	s_mov_b64 s[10:11], 0
                                        ; implicit-def: $vgpr8
	s_and_saveexec_b64 s[12:13], vcc
	s_xor_b64 s[12:13], exec, s[12:13]
	s_cbranch_execz .LBB23_2135
; %bb.1682:
	v_bfe_u32 v8, v7, 20, 1
	s_mov_b32 s18, 0x487ffff
	v_add3_u32 v8, v7, v8, s18
	s_mov_b64 s[10:11], exec
	v_lshrrev_b32_e32 v8, 20, v8
	s_andn2_saveexec_b64 s[12:13], s[12:13]
	s_cbranch_execnz .LBB23_2136
.LBB23_1683:
	s_or_b64 exec, exec, s[12:13]
	v_mov_b32_e32 v11, 0
	s_and_saveexec_b64 s[12:13], s[10:11]
.LBB23_1684:
	v_lshrrev_b32_e32 v7, 24, v7
	s_movk_i32 s10, 0x80
	v_and_or_b32 v11, v7, s10, v8
.LBB23_1685:
	s_or_b64 exec, exec, s[12:13]
.LBB23_1686:
	s_or_b64 exec, exec, s[6:7]
	global_store_byte v[5:6], v11, off
.LBB23_1687:
	s_mov_b64 s[6:7], -1
.LBB23_1688:
	s_mov_b64 s[10:11], 0
.LBB23_1689:
	s_and_b64 vcc, exec, s[10:11]
	s_cbranch_vccz .LBB23_1729
; %bb.1690:
	s_cmp_gt_i32 s17, 22
	s_mov_b64 s[4:5], -1
	s_cbranch_scc0 .LBB23_1722
; %bb.1691:
	s_cmp_lt_i32 s17, 24
	s_cbranch_scc1 .LBB23_1711
; %bb.1692:
	s_cmp_gt_i32 s17, 24
	s_cbranch_scc0 .LBB23_1700
; %bb.1693:
	v_cvt_f32_f16_e32 v7, v1
	s_mov_b32 s4, 0x47800000
	v_mov_b32_e32 v11, 0x80
	v_and_b32_e32 v8, 0x7fffffff, v7
	v_cmp_gt_u32_e32 vcc, s4, v8
	s_and_saveexec_b64 s[4:5], vcc
	s_cbranch_execz .LBB23_1699
; %bb.1694:
	s_mov_b32 s6, 0x37ffffff
	v_cmp_lt_u32_e32 vcc, s6, v8
	s_mov_b64 s[6:7], 0
                                        ; implicit-def: $vgpr8
	s_and_saveexec_b64 s[10:11], vcc
	s_xor_b64 s[10:11], exec, s[10:11]
	s_cbranch_execz .LBB23_2138
; %bb.1695:
	v_bfe_u32 v8, v7, 21, 1
	s_mov_b32 s12, 0x88fffff
	v_add3_u32 v8, v7, v8, s12
	s_mov_b64 s[6:7], exec
	v_lshrrev_b32_e32 v8, 21, v8
	s_andn2_saveexec_b64 s[10:11], s[10:11]
	s_cbranch_execnz .LBB23_2139
.LBB23_1696:
	s_or_b64 exec, exec, s[10:11]
	v_mov_b32_e32 v11, 0
	s_and_saveexec_b64 s[10:11], s[6:7]
.LBB23_1697:
	v_lshrrev_b32_e32 v7, 24, v7
	s_movk_i32 s6, 0x80
	v_and_or_b32 v11, v7, s6, v8
.LBB23_1698:
	s_or_b64 exec, exec, s[10:11]
.LBB23_1699:
	s_or_b64 exec, exec, s[4:5]
	s_mov_b64 s[4:5], 0
	global_store_byte v[5:6], v11, off
.LBB23_1700:
	s_and_b64 vcc, exec, s[4:5]
	s_cbranch_vccz .LBB23_1710
; %bb.1701:
	v_cvt_f32_f16_e32 v7, v1
	s_mov_b32 s4, 0x43f00000
                                        ; implicit-def: $vgpr8
	v_and_b32_e32 v11, 0x7fffffff, v7
	v_cmp_gt_u32_e32 vcc, s4, v11
	s_and_saveexec_b64 s[4:5], vcc
	s_xor_b64 s[4:5], exec, s[4:5]
	s_cbranch_execz .LBB23_1707
; %bb.1702:
	s_mov_b32 s6, 0x3c7fffff
	v_cmp_lt_u32_e32 vcc, s6, v11
                                        ; implicit-def: $vgpr8
	s_and_saveexec_b64 s[6:7], vcc
	s_xor_b64 s[6:7], exec, s[6:7]
; %bb.1703:
	v_bfe_u32 v8, v7, 20, 1
	s_mov_b32 s10, 0x407ffff
	v_add3_u32 v8, v7, v8, s10
	v_lshrrev_b32_e32 v11, 20, v8
	v_and_b32_e32 v8, 0xff00000, v8
	s_mov_b32 s10, 0x7f00000
	v_mov_b32_e32 v12, 0x7e
	v_cmp_ne_u32_e32 vcc, s10, v8
	v_cndmask_b32_e32 v8, v12, v11, vcc
; %bb.1704:
	s_andn2_saveexec_b64 s[6:7], s[6:7]
; %bb.1705:
	s_mov_b32 s10, 0x46800000
	v_add_f32_e64 v8, |v7|, s10
; %bb.1706:
	s_or_b64 exec, exec, s[6:7]
                                        ; implicit-def: $vgpr11
.LBB23_1707:
	s_andn2_saveexec_b64 s[4:5], s[4:5]
; %bb.1708:
	s_mov_b32 s6, 0x7f800000
	v_mov_b32_e32 v8, 0x7e
	v_mov_b32_e32 v12, 0x7f
	v_cmp_lt_u32_e32 vcc, s6, v11
	v_cndmask_b32_e32 v8, v8, v12, vcc
; %bb.1709:
	s_or_b64 exec, exec, s[4:5]
	v_lshrrev_b32_e32 v7, 24, v7
	s_movk_i32 s4, 0x80
	v_and_or_b32 v7, v7, s4, v8
	global_store_byte v[5:6], v7, off
.LBB23_1710:
	s_mov_b64 s[4:5], 0
.LBB23_1711:
	s_andn2_b64 vcc, exec, s[4:5]
	s_cbranch_vccnz .LBB23_1721
; %bb.1712:
	v_cvt_f32_f16_e32 v7, v1
	s_mov_b32 s4, 0x47800000
                                        ; implicit-def: $vgpr8
	v_and_b32_e32 v11, 0x7fffffff, v7
	v_cmp_gt_u32_e32 vcc, s4, v11
	s_and_saveexec_b64 s[4:5], vcc
	s_xor_b64 s[4:5], exec, s[4:5]
	s_cbranch_execz .LBB23_1718
; %bb.1713:
	s_mov_b32 s6, 0x387fffff
	v_cmp_lt_u32_e32 vcc, s6, v11
                                        ; implicit-def: $vgpr8
	s_and_saveexec_b64 s[6:7], vcc
	s_xor_b64 s[6:7], exec, s[6:7]
; %bb.1714:
	v_bfe_u32 v8, v7, 21, 1
	s_mov_b32 s10, 0x80fffff
	v_add3_u32 v8, v7, v8, s10
	v_lshrrev_b32_e32 v8, 21, v8
; %bb.1715:
	s_andn2_saveexec_b64 s[6:7], s[6:7]
; %bb.1716:
	s_mov_b32 s10, 0x43000000
	v_add_f32_e64 v8, |v7|, s10
; %bb.1717:
	s_or_b64 exec, exec, s[6:7]
                                        ; implicit-def: $vgpr11
.LBB23_1718:
	s_andn2_saveexec_b64 s[4:5], s[4:5]
; %bb.1719:
	s_mov_b32 s6, 0x7f800000
	v_mov_b32_e32 v8, 0x7c
	v_mov_b32_e32 v12, 0x7f
	v_cmp_lt_u32_e32 vcc, s6, v11
	v_cndmask_b32_e32 v8, v8, v12, vcc
; %bb.1720:
	s_or_b64 exec, exec, s[4:5]
	v_lshrrev_b32_e32 v7, 24, v7
	s_movk_i32 s4, 0x80
	v_and_or_b32 v7, v7, s4, v8
	global_store_byte v[5:6], v7, off
.LBB23_1721:
	s_mov_b64 s[4:5], 0
	s_mov_b64 s[6:7], -1
.LBB23_1722:
	s_andn2_b64 vcc, exec, s[4:5]
	s_mov_b64 s[4:5], 0
	s_cbranch_vccnz .LBB23_1729
; %bb.1723:
	s_cmp_gt_i32 s17, 14
	s_mov_b64 s[10:11], -1
	s_cbranch_scc0 .LBB23_1727
; %bb.1724:
	s_cmp_eq_u32 s17, 15
	s_mov_b64 s[0:1], -1
	s_cbranch_scc0 .LBB23_1726
; %bb.1725:
	v_cvt_f32_f16_e32 v7, v1
	s_movk_i32 s0, 0x7fff
	v_cmp_o_f16_e32 vcc, v1, v1
	v_mov_b32_e32 v8, 0x7fc0
	v_bfe_u32 v11, v7, 16, 1
	v_add3_u32 v7, v7, v11, s0
	v_cndmask_b32_sdwa v7, v8, v7, vcc dst_sel:DWORD dst_unused:UNUSED_PAD src0_sel:DWORD src1_sel:WORD_1
	global_store_short v[5:6], v7, off
	s_mov_b64 s[0:1], 0
	s_mov_b64 s[6:7], -1
.LBB23_1726:
	s_mov_b64 s[10:11], 0
.LBB23_1727:
	s_and_b64 vcc, exec, s[10:11]
	s_cbranch_vccz .LBB23_1729
; %bb.1728:
	s_cmp_lg_u32 s17, 11
	s_mov_b64 s[4:5], -1
	s_cselect_b64 s[0:1], -1, 0
.LBB23_1729:
	s_and_b64 vcc, exec, s[0:1]
	s_cbranch_vccnz .LBB23_2137
; %bb.1730:
	s_andn2_b64 vcc, exec, s[4:5]
	s_cbranch_vccnz .LBB23_1732
.LBB23_1731:
	v_and_b32_e32 v7, 0x7fff, v1
	v_cmp_ne_u16_e32 vcc, 0, v7
	v_cndmask_b32_e64 v7, 0, 1, vcc
	s_mov_b64 s[6:7], -1
	global_store_byte v[5:6], v7, off
.LBB23_1732:
	s_mov_b64 s[0:1], 0
	s_branch .LBB23_1734
.LBB23_1733:
	s_mov_b64 s[0:1], -1
	s_mov_b64 s[6:7], 0
.LBB23_1734:
	s_and_b64 vcc, exec, s[0:1]
	s_cbranch_vccz .LBB23_1773
; %bb.1735:
	s_and_b32 s4, 0xffff, s14
	s_cmp_lt_i32 s4, 5
	s_mov_b64 s[0:1], -1
	s_cbranch_scc1 .LBB23_1756
; %bb.1736:
	s_cmp_lt_i32 s4, 8
	s_cbranch_scc1 .LBB23_1746
; %bb.1737:
	s_cmp_lt_i32 s4, 9
	s_cbranch_scc1 .LBB23_1743
; %bb.1738:
	s_cmp_gt_i32 s4, 9
	s_cbranch_scc0 .LBB23_1740
; %bb.1739:
	v_cvt_f32_f16_e32 v7, v1
	v_mov_b32_e32 v13, 0
	v_mov_b32_e32 v14, v13
	s_mov_b64 s[0:1], 0
	v_cvt_f64_f32_e32 v[11:12], v7
	global_store_dwordx4 v[5:6], v[11:14], off
.LBB23_1740:
	s_andn2_b64 vcc, exec, s[0:1]
	s_cbranch_vccnz .LBB23_1742
; %bb.1741:
	v_cvt_f32_f16_e32 v7, v1
	v_mov_b32_e32 v8, 0
	global_store_dwordx2 v[5:6], v[7:8], off
.LBB23_1742:
	s_mov_b64 s[0:1], 0
.LBB23_1743:
	s_andn2_b64 vcc, exec, s[0:1]
	s_cbranch_vccnz .LBB23_1745
; %bb.1744:
	v_and_b32_e32 v7, 0xffff, v1
	global_store_dword v[5:6], v7, off
.LBB23_1745:
	s_mov_b64 s[0:1], 0
.LBB23_1746:
	s_andn2_b64 vcc, exec, s[0:1]
	s_cbranch_vccnz .LBB23_1755
; %bb.1747:
	s_cmp_lt_i32 s4, 6
	s_mov_b64 s[0:1], -1
	s_cbranch_scc1 .LBB23_1753
; %bb.1748:
	s_cmp_gt_i32 s4, 6
	s_cbranch_scc0 .LBB23_1750
; %bb.1749:
	v_cvt_f32_f16_e32 v7, v1
	s_mov_b64 s[0:1], 0
	v_cvt_f64_f32_e32 v[7:8], v7
	global_store_dwordx2 v[5:6], v[7:8], off
.LBB23_1750:
	s_andn2_b64 vcc, exec, s[0:1]
	s_cbranch_vccnz .LBB23_1752
; %bb.1751:
	v_cvt_f32_f16_e32 v7, v1
	global_store_dword v[5:6], v7, off
.LBB23_1752:
	s_mov_b64 s[0:1], 0
.LBB23_1753:
	s_andn2_b64 vcc, exec, s[0:1]
	s_cbranch_vccnz .LBB23_1755
; %bb.1754:
	global_store_short v[5:6], v1, off
.LBB23_1755:
	s_mov_b64 s[0:1], 0
.LBB23_1756:
	s_andn2_b64 vcc, exec, s[0:1]
	s_cbranch_vccnz .LBB23_1772
; %bb.1757:
	s_cmp_lt_i32 s4, 2
	s_mov_b64 s[0:1], -1
	s_cbranch_scc1 .LBB23_1767
; %bb.1758:
	s_cmp_lt_i32 s4, 3
	s_cbranch_scc1 .LBB23_1764
; %bb.1759:
	s_cmp_gt_i32 s4, 3
	s_cbranch_scc0 .LBB23_1761
; %bb.1760:
	v_cvt_f32_f16_e32 v7, v1
	s_mov_b64 s[0:1], 0
	v_cvt_i32_f32_e32 v7, v7
	v_ashrrev_i32_e32 v8, 31, v7
	global_store_dwordx2 v[5:6], v[7:8], off
.LBB23_1761:
	s_andn2_b64 vcc, exec, s[0:1]
	s_cbranch_vccnz .LBB23_1763
; %bb.1762:
	v_cvt_f32_f16_e32 v7, v1
	v_cvt_i32_f32_e32 v7, v7
	global_store_dword v[5:6], v7, off
.LBB23_1763:
	s_mov_b64 s[0:1], 0
.LBB23_1764:
	s_andn2_b64 vcc, exec, s[0:1]
	s_cbranch_vccnz .LBB23_1766
; %bb.1765:
	v_cvt_i16_f16_e32 v7, v1
	global_store_short v[5:6], v7, off
.LBB23_1766:
	s_mov_b64 s[0:1], 0
.LBB23_1767:
	s_andn2_b64 vcc, exec, s[0:1]
	s_cbranch_vccnz .LBB23_1772
; %bb.1768:
	s_cmp_gt_i32 s4, 0
	s_mov_b64 s[0:1], -1
	s_cbranch_scc0 .LBB23_1770
; %bb.1769:
	v_cvt_i16_f16_e32 v7, v1
	global_store_byte v[5:6], v7, off
	s_mov_b64 s[0:1], 0
.LBB23_1770:
	s_andn2_b64 vcc, exec, s[0:1]
	s_cbranch_vccnz .LBB23_1772
; %bb.1771:
	v_cvt_f32_f16_e32 v1, v1
	v_cvt_i32_f32_e32 v1, v1
	global_store_byte v[5:6], v1, off
.LBB23_1772:
	s_mov_b64 s[6:7], -1
.LBB23_1773:
	s_andn2_b64 vcc, exec, s[6:7]
	s_cbranch_vccnz .LBB23_2088
; %bb.1774:
	s_lshr_b32 s0, s16, 16
	s_and_b32 s14, s0, 0xff
	s_waitcnt vmcnt(0)
	v_cmp_nge_f16_e64 s[0:1], v3, -s15
	v_cmp_nge_f16_e32 vcc, s15, v3
	s_or_b64 vcc, s[0:1], vcc
	v_cndmask_b32_e32 v1, 0, v3, vcc
	v_mov_b32_e32 v5, s9
	v_add_co_u32_e32 v3, vcc, s8, v4
	s_cmp_lt_i32 s14, 11
	v_addc_co_u32_e32 v4, vcc, 0, v5, vcc
	s_cbranch_scc1 .LBB23_1852
; %bb.1775:
	s_and_b32 s16, 0xffff, s14
	s_mov_b64 s[10:11], -1
	s_mov_b64 s[4:5], 0
	s_cmp_gt_i32 s16, 25
	s_mov_b64 s[6:7], 0
	s_mov_b64 s[0:1], 0
	s_cbranch_scc0 .LBB23_1808
; %bb.1776:
	s_cmp_gt_i32 s16, 28
	s_cbranch_scc0 .LBB23_1791
; %bb.1777:
	s_cmp_gt_i32 s16, 43
	;; [unrolled: 3-line block ×3, first 2 shown]
	s_cbranch_scc0 .LBB23_1781
; %bb.1779:
	s_mov_b64 s[0:1], -1
	s_mov_b64 s[10:11], 0
	s_cmp_eq_u32 s16, 46
	s_cbranch_scc0 .LBB23_1781
; %bb.1780:
	v_cvt_f32_f16_e32 v5, v1
	s_movk_i32 s0, 0x7fff
	v_cmp_o_f16_e32 vcc, v1, v1
	v_mov_b32_e32 v6, 0x7fc0
	v_bfe_u32 v7, v5, 16, 1
	v_add3_u32 v5, v5, v7, s0
	v_cndmask_b32_sdwa v5, v6, v5, vcc dst_sel:DWORD dst_unused:UNUSED_PAD src0_sel:DWORD src1_sel:WORD_1
	global_store_dword v[3:4], v5, off
	s_mov_b64 s[0:1], 0
	s_mov_b64 s[6:7], -1
.LBB23_1781:
	s_and_b64 vcc, exec, s[10:11]
	s_cbranch_vccz .LBB23_1786
; %bb.1782:
	s_cmp_eq_u32 s16, 44
	s_mov_b64 s[0:1], -1
	s_cbranch_scc0 .LBB23_1786
; %bb.1783:
	v_cvt_f32_f16_e32 v5, v1
	s_movk_i32 s0, 0xff
	v_mov_b32_e32 v7, 0xff
	v_bfe_u32 v6, v5, 23, 8
	v_cmp_ne_u32_e32 vcc, s0, v6
	s_and_saveexec_b64 s[6:7], vcc
; %bb.1784:
	s_mov_b32 s0, 0x3fffff
	v_lshrrev_b32_e32 v7, 23, v5
	v_and_b32_e32 v8, 0x400000, v5
	v_and_or_b32 v5, v5, s0, v6
	v_cmp_ne_u32_e32 vcc, 0, v8
	v_cmp_ne_u32_e64 s[0:1], 0, v5
	s_and_b64 s[0:1], vcc, s[0:1]
	v_cndmask_b32_e64 v5, 0, 1, s[0:1]
	v_add_u32_e32 v7, v7, v5
; %bb.1785:
	s_or_b64 exec, exec, s[6:7]
	s_mov_b64 s[0:1], 0
	s_mov_b64 s[6:7], -1
	global_store_byte v[3:4], v7, off
.LBB23_1786:
	s_mov_b64 s[10:11], 0
.LBB23_1787:
	s_and_b64 vcc, exec, s[10:11]
	s_cbranch_vccz .LBB23_1790
; %bb.1788:
	s_cmp_eq_u32 s16, 29
	s_mov_b64 s[0:1], -1
	s_cbranch_scc0 .LBB23_1790
; %bb.1789:
	v_cvt_f32_f16_e32 v5, v1
	v_mov_b32_e32 v6, 0
	s_mov_b64 s[0:1], 0
	s_mov_b64 s[6:7], -1
	v_cvt_u32_f32_e32 v5, v5
	global_store_dwordx2 v[3:4], v[5:6], off
.LBB23_1790:
	s_mov_b64 s[10:11], 0
.LBB23_1791:
	s_and_b64 vcc, exec, s[10:11]
	s_cbranch_vccz .LBB23_1807
; %bb.1792:
	s_cmp_lt_i32 s16, 27
	s_mov_b64 s[6:7], -1
	s_cbranch_scc1 .LBB23_1798
; %bb.1793:
	s_cmp_gt_i32 s16, 27
	s_cbranch_scc0 .LBB23_1795
; %bb.1794:
	v_cvt_f32_f16_e32 v5, v1
	s_mov_b64 s[6:7], 0
	v_cvt_u32_f32_e32 v5, v5
	global_store_dword v[3:4], v5, off
.LBB23_1795:
	s_andn2_b64 vcc, exec, s[6:7]
	s_cbranch_vccnz .LBB23_1797
; %bb.1796:
	v_cvt_u16_f16_e32 v5, v1
	global_store_short v[3:4], v5, off
.LBB23_1797:
	s_mov_b64 s[6:7], 0
.LBB23_1798:
	s_andn2_b64 vcc, exec, s[6:7]
	s_cbranch_vccnz .LBB23_1806
; %bb.1799:
	v_cvt_f32_f16_e32 v5, v1
	s_mov_b32 s6, 0x43800000
	v_mov_b32_e32 v7, 0x80
	v_and_b32_e32 v6, 0x7fffffff, v5
	v_cmp_gt_u32_e32 vcc, s6, v6
	s_and_saveexec_b64 s[6:7], vcc
	s_cbranch_execz .LBB23_1805
; %bb.1800:
	s_mov_b32 s10, 0x3bffffff
	v_cmp_lt_u32_e32 vcc, s10, v6
	s_mov_b64 s[10:11], 0
                                        ; implicit-def: $vgpr6
	s_and_saveexec_b64 s[12:13], vcc
	s_xor_b64 s[12:13], exec, s[12:13]
	s_cbranch_execz .LBB23_2140
; %bb.1801:
	v_bfe_u32 v6, v5, 20, 1
	s_mov_b32 s17, 0x487ffff
	v_add3_u32 v6, v5, v6, s17
	s_mov_b64 s[10:11], exec
	v_lshrrev_b32_e32 v6, 20, v6
	s_andn2_saveexec_b64 s[12:13], s[12:13]
	s_cbranch_execnz .LBB23_2141
.LBB23_1802:
	s_or_b64 exec, exec, s[12:13]
	v_mov_b32_e32 v7, 0
	s_and_saveexec_b64 s[12:13], s[10:11]
.LBB23_1803:
	v_lshrrev_b32_e32 v5, 24, v5
	s_movk_i32 s10, 0x80
	v_and_or_b32 v7, v5, s10, v6
.LBB23_1804:
	s_or_b64 exec, exec, s[12:13]
.LBB23_1805:
	s_or_b64 exec, exec, s[6:7]
	global_store_byte v[3:4], v7, off
.LBB23_1806:
	s_mov_b64 s[6:7], -1
.LBB23_1807:
	s_mov_b64 s[10:11], 0
.LBB23_1808:
	s_and_b64 vcc, exec, s[10:11]
	s_cbranch_vccz .LBB23_1848
; %bb.1809:
	s_cmp_gt_i32 s16, 22
	s_mov_b64 s[4:5], -1
	s_cbranch_scc0 .LBB23_1841
; %bb.1810:
	s_cmp_lt_i32 s16, 24
	s_cbranch_scc1 .LBB23_1830
; %bb.1811:
	s_cmp_gt_i32 s16, 24
	s_cbranch_scc0 .LBB23_1819
; %bb.1812:
	v_cvt_f32_f16_e32 v5, v1
	s_mov_b32 s4, 0x47800000
	v_mov_b32_e32 v7, 0x80
	v_and_b32_e32 v6, 0x7fffffff, v5
	v_cmp_gt_u32_e32 vcc, s4, v6
	s_and_saveexec_b64 s[4:5], vcc
	s_cbranch_execz .LBB23_1818
; %bb.1813:
	s_mov_b32 s6, 0x37ffffff
	v_cmp_lt_u32_e32 vcc, s6, v6
	s_mov_b64 s[6:7], 0
                                        ; implicit-def: $vgpr6
	s_and_saveexec_b64 s[10:11], vcc
	s_xor_b64 s[10:11], exec, s[10:11]
	s_cbranch_execz .LBB23_2143
; %bb.1814:
	v_bfe_u32 v6, v5, 21, 1
	s_mov_b32 s12, 0x88fffff
	v_add3_u32 v6, v5, v6, s12
	s_mov_b64 s[6:7], exec
	v_lshrrev_b32_e32 v6, 21, v6
	s_andn2_saveexec_b64 s[10:11], s[10:11]
	s_cbranch_execnz .LBB23_2144
.LBB23_1815:
	s_or_b64 exec, exec, s[10:11]
	v_mov_b32_e32 v7, 0
	s_and_saveexec_b64 s[10:11], s[6:7]
.LBB23_1816:
	v_lshrrev_b32_e32 v5, 24, v5
	s_movk_i32 s6, 0x80
	v_and_or_b32 v7, v5, s6, v6
.LBB23_1817:
	s_or_b64 exec, exec, s[10:11]
.LBB23_1818:
	s_or_b64 exec, exec, s[4:5]
	s_mov_b64 s[4:5], 0
	global_store_byte v[3:4], v7, off
.LBB23_1819:
	s_and_b64 vcc, exec, s[4:5]
	s_cbranch_vccz .LBB23_1829
; %bb.1820:
	v_cvt_f32_f16_e32 v5, v1
	s_mov_b32 s4, 0x43f00000
                                        ; implicit-def: $vgpr6
	v_and_b32_e32 v7, 0x7fffffff, v5
	v_cmp_gt_u32_e32 vcc, s4, v7
	s_and_saveexec_b64 s[4:5], vcc
	s_xor_b64 s[4:5], exec, s[4:5]
	s_cbranch_execz .LBB23_1826
; %bb.1821:
	s_mov_b32 s6, 0x3c7fffff
	v_cmp_lt_u32_e32 vcc, s6, v7
                                        ; implicit-def: $vgpr6
	s_and_saveexec_b64 s[6:7], vcc
	s_xor_b64 s[6:7], exec, s[6:7]
; %bb.1822:
	v_bfe_u32 v6, v5, 20, 1
	s_mov_b32 s10, 0x407ffff
	v_add3_u32 v6, v5, v6, s10
	v_lshrrev_b32_e32 v7, 20, v6
	v_and_b32_e32 v6, 0xff00000, v6
	s_mov_b32 s10, 0x7f00000
	v_mov_b32_e32 v8, 0x7e
	v_cmp_ne_u32_e32 vcc, s10, v6
	v_cndmask_b32_e32 v6, v8, v7, vcc
; %bb.1823:
	s_andn2_saveexec_b64 s[6:7], s[6:7]
; %bb.1824:
	s_mov_b32 s10, 0x46800000
	v_add_f32_e64 v6, |v5|, s10
; %bb.1825:
	s_or_b64 exec, exec, s[6:7]
                                        ; implicit-def: $vgpr7
.LBB23_1826:
	s_andn2_saveexec_b64 s[4:5], s[4:5]
; %bb.1827:
	s_mov_b32 s6, 0x7f800000
	v_mov_b32_e32 v6, 0x7e
	v_mov_b32_e32 v8, 0x7f
	v_cmp_lt_u32_e32 vcc, s6, v7
	v_cndmask_b32_e32 v6, v6, v8, vcc
; %bb.1828:
	s_or_b64 exec, exec, s[4:5]
	v_lshrrev_b32_e32 v5, 24, v5
	s_movk_i32 s4, 0x80
	v_and_or_b32 v5, v5, s4, v6
	global_store_byte v[3:4], v5, off
.LBB23_1829:
	s_mov_b64 s[4:5], 0
.LBB23_1830:
	s_andn2_b64 vcc, exec, s[4:5]
	s_cbranch_vccnz .LBB23_1840
; %bb.1831:
	v_cvt_f32_f16_e32 v5, v1
	s_mov_b32 s4, 0x47800000
                                        ; implicit-def: $vgpr6
	v_and_b32_e32 v7, 0x7fffffff, v5
	v_cmp_gt_u32_e32 vcc, s4, v7
	s_and_saveexec_b64 s[4:5], vcc
	s_xor_b64 s[4:5], exec, s[4:5]
	s_cbranch_execz .LBB23_1837
; %bb.1832:
	s_mov_b32 s6, 0x387fffff
	v_cmp_lt_u32_e32 vcc, s6, v7
                                        ; implicit-def: $vgpr6
	s_and_saveexec_b64 s[6:7], vcc
	s_xor_b64 s[6:7], exec, s[6:7]
; %bb.1833:
	v_bfe_u32 v6, v5, 21, 1
	s_mov_b32 s10, 0x80fffff
	v_add3_u32 v6, v5, v6, s10
	v_lshrrev_b32_e32 v6, 21, v6
; %bb.1834:
	s_andn2_saveexec_b64 s[6:7], s[6:7]
; %bb.1835:
	s_mov_b32 s10, 0x43000000
	v_add_f32_e64 v6, |v5|, s10
; %bb.1836:
	s_or_b64 exec, exec, s[6:7]
                                        ; implicit-def: $vgpr7
.LBB23_1837:
	s_andn2_saveexec_b64 s[4:5], s[4:5]
; %bb.1838:
	s_mov_b32 s6, 0x7f800000
	v_mov_b32_e32 v6, 0x7c
	v_mov_b32_e32 v8, 0x7f
	v_cmp_lt_u32_e32 vcc, s6, v7
	v_cndmask_b32_e32 v6, v6, v8, vcc
; %bb.1839:
	s_or_b64 exec, exec, s[4:5]
	v_lshrrev_b32_e32 v5, 24, v5
	s_movk_i32 s4, 0x80
	v_and_or_b32 v5, v5, s4, v6
	global_store_byte v[3:4], v5, off
.LBB23_1840:
	s_mov_b64 s[4:5], 0
	s_mov_b64 s[6:7], -1
.LBB23_1841:
	s_andn2_b64 vcc, exec, s[4:5]
	s_mov_b64 s[4:5], 0
	s_cbranch_vccnz .LBB23_1848
; %bb.1842:
	s_cmp_gt_i32 s16, 14
	s_mov_b64 s[10:11], -1
	s_cbranch_scc0 .LBB23_1846
; %bb.1843:
	s_cmp_eq_u32 s16, 15
	s_mov_b64 s[0:1], -1
	s_cbranch_scc0 .LBB23_1845
; %bb.1844:
	v_cvt_f32_f16_e32 v5, v1
	s_movk_i32 s0, 0x7fff
	v_cmp_o_f16_e32 vcc, v1, v1
	v_mov_b32_e32 v6, 0x7fc0
	v_bfe_u32 v7, v5, 16, 1
	v_add3_u32 v5, v5, v7, s0
	v_cndmask_b32_sdwa v5, v6, v5, vcc dst_sel:DWORD dst_unused:UNUSED_PAD src0_sel:DWORD src1_sel:WORD_1
	global_store_short v[3:4], v5, off
	s_mov_b64 s[0:1], 0
	s_mov_b64 s[6:7], -1
.LBB23_1845:
	s_mov_b64 s[10:11], 0
.LBB23_1846:
	s_and_b64 vcc, exec, s[10:11]
	s_cbranch_vccz .LBB23_1848
; %bb.1847:
	s_cmp_lg_u32 s16, 11
	s_mov_b64 s[4:5], -1
	s_cselect_b64 s[0:1], -1, 0
.LBB23_1848:
	s_and_b64 vcc, exec, s[0:1]
	s_cbranch_vccnz .LBB23_2142
; %bb.1849:
	s_andn2_b64 vcc, exec, s[4:5]
	s_cbranch_vccnz .LBB23_1851
.LBB23_1850:
	v_and_b32_e32 v5, 0x7fff, v1
	v_cmp_ne_u16_e32 vcc, 0, v5
	v_cndmask_b32_e64 v5, 0, 1, vcc
	s_mov_b64 s[6:7], -1
	global_store_byte v[3:4], v5, off
.LBB23_1851:
	s_mov_b64 s[0:1], 0
	s_branch .LBB23_1853
.LBB23_1852:
	s_mov_b64 s[0:1], -1
	s_mov_b64 s[6:7], 0
.LBB23_1853:
	s_and_b64 vcc, exec, s[0:1]
	s_cbranch_vccz .LBB23_1892
; %bb.1854:
	s_and_b32 s4, 0xffff, s14
	s_cmp_lt_i32 s4, 5
	s_mov_b64 s[0:1], -1
	s_cbranch_scc1 .LBB23_1875
; %bb.1855:
	s_cmp_lt_i32 s4, 8
	s_cbranch_scc1 .LBB23_1865
; %bb.1856:
	s_cmp_lt_i32 s4, 9
	s_cbranch_scc1 .LBB23_1862
; %bb.1857:
	s_cmp_gt_i32 s4, 9
	s_cbranch_scc0 .LBB23_1859
; %bb.1858:
	v_cvt_f32_f16_e32 v5, v1
	v_mov_b32_e32 v7, 0
	v_mov_b32_e32 v8, v7
	s_mov_b64 s[0:1], 0
	v_cvt_f64_f32_e32 v[5:6], v5
	global_store_dwordx4 v[3:4], v[5:8], off
.LBB23_1859:
	s_andn2_b64 vcc, exec, s[0:1]
	s_cbranch_vccnz .LBB23_1861
; %bb.1860:
	v_cvt_f32_f16_e32 v5, v1
	v_mov_b32_e32 v6, 0
	global_store_dwordx2 v[3:4], v[5:6], off
.LBB23_1861:
	s_mov_b64 s[0:1], 0
.LBB23_1862:
	s_andn2_b64 vcc, exec, s[0:1]
	s_cbranch_vccnz .LBB23_1864
; %bb.1863:
	v_and_b32_e32 v5, 0xffff, v1
	global_store_dword v[3:4], v5, off
.LBB23_1864:
	s_mov_b64 s[0:1], 0
.LBB23_1865:
	s_andn2_b64 vcc, exec, s[0:1]
	s_cbranch_vccnz .LBB23_1874
; %bb.1866:
	s_cmp_lt_i32 s4, 6
	s_mov_b64 s[0:1], -1
	s_cbranch_scc1 .LBB23_1872
; %bb.1867:
	s_cmp_gt_i32 s4, 6
	s_cbranch_scc0 .LBB23_1869
; %bb.1868:
	v_cvt_f32_f16_e32 v5, v1
	s_mov_b64 s[0:1], 0
	v_cvt_f64_f32_e32 v[5:6], v5
	global_store_dwordx2 v[3:4], v[5:6], off
.LBB23_1869:
	s_andn2_b64 vcc, exec, s[0:1]
	s_cbranch_vccnz .LBB23_1871
; %bb.1870:
	v_cvt_f32_f16_e32 v5, v1
	global_store_dword v[3:4], v5, off
.LBB23_1871:
	s_mov_b64 s[0:1], 0
.LBB23_1872:
	s_andn2_b64 vcc, exec, s[0:1]
	s_cbranch_vccnz .LBB23_1874
; %bb.1873:
	global_store_short v[3:4], v1, off
.LBB23_1874:
	s_mov_b64 s[0:1], 0
.LBB23_1875:
	s_andn2_b64 vcc, exec, s[0:1]
	s_cbranch_vccnz .LBB23_1891
; %bb.1876:
	s_cmp_lt_i32 s4, 2
	s_mov_b64 s[0:1], -1
	s_cbranch_scc1 .LBB23_1886
; %bb.1877:
	s_cmp_lt_i32 s4, 3
	s_cbranch_scc1 .LBB23_1883
; %bb.1878:
	s_cmp_gt_i32 s4, 3
	s_cbranch_scc0 .LBB23_1880
; %bb.1879:
	v_cvt_f32_f16_e32 v5, v1
	s_mov_b64 s[0:1], 0
	v_cvt_i32_f32_e32 v5, v5
	v_ashrrev_i32_e32 v6, 31, v5
	global_store_dwordx2 v[3:4], v[5:6], off
.LBB23_1880:
	s_andn2_b64 vcc, exec, s[0:1]
	s_cbranch_vccnz .LBB23_1882
; %bb.1881:
	v_cvt_f32_f16_e32 v5, v1
	v_cvt_i32_f32_e32 v5, v5
	global_store_dword v[3:4], v5, off
.LBB23_1882:
	s_mov_b64 s[0:1], 0
.LBB23_1883:
	s_andn2_b64 vcc, exec, s[0:1]
	s_cbranch_vccnz .LBB23_1885
; %bb.1884:
	v_cvt_i16_f16_e32 v5, v1
	global_store_short v[3:4], v5, off
.LBB23_1885:
	s_mov_b64 s[0:1], 0
.LBB23_1886:
	s_andn2_b64 vcc, exec, s[0:1]
	s_cbranch_vccnz .LBB23_1891
; %bb.1887:
	s_cmp_gt_i32 s4, 0
	s_mov_b64 s[0:1], -1
	s_cbranch_scc0 .LBB23_1889
; %bb.1888:
	v_cvt_i16_f16_e32 v5, v1
	global_store_byte v[3:4], v5, off
	s_mov_b64 s[0:1], 0
.LBB23_1889:
	s_andn2_b64 vcc, exec, s[0:1]
	s_cbranch_vccnz .LBB23_1891
; %bb.1890:
	v_cvt_f32_f16_e32 v1, v1
	v_cvt_i32_f32_e32 v1, v1
	global_store_byte v[3:4], v1, off
.LBB23_1891:
	s_mov_b64 s[6:7], -1
.LBB23_1892:
	s_andn2_b64 vcc, exec, s[6:7]
	s_cbranch_vccnz .LBB23_2088
; %bb.1893:
	v_cmp_nge_f16_e64 s[0:1], v10, -s15
	v_cmp_nge_f16_e32 vcc, s15, v10
	s_or_b64 vcc, s[0:1], vcc
	v_cndmask_b32_e32 v3, 0, v10, vcc
	v_mov_b32_e32 v4, s9
	v_add_co_u32_e32 v1, vcc, s8, v2
	s_cmp_lt_i32 s14, 11
	v_addc_co_u32_e32 v2, vcc, 0, v4, vcc
	s_cbranch_scc1 .LBB23_1971
; %bb.1894:
	s_and_b32 s16, 0xffff, s14
	s_mov_b64 s[10:11], -1
	s_mov_b64 s[4:5], 0
	s_cmp_gt_i32 s16, 25
	s_mov_b64 s[6:7], 0
	s_mov_b64 s[0:1], 0
	s_cbranch_scc0 .LBB23_1927
; %bb.1895:
	s_cmp_gt_i32 s16, 28
	s_cbranch_scc0 .LBB23_1910
; %bb.1896:
	s_cmp_gt_i32 s16, 43
	;; [unrolled: 3-line block ×3, first 2 shown]
	s_cbranch_scc0 .LBB23_1900
; %bb.1898:
	s_mov_b64 s[0:1], -1
	s_mov_b64 s[10:11], 0
	s_cmp_eq_u32 s16, 46
	s_cbranch_scc0 .LBB23_1900
; %bb.1899:
	v_cvt_f32_f16_e32 v4, v3
	s_movk_i32 s0, 0x7fff
	v_cmp_o_f16_e32 vcc, v3, v3
	v_mov_b32_e32 v5, 0x7fc0
	v_bfe_u32 v6, v4, 16, 1
	v_add3_u32 v4, v4, v6, s0
	v_cndmask_b32_sdwa v4, v5, v4, vcc dst_sel:DWORD dst_unused:UNUSED_PAD src0_sel:DWORD src1_sel:WORD_1
	global_store_dword v[1:2], v4, off
	s_mov_b64 s[0:1], 0
	s_mov_b64 s[6:7], -1
.LBB23_1900:
	s_and_b64 vcc, exec, s[10:11]
	s_cbranch_vccz .LBB23_1905
; %bb.1901:
	s_cmp_eq_u32 s16, 44
	s_mov_b64 s[0:1], -1
	s_cbranch_scc0 .LBB23_1905
; %bb.1902:
	v_cvt_f32_f16_e32 v4, v3
	s_movk_i32 s0, 0xff
	v_mov_b32_e32 v6, 0xff
	v_bfe_u32 v5, v4, 23, 8
	v_cmp_ne_u32_e32 vcc, s0, v5
	s_and_saveexec_b64 s[6:7], vcc
; %bb.1903:
	s_mov_b32 s0, 0x3fffff
	v_lshrrev_b32_e32 v6, 23, v4
	v_and_b32_e32 v7, 0x400000, v4
	v_and_or_b32 v4, v4, s0, v5
	v_cmp_ne_u32_e32 vcc, 0, v7
	v_cmp_ne_u32_e64 s[0:1], 0, v4
	s_and_b64 s[0:1], vcc, s[0:1]
	v_cndmask_b32_e64 v4, 0, 1, s[0:1]
	v_add_u32_e32 v6, v6, v4
; %bb.1904:
	s_or_b64 exec, exec, s[6:7]
	s_mov_b64 s[0:1], 0
	s_mov_b64 s[6:7], -1
	global_store_byte v[1:2], v6, off
.LBB23_1905:
	s_mov_b64 s[10:11], 0
.LBB23_1906:
	s_and_b64 vcc, exec, s[10:11]
	s_cbranch_vccz .LBB23_1909
; %bb.1907:
	s_cmp_eq_u32 s16, 29
	s_mov_b64 s[0:1], -1
	s_cbranch_scc0 .LBB23_1909
; %bb.1908:
	v_cvt_f32_f16_e32 v4, v3
	v_mov_b32_e32 v5, 0
	s_mov_b64 s[0:1], 0
	s_mov_b64 s[6:7], -1
	v_cvt_u32_f32_e32 v4, v4
	global_store_dwordx2 v[1:2], v[4:5], off
.LBB23_1909:
	s_mov_b64 s[10:11], 0
.LBB23_1910:
	s_and_b64 vcc, exec, s[10:11]
	s_cbranch_vccz .LBB23_1926
; %bb.1911:
	s_cmp_lt_i32 s16, 27
	s_mov_b64 s[6:7], -1
	s_cbranch_scc1 .LBB23_1917
; %bb.1912:
	s_cmp_gt_i32 s16, 27
	s_cbranch_scc0 .LBB23_1914
; %bb.1913:
	v_cvt_f32_f16_e32 v4, v3
	s_mov_b64 s[6:7], 0
	v_cvt_u32_f32_e32 v4, v4
	global_store_dword v[1:2], v4, off
.LBB23_1914:
	s_andn2_b64 vcc, exec, s[6:7]
	s_cbranch_vccnz .LBB23_1916
; %bb.1915:
	v_cvt_u16_f16_e32 v4, v3
	global_store_short v[1:2], v4, off
.LBB23_1916:
	s_mov_b64 s[6:7], 0
.LBB23_1917:
	s_andn2_b64 vcc, exec, s[6:7]
	s_cbranch_vccnz .LBB23_1925
; %bb.1918:
	v_cvt_f32_f16_e32 v4, v3
	s_mov_b32 s6, 0x43800000
	v_mov_b32_e32 v6, 0x80
	v_and_b32_e32 v5, 0x7fffffff, v4
	v_cmp_gt_u32_e32 vcc, s6, v5
	s_and_saveexec_b64 s[6:7], vcc
	s_cbranch_execz .LBB23_1924
; %bb.1919:
	s_mov_b32 s10, 0x3bffffff
	v_cmp_lt_u32_e32 vcc, s10, v5
	s_mov_b64 s[10:11], 0
                                        ; implicit-def: $vgpr5
	s_and_saveexec_b64 s[12:13], vcc
	s_xor_b64 s[12:13], exec, s[12:13]
	s_cbranch_execz .LBB23_2145
; %bb.1920:
	v_bfe_u32 v5, v4, 20, 1
	s_mov_b32 s17, 0x487ffff
	v_add3_u32 v5, v4, v5, s17
	s_mov_b64 s[10:11], exec
	v_lshrrev_b32_e32 v5, 20, v5
	s_andn2_saveexec_b64 s[12:13], s[12:13]
	s_cbranch_execnz .LBB23_2146
.LBB23_1921:
	s_or_b64 exec, exec, s[12:13]
	v_mov_b32_e32 v6, 0
	s_and_saveexec_b64 s[12:13], s[10:11]
.LBB23_1922:
	v_lshrrev_b32_e32 v4, 24, v4
	s_movk_i32 s10, 0x80
	v_and_or_b32 v6, v4, s10, v5
.LBB23_1923:
	s_or_b64 exec, exec, s[12:13]
.LBB23_1924:
	s_or_b64 exec, exec, s[6:7]
	global_store_byte v[1:2], v6, off
.LBB23_1925:
	s_mov_b64 s[6:7], -1
.LBB23_1926:
	s_mov_b64 s[10:11], 0
.LBB23_1927:
	s_and_b64 vcc, exec, s[10:11]
	s_cbranch_vccz .LBB23_1967
; %bb.1928:
	s_cmp_gt_i32 s16, 22
	s_mov_b64 s[4:5], -1
	s_cbranch_scc0 .LBB23_1960
; %bb.1929:
	s_cmp_lt_i32 s16, 24
	s_cbranch_scc1 .LBB23_1949
; %bb.1930:
	s_cmp_gt_i32 s16, 24
	s_cbranch_scc0 .LBB23_1938
; %bb.1931:
	v_cvt_f32_f16_e32 v4, v3
	s_mov_b32 s4, 0x47800000
	v_mov_b32_e32 v6, 0x80
	v_and_b32_e32 v5, 0x7fffffff, v4
	v_cmp_gt_u32_e32 vcc, s4, v5
	s_and_saveexec_b64 s[4:5], vcc
	s_cbranch_execz .LBB23_1937
; %bb.1932:
	s_mov_b32 s6, 0x37ffffff
	v_cmp_lt_u32_e32 vcc, s6, v5
	s_mov_b64 s[6:7], 0
                                        ; implicit-def: $vgpr5
	s_and_saveexec_b64 s[10:11], vcc
	s_xor_b64 s[10:11], exec, s[10:11]
	s_cbranch_execz .LBB23_2148
; %bb.1933:
	v_bfe_u32 v5, v4, 21, 1
	s_mov_b32 s12, 0x88fffff
	v_add3_u32 v5, v4, v5, s12
	s_mov_b64 s[6:7], exec
	v_lshrrev_b32_e32 v5, 21, v5
	s_andn2_saveexec_b64 s[10:11], s[10:11]
	s_cbranch_execnz .LBB23_2149
.LBB23_1934:
	s_or_b64 exec, exec, s[10:11]
	v_mov_b32_e32 v6, 0
	s_and_saveexec_b64 s[10:11], s[6:7]
.LBB23_1935:
	v_lshrrev_b32_e32 v4, 24, v4
	s_movk_i32 s6, 0x80
	v_and_or_b32 v6, v4, s6, v5
.LBB23_1936:
	s_or_b64 exec, exec, s[10:11]
.LBB23_1937:
	s_or_b64 exec, exec, s[4:5]
	s_mov_b64 s[4:5], 0
	global_store_byte v[1:2], v6, off
.LBB23_1938:
	s_and_b64 vcc, exec, s[4:5]
	s_cbranch_vccz .LBB23_1948
; %bb.1939:
	v_cvt_f32_f16_e32 v4, v3
	s_mov_b32 s4, 0x43f00000
                                        ; implicit-def: $vgpr5
	v_and_b32_e32 v6, 0x7fffffff, v4
	v_cmp_gt_u32_e32 vcc, s4, v6
	s_and_saveexec_b64 s[4:5], vcc
	s_xor_b64 s[4:5], exec, s[4:5]
	s_cbranch_execz .LBB23_1945
; %bb.1940:
	s_mov_b32 s6, 0x3c7fffff
	v_cmp_lt_u32_e32 vcc, s6, v6
                                        ; implicit-def: $vgpr5
	s_and_saveexec_b64 s[6:7], vcc
	s_xor_b64 s[6:7], exec, s[6:7]
; %bb.1941:
	v_bfe_u32 v5, v4, 20, 1
	s_mov_b32 s10, 0x407ffff
	v_add3_u32 v5, v4, v5, s10
	v_lshrrev_b32_e32 v6, 20, v5
	v_and_b32_e32 v5, 0xff00000, v5
	s_mov_b32 s10, 0x7f00000
	v_mov_b32_e32 v7, 0x7e
	v_cmp_ne_u32_e32 vcc, s10, v5
	v_cndmask_b32_e32 v5, v7, v6, vcc
; %bb.1942:
	s_andn2_saveexec_b64 s[6:7], s[6:7]
; %bb.1943:
	s_mov_b32 s10, 0x46800000
	v_add_f32_e64 v5, |v4|, s10
; %bb.1944:
	s_or_b64 exec, exec, s[6:7]
                                        ; implicit-def: $vgpr6
.LBB23_1945:
	s_andn2_saveexec_b64 s[4:5], s[4:5]
; %bb.1946:
	s_mov_b32 s6, 0x7f800000
	v_mov_b32_e32 v5, 0x7e
	v_mov_b32_e32 v7, 0x7f
	v_cmp_lt_u32_e32 vcc, s6, v6
	v_cndmask_b32_e32 v5, v5, v7, vcc
; %bb.1947:
	s_or_b64 exec, exec, s[4:5]
	v_lshrrev_b32_e32 v4, 24, v4
	s_movk_i32 s4, 0x80
	v_and_or_b32 v4, v4, s4, v5
	global_store_byte v[1:2], v4, off
.LBB23_1948:
	s_mov_b64 s[4:5], 0
.LBB23_1949:
	s_andn2_b64 vcc, exec, s[4:5]
	s_cbranch_vccnz .LBB23_1959
; %bb.1950:
	v_cvt_f32_f16_e32 v4, v3
	s_mov_b32 s4, 0x47800000
                                        ; implicit-def: $vgpr5
	v_and_b32_e32 v6, 0x7fffffff, v4
	v_cmp_gt_u32_e32 vcc, s4, v6
	s_and_saveexec_b64 s[4:5], vcc
	s_xor_b64 s[4:5], exec, s[4:5]
	s_cbranch_execz .LBB23_1956
; %bb.1951:
	s_mov_b32 s6, 0x387fffff
	v_cmp_lt_u32_e32 vcc, s6, v6
                                        ; implicit-def: $vgpr5
	s_and_saveexec_b64 s[6:7], vcc
	s_xor_b64 s[6:7], exec, s[6:7]
; %bb.1952:
	v_bfe_u32 v5, v4, 21, 1
	s_mov_b32 s10, 0x80fffff
	v_add3_u32 v5, v4, v5, s10
	v_lshrrev_b32_e32 v5, 21, v5
; %bb.1953:
	s_andn2_saveexec_b64 s[6:7], s[6:7]
; %bb.1954:
	s_mov_b32 s10, 0x43000000
	v_add_f32_e64 v5, |v4|, s10
; %bb.1955:
	s_or_b64 exec, exec, s[6:7]
                                        ; implicit-def: $vgpr6
.LBB23_1956:
	s_andn2_saveexec_b64 s[4:5], s[4:5]
; %bb.1957:
	s_mov_b32 s6, 0x7f800000
	v_mov_b32_e32 v5, 0x7c
	v_mov_b32_e32 v7, 0x7f
	v_cmp_lt_u32_e32 vcc, s6, v6
	v_cndmask_b32_e32 v5, v5, v7, vcc
; %bb.1958:
	s_or_b64 exec, exec, s[4:5]
	v_lshrrev_b32_e32 v4, 24, v4
	s_movk_i32 s4, 0x80
	v_and_or_b32 v4, v4, s4, v5
	global_store_byte v[1:2], v4, off
.LBB23_1959:
	s_mov_b64 s[4:5], 0
	s_mov_b64 s[6:7], -1
.LBB23_1960:
	s_andn2_b64 vcc, exec, s[4:5]
	s_mov_b64 s[4:5], 0
	s_cbranch_vccnz .LBB23_1967
; %bb.1961:
	s_cmp_gt_i32 s16, 14
	s_mov_b64 s[10:11], -1
	s_cbranch_scc0 .LBB23_1965
; %bb.1962:
	s_cmp_eq_u32 s16, 15
	s_mov_b64 s[0:1], -1
	s_cbranch_scc0 .LBB23_1964
; %bb.1963:
	v_cvt_f32_f16_e32 v4, v3
	s_movk_i32 s0, 0x7fff
	v_cmp_o_f16_e32 vcc, v3, v3
	v_mov_b32_e32 v5, 0x7fc0
	v_bfe_u32 v6, v4, 16, 1
	v_add3_u32 v4, v4, v6, s0
	v_cndmask_b32_sdwa v4, v5, v4, vcc dst_sel:DWORD dst_unused:UNUSED_PAD src0_sel:DWORD src1_sel:WORD_1
	global_store_short v[1:2], v4, off
	s_mov_b64 s[0:1], 0
	s_mov_b64 s[6:7], -1
.LBB23_1964:
	s_mov_b64 s[10:11], 0
.LBB23_1965:
	s_and_b64 vcc, exec, s[10:11]
	s_cbranch_vccz .LBB23_1967
; %bb.1966:
	s_cmp_lg_u32 s16, 11
	s_mov_b64 s[4:5], -1
	s_cselect_b64 s[0:1], -1, 0
.LBB23_1967:
	s_and_b64 vcc, exec, s[0:1]
	s_cbranch_vccnz .LBB23_2147
; %bb.1968:
	s_andn2_b64 vcc, exec, s[4:5]
	s_cbranch_vccnz .LBB23_1970
.LBB23_1969:
	v_and_b32_e32 v4, 0x7fff, v3
	v_cmp_ne_u16_e32 vcc, 0, v4
	v_cndmask_b32_e64 v4, 0, 1, vcc
	s_mov_b64 s[6:7], -1
	global_store_byte v[1:2], v4, off
.LBB23_1970:
	s_mov_b64 s[0:1], 0
	s_branch .LBB23_1972
.LBB23_1971:
	s_mov_b64 s[0:1], -1
	s_mov_b64 s[6:7], 0
.LBB23_1972:
	s_and_b64 vcc, exec, s[0:1]
	s_cbranch_vccz .LBB23_2011
; %bb.1973:
	s_and_b32 s4, 0xffff, s14
	s_cmp_lt_i32 s4, 5
	s_mov_b64 s[0:1], -1
	s_cbranch_scc1 .LBB23_1994
; %bb.1974:
	s_cmp_lt_i32 s4, 8
	s_cbranch_scc1 .LBB23_1984
; %bb.1975:
	s_cmp_lt_i32 s4, 9
	s_cbranch_scc1 .LBB23_1981
; %bb.1976:
	s_cmp_gt_i32 s4, 9
	s_cbranch_scc0 .LBB23_1978
; %bb.1977:
	v_cvt_f32_f16_e32 v4, v3
	v_mov_b32_e32 v6, 0
	v_mov_b32_e32 v7, v6
	s_mov_b64 s[0:1], 0
	v_cvt_f64_f32_e32 v[4:5], v4
	global_store_dwordx4 v[1:2], v[4:7], off
.LBB23_1978:
	s_andn2_b64 vcc, exec, s[0:1]
	s_cbranch_vccnz .LBB23_1980
; %bb.1979:
	v_cvt_f32_f16_e32 v4, v3
	v_mov_b32_e32 v5, 0
	global_store_dwordx2 v[1:2], v[4:5], off
.LBB23_1980:
	s_mov_b64 s[0:1], 0
.LBB23_1981:
	s_andn2_b64 vcc, exec, s[0:1]
	s_cbranch_vccnz .LBB23_1983
; %bb.1982:
	v_and_b32_e32 v4, 0xffff, v3
	global_store_dword v[1:2], v4, off
.LBB23_1983:
	s_mov_b64 s[0:1], 0
.LBB23_1984:
	s_andn2_b64 vcc, exec, s[0:1]
	s_cbranch_vccnz .LBB23_1993
; %bb.1985:
	s_cmp_lt_i32 s4, 6
	s_mov_b64 s[0:1], -1
	s_cbranch_scc1 .LBB23_1991
; %bb.1986:
	s_cmp_gt_i32 s4, 6
	s_cbranch_scc0 .LBB23_1988
; %bb.1987:
	v_cvt_f32_f16_e32 v4, v3
	s_mov_b64 s[0:1], 0
	v_cvt_f64_f32_e32 v[4:5], v4
	global_store_dwordx2 v[1:2], v[4:5], off
.LBB23_1988:
	s_andn2_b64 vcc, exec, s[0:1]
	s_cbranch_vccnz .LBB23_1990
; %bb.1989:
	v_cvt_f32_f16_e32 v4, v3
	global_store_dword v[1:2], v4, off
.LBB23_1990:
	s_mov_b64 s[0:1], 0
.LBB23_1991:
	s_andn2_b64 vcc, exec, s[0:1]
	s_cbranch_vccnz .LBB23_1993
; %bb.1992:
	global_store_short v[1:2], v3, off
.LBB23_1993:
	s_mov_b64 s[0:1], 0
.LBB23_1994:
	s_andn2_b64 vcc, exec, s[0:1]
	s_cbranch_vccnz .LBB23_2010
; %bb.1995:
	s_cmp_lt_i32 s4, 2
	s_mov_b64 s[0:1], -1
	s_cbranch_scc1 .LBB23_2005
; %bb.1996:
	s_cmp_lt_i32 s4, 3
	s_cbranch_scc1 .LBB23_2002
; %bb.1997:
	s_cmp_gt_i32 s4, 3
	s_cbranch_scc0 .LBB23_1999
; %bb.1998:
	v_cvt_f32_f16_e32 v4, v3
	s_mov_b64 s[0:1], 0
	v_cvt_i32_f32_e32 v4, v4
	v_ashrrev_i32_e32 v5, 31, v4
	global_store_dwordx2 v[1:2], v[4:5], off
.LBB23_1999:
	s_andn2_b64 vcc, exec, s[0:1]
	s_cbranch_vccnz .LBB23_2001
; %bb.2000:
	v_cvt_f32_f16_e32 v4, v3
	v_cvt_i32_f32_e32 v4, v4
	global_store_dword v[1:2], v4, off
.LBB23_2001:
	s_mov_b64 s[0:1], 0
.LBB23_2002:
	s_andn2_b64 vcc, exec, s[0:1]
	s_cbranch_vccnz .LBB23_2004
; %bb.2003:
	v_cvt_i16_f16_e32 v4, v3
	global_store_short v[1:2], v4, off
.LBB23_2004:
	s_mov_b64 s[0:1], 0
.LBB23_2005:
	s_andn2_b64 vcc, exec, s[0:1]
	s_cbranch_vccnz .LBB23_2010
; %bb.2006:
	s_cmp_gt_i32 s4, 0
	s_mov_b64 s[0:1], -1
	s_cbranch_scc0 .LBB23_2008
; %bb.2007:
	v_cvt_i16_f16_e32 v4, v3
	global_store_byte v[1:2], v4, off
	s_mov_b64 s[0:1], 0
.LBB23_2008:
	s_andn2_b64 vcc, exec, s[0:1]
	s_cbranch_vccnz .LBB23_2010
; %bb.2009:
	v_cvt_f32_f16_e32 v3, v3
	v_cvt_i32_f32_e32 v3, v3
	global_store_byte v[1:2], v3, off
.LBB23_2010:
	s_mov_b64 s[6:7], -1
.LBB23_2011:
	s_andn2_b64 vcc, exec, s[6:7]
	s_cbranch_vccnz .LBB23_2088
; %bb.2012:
	v_cmp_nge_f16_e64 s[0:1], v9, -s15
	v_cmp_nge_f16_e32 vcc, s15, v9
	s_or_b64 vcc, s[0:1], vcc
	v_cndmask_b32_e32 v2, 0, v9, vcc
	v_mov_b32_e32 v1, s9
	v_add_co_u32_e32 v0, vcc, s8, v0
	s_cmp_lt_i32 s14, 11
	v_addc_co_u32_e32 v1, vcc, 0, v1, vcc
	s_cbranch_scc1 .LBB23_2133
; %bb.2013:
	s_and_b32 s12, 0xffff, s14
	s_mov_b64 s[6:7], -1
	s_mov_b64 s[4:5], 0
	s_cmp_gt_i32 s12, 25
	s_mov_b64 s[0:1], 0
	s_cbranch_scc0 .LBB23_2046
; %bb.2014:
	s_cmp_gt_i32 s12, 28
	s_cbranch_scc0 .LBB23_2030
; %bb.2015:
	s_cmp_gt_i32 s12, 43
	s_cbranch_scc0 .LBB23_2026
; %bb.2016:
	s_cmp_gt_i32 s12, 45
	s_cbranch_scc0 .LBB23_2020
; %bb.2017:
	s_cmp_eq_u32 s12, 46
	s_mov_b64 s[0:1], -1
	s_cbranch_scc0 .LBB23_2019
; %bb.2018:
	v_cvt_f32_f16_e32 v3, v2
	s_movk_i32 s0, 0x7fff
	v_cmp_o_f16_e32 vcc, v2, v2
	v_mov_b32_e32 v4, 0x7fc0
	v_bfe_u32 v5, v3, 16, 1
	v_add3_u32 v3, v3, v5, s0
	v_cndmask_b32_sdwa v3, v4, v3, vcc dst_sel:DWORD dst_unused:UNUSED_PAD src0_sel:DWORD src1_sel:WORD_1
	global_store_dword v[0:1], v3, off
	s_mov_b64 s[0:1], 0
.LBB23_2019:
	s_mov_b64 s[6:7], 0
.LBB23_2020:
	s_and_b64 vcc, exec, s[6:7]
	s_cbranch_vccz .LBB23_2025
; %bb.2021:
	s_cmp_eq_u32 s12, 44
	s_mov_b64 s[0:1], -1
	s_cbranch_scc0 .LBB23_2025
; %bb.2022:
	v_cvt_f32_f16_e32 v3, v2
	s_movk_i32 s0, 0xff
	v_mov_b32_e32 v5, 0xff
	v_bfe_u32 v4, v3, 23, 8
	v_cmp_ne_u32_e32 vcc, s0, v4
	s_and_saveexec_b64 s[6:7], vcc
; %bb.2023:
	s_mov_b32 s0, 0x3fffff
	v_lshrrev_b32_e32 v5, 23, v3
	v_and_b32_e32 v6, 0x400000, v3
	v_and_or_b32 v3, v3, s0, v4
	v_cmp_ne_u32_e32 vcc, 0, v6
	v_cmp_ne_u32_e64 s[0:1], 0, v3
	s_and_b64 s[0:1], vcc, s[0:1]
	v_cndmask_b32_e64 v3, 0, 1, s[0:1]
	v_add_u32_e32 v5, v5, v3
; %bb.2024:
	s_or_b64 exec, exec, s[6:7]
	s_mov_b64 s[0:1], 0
	global_store_byte v[0:1], v5, off
.LBB23_2025:
	s_mov_b64 s[6:7], 0
.LBB23_2026:
	s_and_b64 vcc, exec, s[6:7]
	s_cbranch_vccz .LBB23_2029
; %bb.2027:
	s_cmp_eq_u32 s12, 29
	s_mov_b64 s[0:1], -1
	s_cbranch_scc0 .LBB23_2029
; %bb.2028:
	v_cvt_f32_f16_e32 v3, v2
	v_mov_b32_e32 v4, 0
	s_mov_b64 s[0:1], 0
	v_cvt_u32_f32_e32 v3, v3
	global_store_dwordx2 v[0:1], v[3:4], off
.LBB23_2029:
	s_mov_b64 s[6:7], 0
.LBB23_2030:
	s_and_b64 vcc, exec, s[6:7]
	s_cbranch_vccz .LBB23_2045
; %bb.2031:
	s_cmp_lt_i32 s12, 27
	s_mov_b64 s[6:7], -1
	s_cbranch_scc1 .LBB23_2037
; %bb.2032:
	s_cmp_gt_i32 s12, 27
	s_cbranch_scc0 .LBB23_2034
; %bb.2033:
	v_cvt_f32_f16_e32 v3, v2
	s_mov_b64 s[6:7], 0
	v_cvt_u32_f32_e32 v3, v3
	global_store_dword v[0:1], v3, off
.LBB23_2034:
	s_andn2_b64 vcc, exec, s[6:7]
	s_cbranch_vccnz .LBB23_2036
; %bb.2035:
	v_cvt_u16_f16_e32 v3, v2
	global_store_short v[0:1], v3, off
.LBB23_2036:
	s_mov_b64 s[6:7], 0
.LBB23_2037:
	s_andn2_b64 vcc, exec, s[6:7]
	s_cbranch_vccnz .LBB23_2045
; %bb.2038:
	v_cvt_f32_f16_e32 v3, v2
	s_mov_b32 s6, 0x43800000
	v_mov_b32_e32 v5, 0x80
	v_and_b32_e32 v4, 0x7fffffff, v3
	v_cmp_gt_u32_e32 vcc, s6, v4
	s_and_saveexec_b64 s[6:7], vcc
	s_cbranch_execz .LBB23_2044
; %bb.2039:
	s_mov_b32 s8, 0x3bffffff
	v_cmp_lt_u32_e32 vcc, s8, v4
	s_mov_b64 s[8:9], 0
                                        ; implicit-def: $vgpr4
	s_and_saveexec_b64 s[10:11], vcc
	s_xor_b64 s[10:11], exec, s[10:11]
	s_cbranch_execz .LBB23_2150
; %bb.2040:
	v_bfe_u32 v4, v3, 20, 1
	s_mov_b32 s13, 0x487ffff
	v_add3_u32 v4, v3, v4, s13
	s_mov_b64 s[8:9], exec
	v_lshrrev_b32_e32 v4, 20, v4
	s_andn2_saveexec_b64 s[10:11], s[10:11]
	s_cbranch_execnz .LBB23_2151
.LBB23_2041:
	s_or_b64 exec, exec, s[10:11]
	v_mov_b32_e32 v5, 0
	s_and_saveexec_b64 s[10:11], s[8:9]
.LBB23_2042:
	v_lshrrev_b32_e32 v3, 24, v3
	s_movk_i32 s8, 0x80
	v_and_or_b32 v5, v3, s8, v4
.LBB23_2043:
	s_or_b64 exec, exec, s[10:11]
.LBB23_2044:
	s_or_b64 exec, exec, s[6:7]
	global_store_byte v[0:1], v5, off
.LBB23_2045:
	s_mov_b64 s[6:7], 0
.LBB23_2046:
	s_and_b64 vcc, exec, s[6:7]
	s_cbranch_vccz .LBB23_2086
; %bb.2047:
	s_cmp_gt_i32 s12, 22
	s_mov_b64 s[4:5], -1
	s_cbranch_scc0 .LBB23_2079
; %bb.2048:
	s_cmp_lt_i32 s12, 24
	s_cbranch_scc1 .LBB23_2068
; %bb.2049:
	s_cmp_gt_i32 s12, 24
	s_cbranch_scc0 .LBB23_2057
; %bb.2050:
	v_cvt_f32_f16_e32 v3, v2
	s_mov_b32 s4, 0x47800000
	v_mov_b32_e32 v5, 0x80
	v_and_b32_e32 v4, 0x7fffffff, v3
	v_cmp_gt_u32_e32 vcc, s4, v4
	s_and_saveexec_b64 s[4:5], vcc
	s_cbranch_execz .LBB23_2056
; %bb.2051:
	s_mov_b32 s6, 0x37ffffff
	v_cmp_lt_u32_e32 vcc, s6, v4
	s_mov_b64 s[6:7], 0
                                        ; implicit-def: $vgpr4
	s_and_saveexec_b64 s[8:9], vcc
	s_xor_b64 s[8:9], exec, s[8:9]
	s_cbranch_execz .LBB23_2153
; %bb.2052:
	v_bfe_u32 v4, v3, 21, 1
	s_mov_b32 s10, 0x88fffff
	v_add3_u32 v4, v3, v4, s10
	s_mov_b64 s[6:7], exec
	v_lshrrev_b32_e32 v4, 21, v4
	s_andn2_saveexec_b64 s[8:9], s[8:9]
	s_cbranch_execnz .LBB23_2154
.LBB23_2053:
	s_or_b64 exec, exec, s[8:9]
	v_mov_b32_e32 v5, 0
	s_and_saveexec_b64 s[8:9], s[6:7]
.LBB23_2054:
	v_lshrrev_b32_e32 v3, 24, v3
	s_movk_i32 s6, 0x80
	v_and_or_b32 v5, v3, s6, v4
.LBB23_2055:
	s_or_b64 exec, exec, s[8:9]
.LBB23_2056:
	s_or_b64 exec, exec, s[4:5]
	s_mov_b64 s[4:5], 0
	global_store_byte v[0:1], v5, off
.LBB23_2057:
	s_and_b64 vcc, exec, s[4:5]
	s_cbranch_vccz .LBB23_2067
; %bb.2058:
	v_cvt_f32_f16_e32 v3, v2
	s_mov_b32 s4, 0x43f00000
                                        ; implicit-def: $vgpr4
	v_and_b32_e32 v5, 0x7fffffff, v3
	v_cmp_gt_u32_e32 vcc, s4, v5
	s_and_saveexec_b64 s[4:5], vcc
	s_xor_b64 s[4:5], exec, s[4:5]
	s_cbranch_execz .LBB23_2064
; %bb.2059:
	s_mov_b32 s6, 0x3c7fffff
	v_cmp_lt_u32_e32 vcc, s6, v5
                                        ; implicit-def: $vgpr4
	s_and_saveexec_b64 s[6:7], vcc
	s_xor_b64 s[6:7], exec, s[6:7]
; %bb.2060:
	v_bfe_u32 v4, v3, 20, 1
	s_mov_b32 s8, 0x407ffff
	v_add3_u32 v4, v3, v4, s8
	v_lshrrev_b32_e32 v5, 20, v4
	v_and_b32_e32 v4, 0xff00000, v4
	s_mov_b32 s8, 0x7f00000
	v_mov_b32_e32 v6, 0x7e
	v_cmp_ne_u32_e32 vcc, s8, v4
	v_cndmask_b32_e32 v4, v6, v5, vcc
; %bb.2061:
	s_andn2_saveexec_b64 s[6:7], s[6:7]
; %bb.2062:
	s_mov_b32 s8, 0x46800000
	v_add_f32_e64 v4, |v3|, s8
; %bb.2063:
	s_or_b64 exec, exec, s[6:7]
                                        ; implicit-def: $vgpr5
.LBB23_2064:
	s_andn2_saveexec_b64 s[4:5], s[4:5]
; %bb.2065:
	s_mov_b32 s6, 0x7f800000
	v_mov_b32_e32 v4, 0x7e
	v_mov_b32_e32 v6, 0x7f
	v_cmp_lt_u32_e32 vcc, s6, v5
	v_cndmask_b32_e32 v4, v4, v6, vcc
; %bb.2066:
	s_or_b64 exec, exec, s[4:5]
	v_lshrrev_b32_e32 v3, 24, v3
	s_movk_i32 s4, 0x80
	v_and_or_b32 v3, v3, s4, v4
	global_store_byte v[0:1], v3, off
.LBB23_2067:
	s_mov_b64 s[4:5], 0
.LBB23_2068:
	s_andn2_b64 vcc, exec, s[4:5]
	s_cbranch_vccnz .LBB23_2078
; %bb.2069:
	v_cvt_f32_f16_e32 v3, v2
	s_mov_b32 s4, 0x47800000
                                        ; implicit-def: $vgpr4
	v_and_b32_e32 v5, 0x7fffffff, v3
	v_cmp_gt_u32_e32 vcc, s4, v5
	s_and_saveexec_b64 s[4:5], vcc
	s_xor_b64 s[4:5], exec, s[4:5]
	s_cbranch_execz .LBB23_2075
; %bb.2070:
	s_mov_b32 s6, 0x387fffff
	v_cmp_lt_u32_e32 vcc, s6, v5
                                        ; implicit-def: $vgpr4
	s_and_saveexec_b64 s[6:7], vcc
	s_xor_b64 s[6:7], exec, s[6:7]
; %bb.2071:
	v_bfe_u32 v4, v3, 21, 1
	s_mov_b32 s8, 0x80fffff
	v_add3_u32 v4, v3, v4, s8
	v_lshrrev_b32_e32 v4, 21, v4
; %bb.2072:
	s_andn2_saveexec_b64 s[6:7], s[6:7]
; %bb.2073:
	s_mov_b32 s8, 0x43000000
	v_add_f32_e64 v4, |v3|, s8
; %bb.2074:
	s_or_b64 exec, exec, s[6:7]
                                        ; implicit-def: $vgpr5
.LBB23_2075:
	s_andn2_saveexec_b64 s[4:5], s[4:5]
; %bb.2076:
	s_mov_b32 s6, 0x7f800000
	v_mov_b32_e32 v4, 0x7c
	v_mov_b32_e32 v6, 0x7f
	v_cmp_lt_u32_e32 vcc, s6, v5
	v_cndmask_b32_e32 v4, v4, v6, vcc
; %bb.2077:
	s_or_b64 exec, exec, s[4:5]
	v_lshrrev_b32_e32 v3, 24, v3
	s_movk_i32 s4, 0x80
	v_and_or_b32 v3, v3, s4, v4
	global_store_byte v[0:1], v3, off
.LBB23_2078:
	s_mov_b64 s[4:5], 0
.LBB23_2079:
	s_andn2_b64 vcc, exec, s[4:5]
	s_mov_b64 s[4:5], 0
	s_cbranch_vccnz .LBB23_2086
; %bb.2080:
	s_cmp_gt_i32 s12, 14
	s_mov_b64 s[6:7], -1
	s_cbranch_scc0 .LBB23_2084
; %bb.2081:
	s_cmp_eq_u32 s12, 15
	s_mov_b64 s[0:1], -1
	s_cbranch_scc0 .LBB23_2083
; %bb.2082:
	v_cvt_f32_f16_e32 v3, v2
	s_movk_i32 s0, 0x7fff
	v_cmp_o_f16_e32 vcc, v2, v2
	v_mov_b32_e32 v4, 0x7fc0
	v_bfe_u32 v5, v3, 16, 1
	v_add3_u32 v3, v3, v5, s0
	v_cndmask_b32_sdwa v3, v4, v3, vcc dst_sel:DWORD dst_unused:UNUSED_PAD src0_sel:DWORD src1_sel:WORD_1
	global_store_short v[0:1], v3, off
	s_mov_b64 s[0:1], 0
.LBB23_2083:
	s_mov_b64 s[6:7], 0
.LBB23_2084:
	s_and_b64 vcc, exec, s[6:7]
	s_cbranch_vccz .LBB23_2086
; %bb.2085:
	s_cmp_lg_u32 s12, 11
	s_mov_b64 s[4:5], -1
	s_cselect_b64 s[0:1], -1, 0
.LBB23_2086:
	s_and_b64 vcc, exec, s[0:1]
	s_cbranch_vccnz .LBB23_2152
.LBB23_2087:
	s_mov_b64 s[0:1], 0
	s_branch .LBB23_2089
.LBB23_2088:
	s_mov_b64 s[0:1], 0
	s_mov_b64 s[4:5], 0
                                        ; implicit-def: $vgpr0_vgpr1
                                        ; implicit-def: $sgpr14
                                        ; implicit-def: $vgpr2
.LBB23_2089:
	s_and_b64 s[6:7], s[4:5], exec
	s_andn2_b64 s[4:5], s[28:29], exec
	s_and_b64 s[2:3], s[2:3], exec
	s_and_b64 s[0:1], s[0:1], exec
	s_or_b64 s[28:29], s[4:5], s[2:3]
.LBB23_2090:
	s_or_b64 exec, exec, s[30:31]
	s_and_saveexec_b64 s[2:3], s[28:29]
	s_cbranch_execz .LBB23_2093
; %bb.2091:
	; divergent unreachable
	s_or_b64 exec, exec, s[2:3]
	s_and_saveexec_b64 s[2:3], s[6:7]
	s_xor_b64 s[2:3], exec, s[2:3]
	s_cbranch_execnz .LBB23_2094
.LBB23_2092:
	s_or_b64 exec, exec, s[2:3]
	s_and_saveexec_b64 s[2:3], s[0:1]
	s_cbranch_execnz .LBB23_2095
	s_branch .LBB23_2132
.LBB23_2093:
	s_or_b64 exec, exec, s[2:3]
	s_and_saveexec_b64 s[2:3], s[6:7]
	s_xor_b64 s[2:3], exec, s[2:3]
	s_cbranch_execz .LBB23_2092
.LBB23_2094:
	s_waitcnt vmcnt(0)
	v_and_b32_e32 v3, 0x7fff, v2
	v_cmp_ne_u16_e32 vcc, 0, v3
	v_cndmask_b32_e64 v3, 0, 1, vcc
	global_store_byte v[0:1], v3, off
	s_or_b64 exec, exec, s[2:3]
	s_and_saveexec_b64 s[2:3], s[0:1]
	s_cbranch_execz .LBB23_2132
.LBB23_2095:
	s_sext_i32_i16 s2, s14
	s_cmp_lt_i32 s2, 5
	s_mov_b64 s[0:1], -1
	s_cbranch_scc1 .LBB23_2116
; %bb.2096:
	s_cmp_lt_i32 s2, 8
	s_cbranch_scc1 .LBB23_2106
; %bb.2097:
	s_cmp_lt_i32 s2, 9
	s_cbranch_scc1 .LBB23_2103
; %bb.2098:
	s_cmp_gt_i32 s2, 9
	s_cbranch_scc0 .LBB23_2100
; %bb.2099:
	s_waitcnt vmcnt(0)
	v_cvt_f32_f16_e32 v3, v2
	v_mov_b32_e32 v5, 0
	v_mov_b32_e32 v6, v5
	s_mov_b64 s[0:1], 0
	v_cvt_f64_f32_e32 v[3:4], v3
	global_store_dwordx4 v[0:1], v[3:6], off
.LBB23_2100:
	s_andn2_b64 vcc, exec, s[0:1]
	s_cbranch_vccnz .LBB23_2102
; %bb.2101:
	s_waitcnt vmcnt(0)
	v_cvt_f32_f16_e32 v3, v2
	v_mov_b32_e32 v4, 0
	global_store_dwordx2 v[0:1], v[3:4], off
.LBB23_2102:
	s_mov_b64 s[0:1], 0
.LBB23_2103:
	s_andn2_b64 vcc, exec, s[0:1]
	s_cbranch_vccnz .LBB23_2105
; %bb.2104:
	s_waitcnt vmcnt(0)
	v_and_b32_e32 v3, 0xffff, v2
	global_store_dword v[0:1], v3, off
.LBB23_2105:
	s_mov_b64 s[0:1], 0
.LBB23_2106:
	s_andn2_b64 vcc, exec, s[0:1]
	s_cbranch_vccnz .LBB23_2115
; %bb.2107:
	s_sext_i32_i16 s2, s14
	s_cmp_lt_i32 s2, 6
	s_mov_b64 s[0:1], -1
	s_cbranch_scc1 .LBB23_2113
; %bb.2108:
	s_cmp_gt_i32 s2, 6
	s_cbranch_scc0 .LBB23_2110
; %bb.2109:
	s_waitcnt vmcnt(0)
	v_cvt_f32_f16_e32 v3, v2
	s_mov_b64 s[0:1], 0
	v_cvt_f64_f32_e32 v[3:4], v3
	global_store_dwordx2 v[0:1], v[3:4], off
.LBB23_2110:
	s_andn2_b64 vcc, exec, s[0:1]
	s_cbranch_vccnz .LBB23_2112
; %bb.2111:
	s_waitcnt vmcnt(0)
	v_cvt_f32_f16_e32 v3, v2
	global_store_dword v[0:1], v3, off
.LBB23_2112:
	s_mov_b64 s[0:1], 0
.LBB23_2113:
	s_andn2_b64 vcc, exec, s[0:1]
	s_cbranch_vccnz .LBB23_2115
; %bb.2114:
	s_waitcnt vmcnt(0)
	global_store_short v[0:1], v2, off
.LBB23_2115:
	s_mov_b64 s[0:1], 0
.LBB23_2116:
	s_andn2_b64 vcc, exec, s[0:1]
	s_cbranch_vccnz .LBB23_2132
; %bb.2117:
	s_sext_i32_i16 s2, s14
	s_cmp_lt_i32 s2, 2
	s_mov_b64 s[0:1], -1
	s_cbranch_scc1 .LBB23_2127
; %bb.2118:
	s_cmp_lt_i32 s2, 3
	s_cbranch_scc1 .LBB23_2124
; %bb.2119:
	s_cmp_gt_i32 s2, 3
	s_cbranch_scc0 .LBB23_2121
; %bb.2120:
	s_waitcnt vmcnt(0)
	v_cvt_f32_f16_e32 v3, v2
	s_mov_b64 s[0:1], 0
	v_cvt_i32_f32_e32 v3, v3
	v_ashrrev_i32_e32 v4, 31, v3
	global_store_dwordx2 v[0:1], v[3:4], off
.LBB23_2121:
	s_andn2_b64 vcc, exec, s[0:1]
	s_cbranch_vccnz .LBB23_2123
; %bb.2122:
	s_waitcnt vmcnt(0)
	v_cvt_f32_f16_e32 v3, v2
	v_cvt_i32_f32_e32 v3, v3
	global_store_dword v[0:1], v3, off
.LBB23_2123:
	s_mov_b64 s[0:1], 0
.LBB23_2124:
	s_andn2_b64 vcc, exec, s[0:1]
	s_cbranch_vccnz .LBB23_2126
; %bb.2125:
	s_waitcnt vmcnt(0)
	v_cvt_i16_f16_e32 v3, v2
	global_store_short v[0:1], v3, off
.LBB23_2126:
	s_mov_b64 s[0:1], 0
.LBB23_2127:
	s_andn2_b64 vcc, exec, s[0:1]
	s_cbranch_vccnz .LBB23_2132
; %bb.2128:
	s_sext_i32_i16 s0, s14
	s_cmp_gt_i32 s0, 0
	s_mov_b64 s[0:1], -1
	s_cbranch_scc0 .LBB23_2130
; %bb.2129:
	s_waitcnt vmcnt(0)
	v_cvt_i16_f16_e32 v3, v2
	global_store_byte v[0:1], v3, off
	s_mov_b64 s[0:1], 0
.LBB23_2130:
	s_andn2_b64 vcc, exec, s[0:1]
	s_cbranch_vccnz .LBB23_2132
; %bb.2131:
	v_cvt_f32_f16_e32 v2, v2
	v_cvt_i32_f32_e32 v2, v2
	s_waitcnt vmcnt(0)
	global_store_byte v[0:1], v2, off
	s_endpgm
.LBB23_2132:
	s_endpgm
.LBB23_2133:
	s_mov_b64 s[4:5], 0
	s_mov_b64 s[0:1], -1
	s_branch .LBB23_2089
.LBB23_2134:
	s_trap 2
	s_or_b64 s[2:3], s[2:3], exec
	s_cbranch_execz .LBB23_1603
	s_branch .LBB23_1604
.LBB23_2135:
	s_andn2_saveexec_b64 s[12:13], s[12:13]
	s_cbranch_execz .LBB23_1683
.LBB23_2136:
	s_mov_b32 s18, 0x46000000
	v_add_f32_e64 v8, |v7|, s18
	v_and_b32_e32 v8, 0xff, v8
	v_cmp_ne_u32_e32 vcc, 0, v8
	s_andn2_b64 s[10:11], s[10:11], exec
	s_and_b64 s[18:19], vcc, exec
	s_or_b64 s[10:11], s[10:11], s[18:19]
	s_or_b64 exec, exec, s[12:13]
	v_mov_b32_e32 v11, 0
	s_and_saveexec_b64 s[12:13], s[10:11]
	s_cbranch_execnz .LBB23_1684
	s_branch .LBB23_1685
.LBB23_2137:
	s_trap 2
	s_or_b64 s[2:3], s[2:3], exec
	s_cbranch_execz .LBB23_1731
	s_branch .LBB23_1732
.LBB23_2138:
	s_andn2_saveexec_b64 s[10:11], s[10:11]
	s_cbranch_execz .LBB23_1696
.LBB23_2139:
	s_mov_b32 s12, 0x42800000
	v_add_f32_e64 v8, |v7|, s12
	v_and_b32_e32 v8, 0xff, v8
	v_cmp_ne_u32_e32 vcc, 0, v8
	s_andn2_b64 s[6:7], s[6:7], exec
	s_and_b64 s[12:13], vcc, exec
	s_or_b64 s[6:7], s[6:7], s[12:13]
	s_or_b64 exec, exec, s[10:11]
	v_mov_b32_e32 v11, 0
	s_and_saveexec_b64 s[10:11], s[6:7]
	s_cbranch_execnz .LBB23_1697
	s_branch .LBB23_1698
.LBB23_2140:
	s_andn2_saveexec_b64 s[12:13], s[12:13]
	s_cbranch_execz .LBB23_1802
.LBB23_2141:
	s_mov_b32 s17, 0x46000000
	v_add_f32_e64 v6, |v5|, s17
	v_and_b32_e32 v6, 0xff, v6
	v_cmp_ne_u32_e32 vcc, 0, v6
	s_andn2_b64 s[10:11], s[10:11], exec
	s_and_b64 s[18:19], vcc, exec
	s_or_b64 s[10:11], s[10:11], s[18:19]
	s_or_b64 exec, exec, s[12:13]
	v_mov_b32_e32 v7, 0
	s_and_saveexec_b64 s[12:13], s[10:11]
	s_cbranch_execnz .LBB23_1803
	s_branch .LBB23_1804
.LBB23_2142:
	s_trap 2
	s_or_b64 s[2:3], s[2:3], exec
	s_cbranch_execz .LBB23_1850
	s_branch .LBB23_1851
.LBB23_2143:
	s_andn2_saveexec_b64 s[10:11], s[10:11]
	s_cbranch_execz .LBB23_1815
.LBB23_2144:
	s_mov_b32 s12, 0x42800000
	v_add_f32_e64 v6, |v5|, s12
	v_and_b32_e32 v6, 0xff, v6
	v_cmp_ne_u32_e32 vcc, 0, v6
	s_andn2_b64 s[6:7], s[6:7], exec
	s_and_b64 s[12:13], vcc, exec
	s_or_b64 s[6:7], s[6:7], s[12:13]
	s_or_b64 exec, exec, s[10:11]
	v_mov_b32_e32 v7, 0
	s_and_saveexec_b64 s[10:11], s[6:7]
	s_cbranch_execnz .LBB23_1816
	s_branch .LBB23_1817
.LBB23_2145:
	s_andn2_saveexec_b64 s[12:13], s[12:13]
	s_cbranch_execz .LBB23_1921
.LBB23_2146:
	s_mov_b32 s17, 0x46000000
	v_add_f32_e64 v5, |v4|, s17
	v_and_b32_e32 v5, 0xff, v5
	v_cmp_ne_u32_e32 vcc, 0, v5
	s_andn2_b64 s[10:11], s[10:11], exec
	s_and_b64 s[18:19], vcc, exec
	s_or_b64 s[10:11], s[10:11], s[18:19]
	s_or_b64 exec, exec, s[12:13]
	v_mov_b32_e32 v6, 0
	s_and_saveexec_b64 s[12:13], s[10:11]
	s_cbranch_execnz .LBB23_1922
	s_branch .LBB23_1923
.LBB23_2147:
	s_trap 2
	s_or_b64 s[2:3], s[2:3], exec
	s_cbranch_execz .LBB23_1969
	s_branch .LBB23_1970
.LBB23_2148:
	s_andn2_saveexec_b64 s[10:11], s[10:11]
	s_cbranch_execz .LBB23_1934
.LBB23_2149:
	s_mov_b32 s12, 0x42800000
	v_add_f32_e64 v5, |v4|, s12
	v_and_b32_e32 v5, 0xff, v5
	v_cmp_ne_u32_e32 vcc, 0, v5
	s_andn2_b64 s[6:7], s[6:7], exec
	s_and_b64 s[12:13], vcc, exec
	s_or_b64 s[6:7], s[6:7], s[12:13]
	s_or_b64 exec, exec, s[10:11]
	v_mov_b32_e32 v6, 0
	s_and_saveexec_b64 s[10:11], s[6:7]
	s_cbranch_execnz .LBB23_1935
	s_branch .LBB23_1936
.LBB23_2150:
	s_andn2_saveexec_b64 s[10:11], s[10:11]
	s_cbranch_execz .LBB23_2041
.LBB23_2151:
	s_mov_b32 s13, 0x46000000
	v_add_f32_e64 v4, |v3|, s13
	v_and_b32_e32 v4, 0xff, v4
	v_cmp_ne_u32_e32 vcc, 0, v4
	s_andn2_b64 s[8:9], s[8:9], exec
	s_and_b64 s[16:17], vcc, exec
	s_or_b64 s[8:9], s[8:9], s[16:17]
	s_or_b64 exec, exec, s[10:11]
	v_mov_b32_e32 v5, 0
	s_and_saveexec_b64 s[10:11], s[8:9]
	s_cbranch_execnz .LBB23_2042
	s_branch .LBB23_2043
.LBB23_2152:
	s_mov_b64 s[4:5], 0
	s_or_b64 s[2:3], s[2:3], exec
	s_trap 2
	s_branch .LBB23_2087
.LBB23_2153:
	s_andn2_saveexec_b64 s[8:9], s[8:9]
	s_cbranch_execz .LBB23_2053
.LBB23_2154:
	s_mov_b32 s10, 0x42800000
	v_add_f32_e64 v4, |v3|, s10
	v_and_b32_e32 v4, 0xff, v4
	v_cmp_ne_u32_e32 vcc, 0, v4
	s_andn2_b64 s[6:7], s[6:7], exec
	s_and_b64 s[10:11], vcc, exec
	s_or_b64 s[6:7], s[6:7], s[10:11]
	s_or_b64 exec, exec, s[8:9]
	v_mov_b32_e32 v5, 0
	s_and_saveexec_b64 s[8:9], s[6:7]
	s_cbranch_execnz .LBB23_2054
	s_branch .LBB23_2055
	.section	.rodata,"a",@progbits
	.p2align	6, 0x0
	.amdhsa_kernel _ZN2at6native32elementwise_kernel_manual_unrollILi128ELi4EZNS0_15gpu_kernel_implIZZZNS0_12_GLOBAL__N_117hardshrink_kernelERNS_18TensorIteratorBaseERKN3c106ScalarEENKUlvE_clEvENKUlvE1_clEvEUlNS6_4HalfEE_EEvS5_RKT_EUlibE0_EEviT1_
		.amdhsa_group_segment_fixed_size 0
		.amdhsa_private_segment_fixed_size 0
		.amdhsa_kernarg_size 360
		.amdhsa_user_sgpr_count 6
		.amdhsa_user_sgpr_private_segment_buffer 1
		.amdhsa_user_sgpr_dispatch_ptr 0
		.amdhsa_user_sgpr_queue_ptr 0
		.amdhsa_user_sgpr_kernarg_segment_ptr 1
		.amdhsa_user_sgpr_dispatch_id 0
		.amdhsa_user_sgpr_flat_scratch_init 0
		.amdhsa_user_sgpr_private_segment_size 0
		.amdhsa_uses_dynamic_stack 0
		.amdhsa_system_sgpr_private_segment_wavefront_offset 0
		.amdhsa_system_sgpr_workgroup_id_x 1
		.amdhsa_system_sgpr_workgroup_id_y 0
		.amdhsa_system_sgpr_workgroup_id_z 0
		.amdhsa_system_sgpr_workgroup_info 0
		.amdhsa_system_vgpr_workitem_id 0
		.amdhsa_next_free_vgpr 18
		.amdhsa_next_free_sgpr 79
		.amdhsa_reserve_vcc 1
		.amdhsa_reserve_flat_scratch 0
		.amdhsa_float_round_mode_32 0
		.amdhsa_float_round_mode_16_64 0
		.amdhsa_float_denorm_mode_32 3
		.amdhsa_float_denorm_mode_16_64 3
		.amdhsa_dx10_clamp 1
		.amdhsa_ieee_mode 1
		.amdhsa_fp16_overflow 0
		.amdhsa_exception_fp_ieee_invalid_op 0
		.amdhsa_exception_fp_denorm_src 0
		.amdhsa_exception_fp_ieee_div_zero 0
		.amdhsa_exception_fp_ieee_overflow 0
		.amdhsa_exception_fp_ieee_underflow 0
		.amdhsa_exception_fp_ieee_inexact 0
		.amdhsa_exception_int_div_zero 0
	.end_amdhsa_kernel
	.section	.text._ZN2at6native32elementwise_kernel_manual_unrollILi128ELi4EZNS0_15gpu_kernel_implIZZZNS0_12_GLOBAL__N_117hardshrink_kernelERNS_18TensorIteratorBaseERKN3c106ScalarEENKUlvE_clEvENKUlvE1_clEvEUlNS6_4HalfEE_EEvS5_RKT_EUlibE0_EEviT1_,"axG",@progbits,_ZN2at6native32elementwise_kernel_manual_unrollILi128ELi4EZNS0_15gpu_kernel_implIZZZNS0_12_GLOBAL__N_117hardshrink_kernelERNS_18TensorIteratorBaseERKN3c106ScalarEENKUlvE_clEvENKUlvE1_clEvEUlNS6_4HalfEE_EEvS5_RKT_EUlibE0_EEviT1_,comdat
.Lfunc_end23:
	.size	_ZN2at6native32elementwise_kernel_manual_unrollILi128ELi4EZNS0_15gpu_kernel_implIZZZNS0_12_GLOBAL__N_117hardshrink_kernelERNS_18TensorIteratorBaseERKN3c106ScalarEENKUlvE_clEvENKUlvE1_clEvEUlNS6_4HalfEE_EEvS5_RKT_EUlibE0_EEviT1_, .Lfunc_end23-_ZN2at6native32elementwise_kernel_manual_unrollILi128ELi4EZNS0_15gpu_kernel_implIZZZNS0_12_GLOBAL__N_117hardshrink_kernelERNS_18TensorIteratorBaseERKN3c106ScalarEENKUlvE_clEvENKUlvE1_clEvEUlNS6_4HalfEE_EEvS5_RKT_EUlibE0_EEviT1_
                                        ; -- End function
	.set _ZN2at6native32elementwise_kernel_manual_unrollILi128ELi4EZNS0_15gpu_kernel_implIZZZNS0_12_GLOBAL__N_117hardshrink_kernelERNS_18TensorIteratorBaseERKN3c106ScalarEENKUlvE_clEvENKUlvE1_clEvEUlNS6_4HalfEE_EEvS5_RKT_EUlibE0_EEviT1_.num_vgpr, 18
	.set _ZN2at6native32elementwise_kernel_manual_unrollILi128ELi4EZNS0_15gpu_kernel_implIZZZNS0_12_GLOBAL__N_117hardshrink_kernelERNS_18TensorIteratorBaseERKN3c106ScalarEENKUlvE_clEvENKUlvE1_clEvEUlNS6_4HalfEE_EEvS5_RKT_EUlibE0_EEviT1_.num_agpr, 0
	.set _ZN2at6native32elementwise_kernel_manual_unrollILi128ELi4EZNS0_15gpu_kernel_implIZZZNS0_12_GLOBAL__N_117hardshrink_kernelERNS_18TensorIteratorBaseERKN3c106ScalarEENKUlvE_clEvENKUlvE1_clEvEUlNS6_4HalfEE_EEvS5_RKT_EUlibE0_EEviT1_.numbered_sgpr, 79
	.set _ZN2at6native32elementwise_kernel_manual_unrollILi128ELi4EZNS0_15gpu_kernel_implIZZZNS0_12_GLOBAL__N_117hardshrink_kernelERNS_18TensorIteratorBaseERKN3c106ScalarEENKUlvE_clEvENKUlvE1_clEvEUlNS6_4HalfEE_EEvS5_RKT_EUlibE0_EEviT1_.num_named_barrier, 0
	.set _ZN2at6native32elementwise_kernel_manual_unrollILi128ELi4EZNS0_15gpu_kernel_implIZZZNS0_12_GLOBAL__N_117hardshrink_kernelERNS_18TensorIteratorBaseERKN3c106ScalarEENKUlvE_clEvENKUlvE1_clEvEUlNS6_4HalfEE_EEvS5_RKT_EUlibE0_EEviT1_.private_seg_size, 0
	.set _ZN2at6native32elementwise_kernel_manual_unrollILi128ELi4EZNS0_15gpu_kernel_implIZZZNS0_12_GLOBAL__N_117hardshrink_kernelERNS_18TensorIteratorBaseERKN3c106ScalarEENKUlvE_clEvENKUlvE1_clEvEUlNS6_4HalfEE_EEvS5_RKT_EUlibE0_EEviT1_.uses_vcc, 1
	.set _ZN2at6native32elementwise_kernel_manual_unrollILi128ELi4EZNS0_15gpu_kernel_implIZZZNS0_12_GLOBAL__N_117hardshrink_kernelERNS_18TensorIteratorBaseERKN3c106ScalarEENKUlvE_clEvENKUlvE1_clEvEUlNS6_4HalfEE_EEvS5_RKT_EUlibE0_EEviT1_.uses_flat_scratch, 0
	.set _ZN2at6native32elementwise_kernel_manual_unrollILi128ELi4EZNS0_15gpu_kernel_implIZZZNS0_12_GLOBAL__N_117hardshrink_kernelERNS_18TensorIteratorBaseERKN3c106ScalarEENKUlvE_clEvENKUlvE1_clEvEUlNS6_4HalfEE_EEvS5_RKT_EUlibE0_EEviT1_.has_dyn_sized_stack, 0
	.set _ZN2at6native32elementwise_kernel_manual_unrollILi128ELi4EZNS0_15gpu_kernel_implIZZZNS0_12_GLOBAL__N_117hardshrink_kernelERNS_18TensorIteratorBaseERKN3c106ScalarEENKUlvE_clEvENKUlvE1_clEvEUlNS6_4HalfEE_EEvS5_RKT_EUlibE0_EEviT1_.has_recursion, 0
	.set _ZN2at6native32elementwise_kernel_manual_unrollILi128ELi4EZNS0_15gpu_kernel_implIZZZNS0_12_GLOBAL__N_117hardshrink_kernelERNS_18TensorIteratorBaseERKN3c106ScalarEENKUlvE_clEvENKUlvE1_clEvEUlNS6_4HalfEE_EEvS5_RKT_EUlibE0_EEviT1_.has_indirect_call, 0
	.section	.AMDGPU.csdata,"",@progbits
; Kernel info:
; codeLenInByte = 40996
; TotalNumSgprs: 83
; NumVgprs: 18
; ScratchSize: 0
; MemoryBound: 0
; FloatMode: 240
; IeeeMode: 1
; LDSByteSize: 0 bytes/workgroup (compile time only)
; SGPRBlocks: 10
; VGPRBlocks: 4
; NumSGPRsForWavesPerEU: 83
; NumVGPRsForWavesPerEU: 18
; Occupancy: 9
; WaveLimiterHint : 1
; COMPUTE_PGM_RSRC2:SCRATCH_EN: 0
; COMPUTE_PGM_RSRC2:USER_SGPR: 6
; COMPUTE_PGM_RSRC2:TRAP_HANDLER: 0
; COMPUTE_PGM_RSRC2:TGID_X_EN: 1
; COMPUTE_PGM_RSRC2:TGID_Y_EN: 0
; COMPUTE_PGM_RSRC2:TGID_Z_EN: 0
; COMPUTE_PGM_RSRC2:TIDIG_COMP_CNT: 0
	.section	.text._ZN2at6native29vectorized_elementwise_kernelILi16EZZZNS0_12_GLOBAL__N_117hardshrink_kernelERNS_18TensorIteratorBaseERKN3c106ScalarEENKUlvE_clEvENKUlvE2_clEvEUlNS5_8BFloat16EE_St5arrayIPcLm2EEEEviT0_T1_,"axG",@progbits,_ZN2at6native29vectorized_elementwise_kernelILi16EZZZNS0_12_GLOBAL__N_117hardshrink_kernelERNS_18TensorIteratorBaseERKN3c106ScalarEENKUlvE_clEvENKUlvE2_clEvEUlNS5_8BFloat16EE_St5arrayIPcLm2EEEEviT0_T1_,comdat
	.globl	_ZN2at6native29vectorized_elementwise_kernelILi16EZZZNS0_12_GLOBAL__N_117hardshrink_kernelERNS_18TensorIteratorBaseERKN3c106ScalarEENKUlvE_clEvENKUlvE2_clEvEUlNS5_8BFloat16EE_St5arrayIPcLm2EEEEviT0_T1_ ; -- Begin function _ZN2at6native29vectorized_elementwise_kernelILi16EZZZNS0_12_GLOBAL__N_117hardshrink_kernelERNS_18TensorIteratorBaseERKN3c106ScalarEENKUlvE_clEvENKUlvE2_clEvEUlNS5_8BFloat16EE_St5arrayIPcLm2EEEEviT0_T1_
	.p2align	8
	.type	_ZN2at6native29vectorized_elementwise_kernelILi16EZZZNS0_12_GLOBAL__N_117hardshrink_kernelERNS_18TensorIteratorBaseERKN3c106ScalarEENKUlvE_clEvENKUlvE2_clEvEUlNS5_8BFloat16EE_St5arrayIPcLm2EEEEviT0_T1_,@function
_ZN2at6native29vectorized_elementwise_kernelILi16EZZZNS0_12_GLOBAL__N_117hardshrink_kernelERNS_18TensorIteratorBaseERKN3c106ScalarEENKUlvE_clEvENKUlvE2_clEvEUlNS5_8BFloat16EE_St5arrayIPcLm2EEEEviT0_T1_: ; @_ZN2at6native29vectorized_elementwise_kernelILi16EZZZNS0_12_GLOBAL__N_117hardshrink_kernelERNS_18TensorIteratorBaseERKN3c106ScalarEENKUlvE_clEvENKUlvE2_clEvEUlNS5_8BFloat16EE_St5arrayIPcLm2EEEEviT0_T1_
; %bb.0:
	s_load_dwordx2 s[34:35], s[4:5], 0x0
	s_load_dwordx4 s[36:39], s[4:5], 0x8
	s_lshl_b32 s30, s6, 11
	s_mov_b64 s[0:1], -1
	s_waitcnt lgkmcnt(0)
	s_sub_i32 s33, s34, s30
	s_cmpk_gt_i32 s33, 0x7ff
	s_cbranch_scc0 .LBB24_2
; %bb.1:
	s_ashr_i32 s31, s30, 31
	s_lshl_b64 s[0:1], s[30:31], 1
	s_add_u32 s2, s38, s0
	s_addc_u32 s3, s39, s1
	v_lshlrev_b32_e32 v5, 4, v0
	global_load_dwordx4 v[1:4], v5, s[2:3]
	s_lshl_b32 s28, s35, 16
	s_xor_b32 s2, s28, 0x80000000
	s_bfe_u32 s3, s2, 0x10010
	s_add_i32 s2, s2, s3
	s_addk_i32 s2, 0x7fff
	s_and_b32 s2, s2, 0xffff0000
	v_mov_b32_e32 v6, 0x7fc00000
	v_mov_b32_e32 v7, s2
	v_cmp_o_f32_e64 vcc, s28, s28
	v_cndmask_b32_e32 v6, v6, v7, vcc
	s_add_u32 s40, s36, s0
	s_addc_u32 s41, s37, s1
	s_mov_b32 s31, 0x5040100
	s_waitcnt vmcnt(0)
	v_and_b32_e32 v8, 0xffff0000, v1
	v_lshlrev_b32_e32 v7, 16, v1
	v_cmp_nle_f32_e32 vcc, v6, v8
	v_cmp_nge_f32_e64 s[2:3], s28, v8
	v_lshrrev_b32_e32 v9, 16, v1
	v_lshlrev_b32_e32 v10, 16, v2
	v_and_b32_e32 v11, 0xffff0000, v2
	v_lshlrev_b32_e32 v13, 16, v3
	v_and_b32_e32 v14, 0xffff0000, v3
	;; [unrolled: 2-line block ×3, first 2 shown]
	v_cmp_nle_f32_e64 s[0:1], v6, v7
	v_cmp_nge_f32_e64 s[4:5], s28, v7
	s_or_b64 vcc, s[2:3], vcc
	v_cmp_nle_f32_e64 s[6:7], v6, v11
	v_cmp_nle_f32_e64 s[8:9], v6, v10
	v_cmp_nge_f32_e64 s[10:11], s28, v11
	v_cmp_nle_f32_e64 s[14:15], v6, v14
	v_cmp_nle_f32_e64 s[16:17], v6, v13
	v_cmp_nle_f32_e64 s[22:23], v6, v17
	v_cmp_nle_f32_e64 s[24:25], v6, v16
	v_cndmask_b32_e32 v6, 0, v9, vcc
	s_or_b64 vcc, s[4:5], s[0:1]
	v_lshrrev_b32_e32 v12, 16, v2
	v_cmp_nge_f32_e64 s[12:13], s28, v10
	v_cndmask_b32_e32 v1, 0, v1, vcc
	s_or_b64 vcc, s[10:11], s[6:7]
	v_cmp_nge_f32_e64 s[18:19], s28, v14
	v_cndmask_b32_e32 v7, 0, v12, vcc
	s_or_b64 vcc, s[12:13], s[8:9]
	v_lshrrev_b32_e32 v15, 16, v3
	v_cmp_nge_f32_e64 s[20:21], s28, v13
	v_cndmask_b32_e32 v2, 0, v2, vcc
	s_or_b64 vcc, s[18:19], s[14:15]
	v_cmp_nge_f32_e64 s[26:27], s28, v17
	v_cndmask_b32_e32 v8, 0, v15, vcc
	s_or_b64 vcc, s[20:21], s[16:17]
	v_lshrrev_b32_e32 v18, 16, v4
	v_cmp_nge_f32_e64 s[28:29], s28, v16
	v_cndmask_b32_e32 v3, 0, v3, vcc
	s_or_b64 vcc, s[26:27], s[22:23]
	v_cndmask_b32_e32 v9, 0, v18, vcc
	s_or_b64 vcc, s[28:29], s[24:25]
	v_cndmask_b32_e32 v4, 0, v4, vcc
	v_perm_b32 v4, v9, v4, s31
	v_perm_b32 v3, v8, v3, s31
	;; [unrolled: 1-line block ×4, first 2 shown]
	global_store_dwordx4 v5, v[1:4], s[40:41]
	s_mov_b64 s[0:1], 0
.LBB24_2:
	s_andn2_b64 vcc, exec, s[0:1]
	s_cbranch_vccnz .LBB24_28
; %bb.3:
	v_cmp_gt_i32_e32 vcc, s33, v0
	v_mov_b32_e32 v5, 0
	v_or_b32_e32 v1, s30, v0
	v_mov_b32_e32 v7, 0
	v_mov_b32_e32 v2, v0
	s_and_saveexec_b64 s[2:3], vcc
	s_cbranch_execz .LBB24_5
; %bb.4:
	v_mov_b32_e32 v2, 0
	v_lshlrev_b64 v[2:3], 1, v[1:2]
	v_mov_b32_e32 v4, s39
	v_add_co_u32_e64 v2, s[0:1], s38, v2
	v_addc_co_u32_e64 v3, s[0:1], v4, v3, s[0:1]
	global_load_ushort v7, v[2:3], off
	v_or_b32_e32 v2, 0x100, v0
.LBB24_5:
	s_or_b64 exec, exec, s[2:3]
	v_cmp_gt_i32_e64 s[0:1], s33, v2
	s_and_saveexec_b64 s[2:3], s[0:1]
	s_cbranch_execz .LBB24_7
; %bb.6:
	v_add_u32_e32 v3, s30, v2
	v_mov_b32_e32 v4, 0
	v_lshlrev_b64 v[3:4], 1, v[3:4]
	v_mov_b32_e32 v5, s39
	v_add_co_u32_e64 v3, s[0:1], s38, v3
	v_addc_co_u32_e64 v4, s[0:1], v5, v4, s[0:1]
	global_load_ushort v5, v[3:4], off
	v_add_u32_e32 v2, 0x100, v2
.LBB24_7:
	s_or_b64 exec, exec, s[2:3]
	v_cmp_gt_i32_e64 s[0:1], s33, v2
	v_mov_b32_e32 v6, 0
	v_mov_b32_e32 v10, 0
	s_and_saveexec_b64 s[2:3], s[0:1]
	s_cbranch_execz .LBB24_9
; %bb.8:
	v_add_u32_e32 v3, s30, v2
	v_mov_b32_e32 v4, 0
	v_lshlrev_b64 v[3:4], 1, v[3:4]
	v_mov_b32_e32 v8, s39
	v_add_co_u32_e64 v3, s[0:1], s38, v3
	v_addc_co_u32_e64 v4, s[0:1], v8, v4, s[0:1]
	global_load_ushort v10, v[3:4], off
	v_add_u32_e32 v2, 0x100, v2
.LBB24_9:
	s_or_b64 exec, exec, s[2:3]
	v_cmp_gt_i32_e64 s[0:1], s33, v2
	s_and_saveexec_b64 s[2:3], s[0:1]
	s_cbranch_execz .LBB24_11
; %bb.10:
	v_add_u32_e32 v3, s30, v2
	v_mov_b32_e32 v4, 0
	v_lshlrev_b64 v[3:4], 1, v[3:4]
	v_mov_b32_e32 v6, s39
	v_add_co_u32_e64 v3, s[0:1], s38, v3
	v_addc_co_u32_e64 v4, s[0:1], v6, v4, s[0:1]
	global_load_ushort v6, v[3:4], off
	v_add_u32_e32 v2, 0x100, v2
.LBB24_11:
	s_or_b64 exec, exec, s[2:3]
	v_cmp_gt_i32_e64 s[0:1], s33, v2
	v_mov_b32_e32 v4, 0
	v_mov_b32_e32 v9, 0
	s_and_saveexec_b64 s[2:3], s[0:1]
	s_cbranch_execz .LBB24_13
; %bb.12:
	v_add_u32_e32 v8, s30, v2
	v_mov_b32_e32 v9, 0
	v_lshlrev_b64 v[8:9], 1, v[8:9]
	v_mov_b32_e32 v3, s39
	v_add_co_u32_e64 v8, s[0:1], s38, v8
	v_addc_co_u32_e64 v9, s[0:1], v3, v9, s[0:1]
	global_load_ushort v9, v[8:9], off
	v_add_u32_e32 v2, 0x100, v2
.LBB24_13:
	;; [unrolled: 30-line block ×3, first 2 shown]
	s_or_b64 exec, exec, s[2:3]
	v_cmp_gt_i32_e64 s[0:1], s33, v2
	s_and_saveexec_b64 s[2:3], s[0:1]
	s_cbranch_execz .LBB24_19
; %bb.18:
	v_add_u32_e32 v2, s30, v2
	v_mov_b32_e32 v3, 0
	v_lshlrev_b64 v[2:3], 1, v[2:3]
	v_mov_b32_e32 v11, s39
	v_add_co_u32_e64 v2, s[0:1], s38, v2
	v_addc_co_u32_e64 v3, s[0:1], v11, v3, s[0:1]
	global_load_ushort v3, v[2:3], off
.LBB24_19:
	s_or_b64 exec, exec, s[2:3]
	s_lshl_b32 s0, s35, 16
	s_xor_b32 s1, s0, 0x80000000
	s_bfe_u32 s2, s1, 0x10010
	s_add_i32 s1, s1, s2
	s_addk_i32 s1, 0x7fff
	s_and_b32 s1, s1, 0xffff0000
	v_mov_b32_e32 v11, s0
	v_mov_b32_e32 v2, 0x7fc00000
	;; [unrolled: 1-line block ×3, first 2 shown]
	v_cmp_o_f32_e64 s[0:1], s0, s0
	v_cndmask_b32_e64 v12, v2, v12, s[0:1]
	s_and_saveexec_b64 s[2:3], vcc
	s_cbranch_execnz .LBB24_29
; %bb.20:
	s_or_b64 exec, exec, s[2:3]
	v_cmp_gt_i32_e32 vcc, s33, v0
	s_and_saveexec_b64 s[2:3], vcc
	s_cbranch_execnz .LBB24_30
.LBB24_21:
	s_or_b64 exec, exec, s[2:3]
	v_cmp_gt_i32_e32 vcc, s33, v0
	s_and_saveexec_b64 s[2:3], vcc
	s_cbranch_execnz .LBB24_31
.LBB24_22:
	s_or_b64 exec, exec, s[2:3]
	v_cmp_gt_i32_e32 vcc, s33, v0
	s_and_saveexec_b64 s[2:3], vcc
	s_cbranch_execnz .LBB24_32
.LBB24_23:
	s_or_b64 exec, exec, s[2:3]
	v_cmp_gt_i32_e32 vcc, s33, v0
	s_and_saveexec_b64 s[2:3], vcc
	s_cbranch_execnz .LBB24_33
.LBB24_24:
	s_or_b64 exec, exec, s[2:3]
	v_cmp_gt_i32_e32 vcc, s33, v0
	s_and_saveexec_b64 s[2:3], vcc
	s_cbranch_execnz .LBB24_34
.LBB24_25:
	s_or_b64 exec, exec, s[2:3]
	v_cmp_gt_i32_e32 vcc, s33, v0
	s_and_saveexec_b64 s[2:3], vcc
	s_cbranch_execnz .LBB24_35
.LBB24_26:
	s_or_b64 exec, exec, s[2:3]
	v_cmp_gt_i32_e32 vcc, s33, v0
	s_and_saveexec_b64 s[0:1], vcc
	s_cbranch_execz .LBB24_28
.LBB24_27:
	s_waitcnt vmcnt(0)
	v_lshlrev_b32_e32 v1, 16, v3
	v_cmp_nle_f32_e32 vcc, v12, v1
	v_cmp_nle_f32_e64 s[0:1], v1, v11
	v_add_u32_e32 v0, s30, v0
	v_mov_b32_e32 v1, 0
	v_lshlrev_b64 v[0:1], 1, v[0:1]
	s_or_b64 vcc, s[0:1], vcc
	v_cndmask_b32_e32 v2, 0, v3, vcc
	v_mov_b32_e32 v3, s37
	v_add_co_u32_e32 v0, vcc, s36, v0
	v_addc_co_u32_e32 v1, vcc, v3, v1, vcc
	global_store_short v[0:1], v2, off
.LBB24_28:
	s_endpgm
.LBB24_29:
	v_mov_b32_e32 v2, 0
	v_lshlrev_b64 v[1:2], 1, v[1:2]
	v_mov_b32_e32 v13, s37
	v_add_co_u32_e32 v1, vcc, s36, v1
	v_addc_co_u32_e32 v2, vcc, v13, v2, vcc
	s_waitcnt vmcnt(0)
	v_lshlrev_b32_e32 v13, 16, v7
	v_cmp_nge_f32_e32 vcc, v11, v13
	v_cmp_nle_f32_e64 s[0:1], v12, v13
	s_or_b64 vcc, vcc, s[0:1]
	v_or_b32_e32 v0, 0x100, v0
	v_cndmask_b32_e32 v7, 0, v7, vcc
	global_store_short v[1:2], v7, off
	s_or_b64 exec, exec, s[2:3]
	v_cmp_gt_i32_e32 vcc, s33, v0
	s_and_saveexec_b64 s[2:3], vcc
	s_cbranch_execz .LBB24_21
.LBB24_30:
	s_waitcnt vmcnt(0)
	v_lshlrev_b32_e32 v1, 16, v5
	v_cmp_nle_f32_e32 vcc, v12, v1
	v_cmp_nge_f32_e64 s[0:1], v11, v1
	v_add_u32_e32 v1, s30, v0
	v_mov_b32_e32 v2, 0
	v_lshlrev_b64 v[1:2], 1, v[1:2]
	s_or_b64 vcc, s[0:1], vcc
	v_cndmask_b32_e32 v5, 0, v5, vcc
	v_mov_b32_e32 v7, s37
	v_add_co_u32_e32 v1, vcc, s36, v1
	v_addc_co_u32_e32 v2, vcc, v7, v2, vcc
	v_add_u32_e32 v0, 0x100, v0
	global_store_short v[1:2], v5, off
	s_or_b64 exec, exec, s[2:3]
	v_cmp_gt_i32_e32 vcc, s33, v0
	s_and_saveexec_b64 s[2:3], vcc
	s_cbranch_execz .LBB24_22
.LBB24_31:
	s_waitcnt vmcnt(0)
	v_lshlrev_b32_e32 v1, 16, v10
	v_cmp_nle_f32_e32 vcc, v12, v1
	v_cmp_nge_f32_e64 s[0:1], v11, v1
	v_add_u32_e32 v1, s30, v0
	v_mov_b32_e32 v2, 0
	v_lshlrev_b64 v[1:2], 1, v[1:2]
	s_or_b64 vcc, s[0:1], vcc
	v_cndmask_b32_e32 v5, 0, v10, vcc
	v_mov_b32_e32 v7, s37
	v_add_co_u32_e32 v1, vcc, s36, v1
	v_addc_co_u32_e32 v2, vcc, v7, v2, vcc
	v_add_u32_e32 v0, 0x100, v0
	global_store_short v[1:2], v5, off
	s_or_b64 exec, exec, s[2:3]
	v_cmp_gt_i32_e32 vcc, s33, v0
	s_and_saveexec_b64 s[2:3], vcc
	s_cbranch_execz .LBB24_23
.LBB24_32:
	s_waitcnt vmcnt(0)
	v_lshlrev_b32_e32 v1, 16, v6
	v_cmp_nle_f32_e32 vcc, v12, v1
	v_cmp_nge_f32_e64 s[0:1], v11, v1
	v_add_u32_e32 v1, s30, v0
	v_mov_b32_e32 v2, 0
	v_lshlrev_b64 v[1:2], 1, v[1:2]
	s_or_b64 vcc, s[0:1], vcc
	v_cndmask_b32_e32 v5, 0, v6, vcc
	v_mov_b32_e32 v6, s37
	v_add_co_u32_e32 v1, vcc, s36, v1
	v_addc_co_u32_e32 v2, vcc, v6, v2, vcc
	v_add_u32_e32 v0, 0x100, v0
	global_store_short v[1:2], v5, off
	s_or_b64 exec, exec, s[2:3]
	v_cmp_gt_i32_e32 vcc, s33, v0
	s_and_saveexec_b64 s[2:3], vcc
	s_cbranch_execz .LBB24_24
.LBB24_33:
	s_waitcnt vmcnt(0)
	v_lshlrev_b32_e32 v1, 16, v9
	v_cmp_nle_f32_e32 vcc, v12, v1
	v_cmp_nge_f32_e64 s[0:1], v11, v1
	v_add_u32_e32 v1, s30, v0
	v_mov_b32_e32 v2, 0
	v_lshlrev_b64 v[1:2], 1, v[1:2]
	s_or_b64 vcc, s[0:1], vcc
	v_cndmask_b32_e32 v5, 0, v9, vcc
	v_mov_b32_e32 v6, s37
	v_add_co_u32_e32 v1, vcc, s36, v1
	v_addc_co_u32_e32 v2, vcc, v6, v2, vcc
	v_add_u32_e32 v0, 0x100, v0
	global_store_short v[1:2], v5, off
	s_or_b64 exec, exec, s[2:3]
	v_cmp_gt_i32_e32 vcc, s33, v0
	s_and_saveexec_b64 s[2:3], vcc
	s_cbranch_execz .LBB24_25
.LBB24_34:
	s_waitcnt vmcnt(0)
	v_lshlrev_b32_e32 v1, 16, v4
	v_cmp_nle_f32_e32 vcc, v12, v1
	v_cmp_nge_f32_e64 s[0:1], v11, v1
	v_add_u32_e32 v1, s30, v0
	v_mov_b32_e32 v2, 0
	v_lshlrev_b64 v[1:2], 1, v[1:2]
	s_or_b64 vcc, s[0:1], vcc
	v_cndmask_b32_e32 v4, 0, v4, vcc
	v_mov_b32_e32 v5, s37
	v_add_co_u32_e32 v1, vcc, s36, v1
	v_addc_co_u32_e32 v2, vcc, v5, v2, vcc
	v_add_u32_e32 v0, 0x100, v0
	global_store_short v[1:2], v4, off
	s_or_b64 exec, exec, s[2:3]
	v_cmp_gt_i32_e32 vcc, s33, v0
	s_and_saveexec_b64 s[2:3], vcc
	s_cbranch_execz .LBB24_26
.LBB24_35:
	s_waitcnt vmcnt(0)
	v_lshlrev_b32_e32 v1, 16, v8
	v_cmp_nle_f32_e32 vcc, v12, v1
	v_cmp_nge_f32_e64 s[0:1], v11, v1
	v_add_u32_e32 v1, s30, v0
	v_mov_b32_e32 v2, 0
	v_lshlrev_b64 v[1:2], 1, v[1:2]
	s_or_b64 vcc, s[0:1], vcc
	v_cndmask_b32_e32 v4, 0, v8, vcc
	v_mov_b32_e32 v5, s37
	v_add_co_u32_e32 v1, vcc, s36, v1
	v_addc_co_u32_e32 v2, vcc, v5, v2, vcc
	v_add_u32_e32 v0, 0x100, v0
	global_store_short v[1:2], v4, off
	s_or_b64 exec, exec, s[2:3]
	v_cmp_gt_i32_e32 vcc, s33, v0
	s_and_saveexec_b64 s[0:1], vcc
	s_cbranch_execnz .LBB24_27
	s_branch .LBB24_28
	.section	.rodata,"a",@progbits
	.p2align	6, 0x0
	.amdhsa_kernel _ZN2at6native29vectorized_elementwise_kernelILi16EZZZNS0_12_GLOBAL__N_117hardshrink_kernelERNS_18TensorIteratorBaseERKN3c106ScalarEENKUlvE_clEvENKUlvE2_clEvEUlNS5_8BFloat16EE_St5arrayIPcLm2EEEEviT0_T1_
		.amdhsa_group_segment_fixed_size 0
		.amdhsa_private_segment_fixed_size 0
		.amdhsa_kernarg_size 24
		.amdhsa_user_sgpr_count 6
		.amdhsa_user_sgpr_private_segment_buffer 1
		.amdhsa_user_sgpr_dispatch_ptr 0
		.amdhsa_user_sgpr_queue_ptr 0
		.amdhsa_user_sgpr_kernarg_segment_ptr 1
		.amdhsa_user_sgpr_dispatch_id 0
		.amdhsa_user_sgpr_flat_scratch_init 0
		.amdhsa_user_sgpr_private_segment_size 0
		.amdhsa_uses_dynamic_stack 0
		.amdhsa_system_sgpr_private_segment_wavefront_offset 0
		.amdhsa_system_sgpr_workgroup_id_x 1
		.amdhsa_system_sgpr_workgroup_id_y 0
		.amdhsa_system_sgpr_workgroup_id_z 0
		.amdhsa_system_sgpr_workgroup_info 0
		.amdhsa_system_vgpr_workitem_id 0
		.amdhsa_next_free_vgpr 19
		.amdhsa_next_free_sgpr 42
		.amdhsa_reserve_vcc 1
		.amdhsa_reserve_flat_scratch 0
		.amdhsa_float_round_mode_32 0
		.amdhsa_float_round_mode_16_64 0
		.amdhsa_float_denorm_mode_32 3
		.amdhsa_float_denorm_mode_16_64 3
		.amdhsa_dx10_clamp 1
		.amdhsa_ieee_mode 1
		.amdhsa_fp16_overflow 0
		.amdhsa_exception_fp_ieee_invalid_op 0
		.amdhsa_exception_fp_denorm_src 0
		.amdhsa_exception_fp_ieee_div_zero 0
		.amdhsa_exception_fp_ieee_overflow 0
		.amdhsa_exception_fp_ieee_underflow 0
		.amdhsa_exception_fp_ieee_inexact 0
		.amdhsa_exception_int_div_zero 0
	.end_amdhsa_kernel
	.section	.text._ZN2at6native29vectorized_elementwise_kernelILi16EZZZNS0_12_GLOBAL__N_117hardshrink_kernelERNS_18TensorIteratorBaseERKN3c106ScalarEENKUlvE_clEvENKUlvE2_clEvEUlNS5_8BFloat16EE_St5arrayIPcLm2EEEEviT0_T1_,"axG",@progbits,_ZN2at6native29vectorized_elementwise_kernelILi16EZZZNS0_12_GLOBAL__N_117hardshrink_kernelERNS_18TensorIteratorBaseERKN3c106ScalarEENKUlvE_clEvENKUlvE2_clEvEUlNS5_8BFloat16EE_St5arrayIPcLm2EEEEviT0_T1_,comdat
.Lfunc_end24:
	.size	_ZN2at6native29vectorized_elementwise_kernelILi16EZZZNS0_12_GLOBAL__N_117hardshrink_kernelERNS_18TensorIteratorBaseERKN3c106ScalarEENKUlvE_clEvENKUlvE2_clEvEUlNS5_8BFloat16EE_St5arrayIPcLm2EEEEviT0_T1_, .Lfunc_end24-_ZN2at6native29vectorized_elementwise_kernelILi16EZZZNS0_12_GLOBAL__N_117hardshrink_kernelERNS_18TensorIteratorBaseERKN3c106ScalarEENKUlvE_clEvENKUlvE2_clEvEUlNS5_8BFloat16EE_St5arrayIPcLm2EEEEviT0_T1_
                                        ; -- End function
	.set _ZN2at6native29vectorized_elementwise_kernelILi16EZZZNS0_12_GLOBAL__N_117hardshrink_kernelERNS_18TensorIteratorBaseERKN3c106ScalarEENKUlvE_clEvENKUlvE2_clEvEUlNS5_8BFloat16EE_St5arrayIPcLm2EEEEviT0_T1_.num_vgpr, 19
	.set _ZN2at6native29vectorized_elementwise_kernelILi16EZZZNS0_12_GLOBAL__N_117hardshrink_kernelERNS_18TensorIteratorBaseERKN3c106ScalarEENKUlvE_clEvENKUlvE2_clEvEUlNS5_8BFloat16EE_St5arrayIPcLm2EEEEviT0_T1_.num_agpr, 0
	.set _ZN2at6native29vectorized_elementwise_kernelILi16EZZZNS0_12_GLOBAL__N_117hardshrink_kernelERNS_18TensorIteratorBaseERKN3c106ScalarEENKUlvE_clEvENKUlvE2_clEvEUlNS5_8BFloat16EE_St5arrayIPcLm2EEEEviT0_T1_.numbered_sgpr, 42
	.set _ZN2at6native29vectorized_elementwise_kernelILi16EZZZNS0_12_GLOBAL__N_117hardshrink_kernelERNS_18TensorIteratorBaseERKN3c106ScalarEENKUlvE_clEvENKUlvE2_clEvEUlNS5_8BFloat16EE_St5arrayIPcLm2EEEEviT0_T1_.num_named_barrier, 0
	.set _ZN2at6native29vectorized_elementwise_kernelILi16EZZZNS0_12_GLOBAL__N_117hardshrink_kernelERNS_18TensorIteratorBaseERKN3c106ScalarEENKUlvE_clEvENKUlvE2_clEvEUlNS5_8BFloat16EE_St5arrayIPcLm2EEEEviT0_T1_.private_seg_size, 0
	.set _ZN2at6native29vectorized_elementwise_kernelILi16EZZZNS0_12_GLOBAL__N_117hardshrink_kernelERNS_18TensorIteratorBaseERKN3c106ScalarEENKUlvE_clEvENKUlvE2_clEvEUlNS5_8BFloat16EE_St5arrayIPcLm2EEEEviT0_T1_.uses_vcc, 1
	.set _ZN2at6native29vectorized_elementwise_kernelILi16EZZZNS0_12_GLOBAL__N_117hardshrink_kernelERNS_18TensorIteratorBaseERKN3c106ScalarEENKUlvE_clEvENKUlvE2_clEvEUlNS5_8BFloat16EE_St5arrayIPcLm2EEEEviT0_T1_.uses_flat_scratch, 0
	.set _ZN2at6native29vectorized_elementwise_kernelILi16EZZZNS0_12_GLOBAL__N_117hardshrink_kernelERNS_18TensorIteratorBaseERKN3c106ScalarEENKUlvE_clEvENKUlvE2_clEvEUlNS5_8BFloat16EE_St5arrayIPcLm2EEEEviT0_T1_.has_dyn_sized_stack, 0
	.set _ZN2at6native29vectorized_elementwise_kernelILi16EZZZNS0_12_GLOBAL__N_117hardshrink_kernelERNS_18TensorIteratorBaseERKN3c106ScalarEENKUlvE_clEvENKUlvE2_clEvEUlNS5_8BFloat16EE_St5arrayIPcLm2EEEEviT0_T1_.has_recursion, 0
	.set _ZN2at6native29vectorized_elementwise_kernelILi16EZZZNS0_12_GLOBAL__N_117hardshrink_kernelERNS_18TensorIteratorBaseERKN3c106ScalarEENKUlvE_clEvENKUlvE2_clEvEUlNS5_8BFloat16EE_St5arrayIPcLm2EEEEviT0_T1_.has_indirect_call, 0
	.section	.AMDGPU.csdata,"",@progbits
; Kernel info:
; codeLenInByte = 1924
; TotalNumSgprs: 46
; NumVgprs: 19
; ScratchSize: 0
; MemoryBound: 0
; FloatMode: 240
; IeeeMode: 1
; LDSByteSize: 0 bytes/workgroup (compile time only)
; SGPRBlocks: 5
; VGPRBlocks: 4
; NumSGPRsForWavesPerEU: 46
; NumVGPRsForWavesPerEU: 19
; Occupancy: 10
; WaveLimiterHint : 0
; COMPUTE_PGM_RSRC2:SCRATCH_EN: 0
; COMPUTE_PGM_RSRC2:USER_SGPR: 6
; COMPUTE_PGM_RSRC2:TRAP_HANDLER: 0
; COMPUTE_PGM_RSRC2:TGID_X_EN: 1
; COMPUTE_PGM_RSRC2:TGID_Y_EN: 0
; COMPUTE_PGM_RSRC2:TGID_Z_EN: 0
; COMPUTE_PGM_RSRC2:TIDIG_COMP_CNT: 0
	.section	.text._ZN2at6native29vectorized_elementwise_kernelILi8EZZZNS0_12_GLOBAL__N_117hardshrink_kernelERNS_18TensorIteratorBaseERKN3c106ScalarEENKUlvE_clEvENKUlvE2_clEvEUlNS5_8BFloat16EE_St5arrayIPcLm2EEEEviT0_T1_,"axG",@progbits,_ZN2at6native29vectorized_elementwise_kernelILi8EZZZNS0_12_GLOBAL__N_117hardshrink_kernelERNS_18TensorIteratorBaseERKN3c106ScalarEENKUlvE_clEvENKUlvE2_clEvEUlNS5_8BFloat16EE_St5arrayIPcLm2EEEEviT0_T1_,comdat
	.globl	_ZN2at6native29vectorized_elementwise_kernelILi8EZZZNS0_12_GLOBAL__N_117hardshrink_kernelERNS_18TensorIteratorBaseERKN3c106ScalarEENKUlvE_clEvENKUlvE2_clEvEUlNS5_8BFloat16EE_St5arrayIPcLm2EEEEviT0_T1_ ; -- Begin function _ZN2at6native29vectorized_elementwise_kernelILi8EZZZNS0_12_GLOBAL__N_117hardshrink_kernelERNS_18TensorIteratorBaseERKN3c106ScalarEENKUlvE_clEvENKUlvE2_clEvEUlNS5_8BFloat16EE_St5arrayIPcLm2EEEEviT0_T1_
	.p2align	8
	.type	_ZN2at6native29vectorized_elementwise_kernelILi8EZZZNS0_12_GLOBAL__N_117hardshrink_kernelERNS_18TensorIteratorBaseERKN3c106ScalarEENKUlvE_clEvENKUlvE2_clEvEUlNS5_8BFloat16EE_St5arrayIPcLm2EEEEviT0_T1_,@function
_ZN2at6native29vectorized_elementwise_kernelILi8EZZZNS0_12_GLOBAL__N_117hardshrink_kernelERNS_18TensorIteratorBaseERKN3c106ScalarEENKUlvE_clEvENKUlvE2_clEvEUlNS5_8BFloat16EE_St5arrayIPcLm2EEEEviT0_T1_: ; @_ZN2at6native29vectorized_elementwise_kernelILi8EZZZNS0_12_GLOBAL__N_117hardshrink_kernelERNS_18TensorIteratorBaseERKN3c106ScalarEENKUlvE_clEvENKUlvE2_clEvEUlNS5_8BFloat16EE_St5arrayIPcLm2EEEEviT0_T1_
; %bb.0:
	s_load_dwordx2 s[34:35], s[4:5], 0x0
	s_load_dwordx4 s[36:39], s[4:5], 0x8
	s_lshl_b32 s30, s6, 11
	s_mov_b64 s[0:1], -1
	s_waitcnt lgkmcnt(0)
	s_sub_i32 s33, s34, s30
	s_cmpk_gt_i32 s33, 0x7ff
	s_cbranch_scc0 .LBB25_2
; %bb.1:
	s_ashr_i32 s31, s30, 31
	s_lshl_b64 s[0:1], s[30:31], 1
	s_add_u32 s2, s38, s0
	s_addc_u32 s3, s39, s1
	v_lshlrev_b32_e32 v5, 4, v0
	global_load_dwordx4 v[1:4], v5, s[2:3]
	s_lshl_b32 s28, s35, 16
	s_xor_b32 s2, s28, 0x80000000
	s_bfe_u32 s3, s2, 0x10010
	s_add_i32 s2, s2, s3
	s_addk_i32 s2, 0x7fff
	s_and_b32 s2, s2, 0xffff0000
	v_mov_b32_e32 v6, 0x7fc00000
	v_mov_b32_e32 v7, s2
	v_cmp_o_f32_e64 vcc, s28, s28
	v_cndmask_b32_e32 v6, v6, v7, vcc
	s_add_u32 s40, s36, s0
	s_addc_u32 s41, s37, s1
	s_mov_b32 s31, 0x5040100
	s_waitcnt vmcnt(0)
	v_and_b32_e32 v8, 0xffff0000, v1
	v_lshlrev_b32_e32 v7, 16, v1
	v_cmp_nle_f32_e32 vcc, v6, v8
	v_cmp_nge_f32_e64 s[2:3], s28, v8
	v_lshrrev_b32_e32 v9, 16, v1
	v_lshlrev_b32_e32 v10, 16, v2
	v_and_b32_e32 v11, 0xffff0000, v2
	v_lshlrev_b32_e32 v13, 16, v3
	v_and_b32_e32 v14, 0xffff0000, v3
	v_lshlrev_b32_e32 v16, 16, v4
	v_and_b32_e32 v17, 0xffff0000, v4
	v_cmp_nle_f32_e64 s[0:1], v6, v7
	v_cmp_nge_f32_e64 s[4:5], s28, v7
	s_or_b64 vcc, s[2:3], vcc
	v_cmp_nle_f32_e64 s[6:7], v6, v11
	v_cmp_nle_f32_e64 s[8:9], v6, v10
	v_cmp_nge_f32_e64 s[10:11], s28, v11
	v_cmp_nle_f32_e64 s[14:15], v6, v14
	v_cmp_nle_f32_e64 s[16:17], v6, v13
	;; [unrolled: 1-line block ×4, first 2 shown]
	v_cndmask_b32_e32 v6, 0, v9, vcc
	s_or_b64 vcc, s[4:5], s[0:1]
	v_lshrrev_b32_e32 v12, 16, v2
	v_cmp_nge_f32_e64 s[12:13], s28, v10
	v_cndmask_b32_e32 v1, 0, v1, vcc
	s_or_b64 vcc, s[10:11], s[6:7]
	v_cmp_nge_f32_e64 s[18:19], s28, v14
	v_cndmask_b32_e32 v7, 0, v12, vcc
	s_or_b64 vcc, s[12:13], s[8:9]
	v_lshrrev_b32_e32 v15, 16, v3
	v_cmp_nge_f32_e64 s[20:21], s28, v13
	v_cndmask_b32_e32 v2, 0, v2, vcc
	s_or_b64 vcc, s[18:19], s[14:15]
	v_cmp_nge_f32_e64 s[26:27], s28, v17
	v_cndmask_b32_e32 v8, 0, v15, vcc
	s_or_b64 vcc, s[20:21], s[16:17]
	v_lshrrev_b32_e32 v18, 16, v4
	v_cmp_nge_f32_e64 s[28:29], s28, v16
	v_cndmask_b32_e32 v3, 0, v3, vcc
	s_or_b64 vcc, s[26:27], s[22:23]
	v_cndmask_b32_e32 v9, 0, v18, vcc
	s_or_b64 vcc, s[28:29], s[24:25]
	v_cndmask_b32_e32 v4, 0, v4, vcc
	v_perm_b32 v4, v9, v4, s31
	v_perm_b32 v3, v8, v3, s31
	;; [unrolled: 1-line block ×4, first 2 shown]
	global_store_dwordx4 v5, v[1:4], s[40:41]
	s_mov_b64 s[0:1], 0
.LBB25_2:
	s_andn2_b64 vcc, exec, s[0:1]
	s_cbranch_vccnz .LBB25_28
; %bb.3:
	v_cmp_gt_i32_e32 vcc, s33, v0
	v_mov_b32_e32 v5, 0
	v_or_b32_e32 v1, s30, v0
	v_mov_b32_e32 v7, 0
	v_mov_b32_e32 v2, v0
	s_and_saveexec_b64 s[2:3], vcc
	s_cbranch_execz .LBB25_5
; %bb.4:
	v_mov_b32_e32 v2, 0
	v_lshlrev_b64 v[2:3], 1, v[1:2]
	v_mov_b32_e32 v4, s39
	v_add_co_u32_e64 v2, s[0:1], s38, v2
	v_addc_co_u32_e64 v3, s[0:1], v4, v3, s[0:1]
	global_load_ushort v7, v[2:3], off
	v_or_b32_e32 v2, 0x100, v0
.LBB25_5:
	s_or_b64 exec, exec, s[2:3]
	v_cmp_gt_i32_e64 s[0:1], s33, v2
	s_and_saveexec_b64 s[2:3], s[0:1]
	s_cbranch_execz .LBB25_7
; %bb.6:
	v_add_u32_e32 v3, s30, v2
	v_mov_b32_e32 v4, 0
	v_lshlrev_b64 v[3:4], 1, v[3:4]
	v_mov_b32_e32 v5, s39
	v_add_co_u32_e64 v3, s[0:1], s38, v3
	v_addc_co_u32_e64 v4, s[0:1], v5, v4, s[0:1]
	global_load_ushort v5, v[3:4], off
	v_add_u32_e32 v2, 0x100, v2
.LBB25_7:
	s_or_b64 exec, exec, s[2:3]
	v_cmp_gt_i32_e64 s[0:1], s33, v2
	v_mov_b32_e32 v6, 0
	v_mov_b32_e32 v10, 0
	s_and_saveexec_b64 s[2:3], s[0:1]
	s_cbranch_execz .LBB25_9
; %bb.8:
	v_add_u32_e32 v3, s30, v2
	v_mov_b32_e32 v4, 0
	v_lshlrev_b64 v[3:4], 1, v[3:4]
	v_mov_b32_e32 v8, s39
	v_add_co_u32_e64 v3, s[0:1], s38, v3
	v_addc_co_u32_e64 v4, s[0:1], v8, v4, s[0:1]
	global_load_ushort v10, v[3:4], off
	v_add_u32_e32 v2, 0x100, v2
.LBB25_9:
	s_or_b64 exec, exec, s[2:3]
	v_cmp_gt_i32_e64 s[0:1], s33, v2
	s_and_saveexec_b64 s[2:3], s[0:1]
	s_cbranch_execz .LBB25_11
; %bb.10:
	v_add_u32_e32 v3, s30, v2
	v_mov_b32_e32 v4, 0
	v_lshlrev_b64 v[3:4], 1, v[3:4]
	v_mov_b32_e32 v6, s39
	v_add_co_u32_e64 v3, s[0:1], s38, v3
	v_addc_co_u32_e64 v4, s[0:1], v6, v4, s[0:1]
	global_load_ushort v6, v[3:4], off
	v_add_u32_e32 v2, 0x100, v2
.LBB25_11:
	s_or_b64 exec, exec, s[2:3]
	v_cmp_gt_i32_e64 s[0:1], s33, v2
	v_mov_b32_e32 v4, 0
	v_mov_b32_e32 v9, 0
	s_and_saveexec_b64 s[2:3], s[0:1]
	s_cbranch_execz .LBB25_13
; %bb.12:
	v_add_u32_e32 v8, s30, v2
	v_mov_b32_e32 v9, 0
	v_lshlrev_b64 v[8:9], 1, v[8:9]
	v_mov_b32_e32 v3, s39
	v_add_co_u32_e64 v8, s[0:1], s38, v8
	v_addc_co_u32_e64 v9, s[0:1], v3, v9, s[0:1]
	global_load_ushort v9, v[8:9], off
	v_add_u32_e32 v2, 0x100, v2
.LBB25_13:
	;; [unrolled: 30-line block ×3, first 2 shown]
	s_or_b64 exec, exec, s[2:3]
	v_cmp_gt_i32_e64 s[0:1], s33, v2
	s_and_saveexec_b64 s[2:3], s[0:1]
	s_cbranch_execz .LBB25_19
; %bb.18:
	v_add_u32_e32 v2, s30, v2
	v_mov_b32_e32 v3, 0
	v_lshlrev_b64 v[2:3], 1, v[2:3]
	v_mov_b32_e32 v11, s39
	v_add_co_u32_e64 v2, s[0:1], s38, v2
	v_addc_co_u32_e64 v3, s[0:1], v11, v3, s[0:1]
	global_load_ushort v3, v[2:3], off
.LBB25_19:
	s_or_b64 exec, exec, s[2:3]
	s_lshl_b32 s0, s35, 16
	s_xor_b32 s1, s0, 0x80000000
	s_bfe_u32 s2, s1, 0x10010
	s_add_i32 s1, s1, s2
	s_addk_i32 s1, 0x7fff
	s_and_b32 s1, s1, 0xffff0000
	v_mov_b32_e32 v11, s0
	v_mov_b32_e32 v2, 0x7fc00000
	;; [unrolled: 1-line block ×3, first 2 shown]
	v_cmp_o_f32_e64 s[0:1], s0, s0
	v_cndmask_b32_e64 v12, v2, v12, s[0:1]
	s_and_saveexec_b64 s[2:3], vcc
	s_cbranch_execnz .LBB25_29
; %bb.20:
	s_or_b64 exec, exec, s[2:3]
	v_cmp_gt_i32_e32 vcc, s33, v0
	s_and_saveexec_b64 s[2:3], vcc
	s_cbranch_execnz .LBB25_30
.LBB25_21:
	s_or_b64 exec, exec, s[2:3]
	v_cmp_gt_i32_e32 vcc, s33, v0
	s_and_saveexec_b64 s[2:3], vcc
	s_cbranch_execnz .LBB25_31
.LBB25_22:
	s_or_b64 exec, exec, s[2:3]
	v_cmp_gt_i32_e32 vcc, s33, v0
	s_and_saveexec_b64 s[2:3], vcc
	s_cbranch_execnz .LBB25_32
.LBB25_23:
	s_or_b64 exec, exec, s[2:3]
	v_cmp_gt_i32_e32 vcc, s33, v0
	s_and_saveexec_b64 s[2:3], vcc
	s_cbranch_execnz .LBB25_33
.LBB25_24:
	s_or_b64 exec, exec, s[2:3]
	v_cmp_gt_i32_e32 vcc, s33, v0
	s_and_saveexec_b64 s[2:3], vcc
	s_cbranch_execnz .LBB25_34
.LBB25_25:
	s_or_b64 exec, exec, s[2:3]
	v_cmp_gt_i32_e32 vcc, s33, v0
	s_and_saveexec_b64 s[2:3], vcc
	s_cbranch_execnz .LBB25_35
.LBB25_26:
	s_or_b64 exec, exec, s[2:3]
	v_cmp_gt_i32_e32 vcc, s33, v0
	s_and_saveexec_b64 s[0:1], vcc
	s_cbranch_execz .LBB25_28
.LBB25_27:
	s_waitcnt vmcnt(0)
	v_lshlrev_b32_e32 v1, 16, v3
	v_cmp_nle_f32_e32 vcc, v12, v1
	v_cmp_nle_f32_e64 s[0:1], v1, v11
	v_add_u32_e32 v0, s30, v0
	v_mov_b32_e32 v1, 0
	v_lshlrev_b64 v[0:1], 1, v[0:1]
	s_or_b64 vcc, s[0:1], vcc
	v_cndmask_b32_e32 v2, 0, v3, vcc
	v_mov_b32_e32 v3, s37
	v_add_co_u32_e32 v0, vcc, s36, v0
	v_addc_co_u32_e32 v1, vcc, v3, v1, vcc
	global_store_short v[0:1], v2, off
.LBB25_28:
	s_endpgm
.LBB25_29:
	v_mov_b32_e32 v2, 0
	v_lshlrev_b64 v[1:2], 1, v[1:2]
	v_mov_b32_e32 v13, s37
	v_add_co_u32_e32 v1, vcc, s36, v1
	v_addc_co_u32_e32 v2, vcc, v13, v2, vcc
	s_waitcnt vmcnt(0)
	v_lshlrev_b32_e32 v13, 16, v7
	v_cmp_nge_f32_e32 vcc, v11, v13
	v_cmp_nle_f32_e64 s[0:1], v12, v13
	s_or_b64 vcc, vcc, s[0:1]
	v_or_b32_e32 v0, 0x100, v0
	v_cndmask_b32_e32 v7, 0, v7, vcc
	global_store_short v[1:2], v7, off
	s_or_b64 exec, exec, s[2:3]
	v_cmp_gt_i32_e32 vcc, s33, v0
	s_and_saveexec_b64 s[2:3], vcc
	s_cbranch_execz .LBB25_21
.LBB25_30:
	s_waitcnt vmcnt(0)
	v_lshlrev_b32_e32 v1, 16, v5
	v_cmp_nle_f32_e32 vcc, v12, v1
	v_cmp_nge_f32_e64 s[0:1], v11, v1
	v_add_u32_e32 v1, s30, v0
	v_mov_b32_e32 v2, 0
	v_lshlrev_b64 v[1:2], 1, v[1:2]
	s_or_b64 vcc, s[0:1], vcc
	v_cndmask_b32_e32 v5, 0, v5, vcc
	v_mov_b32_e32 v7, s37
	v_add_co_u32_e32 v1, vcc, s36, v1
	v_addc_co_u32_e32 v2, vcc, v7, v2, vcc
	v_add_u32_e32 v0, 0x100, v0
	global_store_short v[1:2], v5, off
	s_or_b64 exec, exec, s[2:3]
	v_cmp_gt_i32_e32 vcc, s33, v0
	s_and_saveexec_b64 s[2:3], vcc
	s_cbranch_execz .LBB25_22
.LBB25_31:
	s_waitcnt vmcnt(0)
	v_lshlrev_b32_e32 v1, 16, v10
	v_cmp_nle_f32_e32 vcc, v12, v1
	v_cmp_nge_f32_e64 s[0:1], v11, v1
	v_add_u32_e32 v1, s30, v0
	v_mov_b32_e32 v2, 0
	v_lshlrev_b64 v[1:2], 1, v[1:2]
	s_or_b64 vcc, s[0:1], vcc
	v_cndmask_b32_e32 v5, 0, v10, vcc
	v_mov_b32_e32 v7, s37
	v_add_co_u32_e32 v1, vcc, s36, v1
	v_addc_co_u32_e32 v2, vcc, v7, v2, vcc
	v_add_u32_e32 v0, 0x100, v0
	global_store_short v[1:2], v5, off
	s_or_b64 exec, exec, s[2:3]
	v_cmp_gt_i32_e32 vcc, s33, v0
	s_and_saveexec_b64 s[2:3], vcc
	s_cbranch_execz .LBB25_23
.LBB25_32:
	s_waitcnt vmcnt(0)
	v_lshlrev_b32_e32 v1, 16, v6
	v_cmp_nle_f32_e32 vcc, v12, v1
	v_cmp_nge_f32_e64 s[0:1], v11, v1
	v_add_u32_e32 v1, s30, v0
	v_mov_b32_e32 v2, 0
	v_lshlrev_b64 v[1:2], 1, v[1:2]
	s_or_b64 vcc, s[0:1], vcc
	v_cndmask_b32_e32 v5, 0, v6, vcc
	v_mov_b32_e32 v6, s37
	v_add_co_u32_e32 v1, vcc, s36, v1
	v_addc_co_u32_e32 v2, vcc, v6, v2, vcc
	v_add_u32_e32 v0, 0x100, v0
	global_store_short v[1:2], v5, off
	s_or_b64 exec, exec, s[2:3]
	v_cmp_gt_i32_e32 vcc, s33, v0
	s_and_saveexec_b64 s[2:3], vcc
	s_cbranch_execz .LBB25_24
.LBB25_33:
	s_waitcnt vmcnt(0)
	v_lshlrev_b32_e32 v1, 16, v9
	v_cmp_nle_f32_e32 vcc, v12, v1
	v_cmp_nge_f32_e64 s[0:1], v11, v1
	v_add_u32_e32 v1, s30, v0
	v_mov_b32_e32 v2, 0
	v_lshlrev_b64 v[1:2], 1, v[1:2]
	s_or_b64 vcc, s[0:1], vcc
	v_cndmask_b32_e32 v5, 0, v9, vcc
	v_mov_b32_e32 v6, s37
	v_add_co_u32_e32 v1, vcc, s36, v1
	v_addc_co_u32_e32 v2, vcc, v6, v2, vcc
	v_add_u32_e32 v0, 0x100, v0
	global_store_short v[1:2], v5, off
	s_or_b64 exec, exec, s[2:3]
	v_cmp_gt_i32_e32 vcc, s33, v0
	s_and_saveexec_b64 s[2:3], vcc
	s_cbranch_execz .LBB25_25
.LBB25_34:
	s_waitcnt vmcnt(0)
	v_lshlrev_b32_e32 v1, 16, v4
	v_cmp_nle_f32_e32 vcc, v12, v1
	v_cmp_nge_f32_e64 s[0:1], v11, v1
	v_add_u32_e32 v1, s30, v0
	v_mov_b32_e32 v2, 0
	v_lshlrev_b64 v[1:2], 1, v[1:2]
	s_or_b64 vcc, s[0:1], vcc
	v_cndmask_b32_e32 v4, 0, v4, vcc
	v_mov_b32_e32 v5, s37
	v_add_co_u32_e32 v1, vcc, s36, v1
	v_addc_co_u32_e32 v2, vcc, v5, v2, vcc
	v_add_u32_e32 v0, 0x100, v0
	global_store_short v[1:2], v4, off
	s_or_b64 exec, exec, s[2:3]
	v_cmp_gt_i32_e32 vcc, s33, v0
	s_and_saveexec_b64 s[2:3], vcc
	s_cbranch_execz .LBB25_26
.LBB25_35:
	s_waitcnt vmcnt(0)
	v_lshlrev_b32_e32 v1, 16, v8
	v_cmp_nle_f32_e32 vcc, v12, v1
	v_cmp_nge_f32_e64 s[0:1], v11, v1
	v_add_u32_e32 v1, s30, v0
	v_mov_b32_e32 v2, 0
	v_lshlrev_b64 v[1:2], 1, v[1:2]
	s_or_b64 vcc, s[0:1], vcc
	v_cndmask_b32_e32 v4, 0, v8, vcc
	v_mov_b32_e32 v5, s37
	v_add_co_u32_e32 v1, vcc, s36, v1
	v_addc_co_u32_e32 v2, vcc, v5, v2, vcc
	v_add_u32_e32 v0, 0x100, v0
	global_store_short v[1:2], v4, off
	s_or_b64 exec, exec, s[2:3]
	v_cmp_gt_i32_e32 vcc, s33, v0
	s_and_saveexec_b64 s[0:1], vcc
	s_cbranch_execnz .LBB25_27
	s_branch .LBB25_28
	.section	.rodata,"a",@progbits
	.p2align	6, 0x0
	.amdhsa_kernel _ZN2at6native29vectorized_elementwise_kernelILi8EZZZNS0_12_GLOBAL__N_117hardshrink_kernelERNS_18TensorIteratorBaseERKN3c106ScalarEENKUlvE_clEvENKUlvE2_clEvEUlNS5_8BFloat16EE_St5arrayIPcLm2EEEEviT0_T1_
		.amdhsa_group_segment_fixed_size 0
		.amdhsa_private_segment_fixed_size 0
		.amdhsa_kernarg_size 24
		.amdhsa_user_sgpr_count 6
		.amdhsa_user_sgpr_private_segment_buffer 1
		.amdhsa_user_sgpr_dispatch_ptr 0
		.amdhsa_user_sgpr_queue_ptr 0
		.amdhsa_user_sgpr_kernarg_segment_ptr 1
		.amdhsa_user_sgpr_dispatch_id 0
		.amdhsa_user_sgpr_flat_scratch_init 0
		.amdhsa_user_sgpr_private_segment_size 0
		.amdhsa_uses_dynamic_stack 0
		.amdhsa_system_sgpr_private_segment_wavefront_offset 0
		.amdhsa_system_sgpr_workgroup_id_x 1
		.amdhsa_system_sgpr_workgroup_id_y 0
		.amdhsa_system_sgpr_workgroup_id_z 0
		.amdhsa_system_sgpr_workgroup_info 0
		.amdhsa_system_vgpr_workitem_id 0
		.amdhsa_next_free_vgpr 19
		.amdhsa_next_free_sgpr 42
		.amdhsa_reserve_vcc 1
		.amdhsa_reserve_flat_scratch 0
		.amdhsa_float_round_mode_32 0
		.amdhsa_float_round_mode_16_64 0
		.amdhsa_float_denorm_mode_32 3
		.amdhsa_float_denorm_mode_16_64 3
		.amdhsa_dx10_clamp 1
		.amdhsa_ieee_mode 1
		.amdhsa_fp16_overflow 0
		.amdhsa_exception_fp_ieee_invalid_op 0
		.amdhsa_exception_fp_denorm_src 0
		.amdhsa_exception_fp_ieee_div_zero 0
		.amdhsa_exception_fp_ieee_overflow 0
		.amdhsa_exception_fp_ieee_underflow 0
		.amdhsa_exception_fp_ieee_inexact 0
		.amdhsa_exception_int_div_zero 0
	.end_amdhsa_kernel
	.section	.text._ZN2at6native29vectorized_elementwise_kernelILi8EZZZNS0_12_GLOBAL__N_117hardshrink_kernelERNS_18TensorIteratorBaseERKN3c106ScalarEENKUlvE_clEvENKUlvE2_clEvEUlNS5_8BFloat16EE_St5arrayIPcLm2EEEEviT0_T1_,"axG",@progbits,_ZN2at6native29vectorized_elementwise_kernelILi8EZZZNS0_12_GLOBAL__N_117hardshrink_kernelERNS_18TensorIteratorBaseERKN3c106ScalarEENKUlvE_clEvENKUlvE2_clEvEUlNS5_8BFloat16EE_St5arrayIPcLm2EEEEviT0_T1_,comdat
.Lfunc_end25:
	.size	_ZN2at6native29vectorized_elementwise_kernelILi8EZZZNS0_12_GLOBAL__N_117hardshrink_kernelERNS_18TensorIteratorBaseERKN3c106ScalarEENKUlvE_clEvENKUlvE2_clEvEUlNS5_8BFloat16EE_St5arrayIPcLm2EEEEviT0_T1_, .Lfunc_end25-_ZN2at6native29vectorized_elementwise_kernelILi8EZZZNS0_12_GLOBAL__N_117hardshrink_kernelERNS_18TensorIteratorBaseERKN3c106ScalarEENKUlvE_clEvENKUlvE2_clEvEUlNS5_8BFloat16EE_St5arrayIPcLm2EEEEviT0_T1_
                                        ; -- End function
	.set _ZN2at6native29vectorized_elementwise_kernelILi8EZZZNS0_12_GLOBAL__N_117hardshrink_kernelERNS_18TensorIteratorBaseERKN3c106ScalarEENKUlvE_clEvENKUlvE2_clEvEUlNS5_8BFloat16EE_St5arrayIPcLm2EEEEviT0_T1_.num_vgpr, 19
	.set _ZN2at6native29vectorized_elementwise_kernelILi8EZZZNS0_12_GLOBAL__N_117hardshrink_kernelERNS_18TensorIteratorBaseERKN3c106ScalarEENKUlvE_clEvENKUlvE2_clEvEUlNS5_8BFloat16EE_St5arrayIPcLm2EEEEviT0_T1_.num_agpr, 0
	.set _ZN2at6native29vectorized_elementwise_kernelILi8EZZZNS0_12_GLOBAL__N_117hardshrink_kernelERNS_18TensorIteratorBaseERKN3c106ScalarEENKUlvE_clEvENKUlvE2_clEvEUlNS5_8BFloat16EE_St5arrayIPcLm2EEEEviT0_T1_.numbered_sgpr, 42
	.set _ZN2at6native29vectorized_elementwise_kernelILi8EZZZNS0_12_GLOBAL__N_117hardshrink_kernelERNS_18TensorIteratorBaseERKN3c106ScalarEENKUlvE_clEvENKUlvE2_clEvEUlNS5_8BFloat16EE_St5arrayIPcLm2EEEEviT0_T1_.num_named_barrier, 0
	.set _ZN2at6native29vectorized_elementwise_kernelILi8EZZZNS0_12_GLOBAL__N_117hardshrink_kernelERNS_18TensorIteratorBaseERKN3c106ScalarEENKUlvE_clEvENKUlvE2_clEvEUlNS5_8BFloat16EE_St5arrayIPcLm2EEEEviT0_T1_.private_seg_size, 0
	.set _ZN2at6native29vectorized_elementwise_kernelILi8EZZZNS0_12_GLOBAL__N_117hardshrink_kernelERNS_18TensorIteratorBaseERKN3c106ScalarEENKUlvE_clEvENKUlvE2_clEvEUlNS5_8BFloat16EE_St5arrayIPcLm2EEEEviT0_T1_.uses_vcc, 1
	.set _ZN2at6native29vectorized_elementwise_kernelILi8EZZZNS0_12_GLOBAL__N_117hardshrink_kernelERNS_18TensorIteratorBaseERKN3c106ScalarEENKUlvE_clEvENKUlvE2_clEvEUlNS5_8BFloat16EE_St5arrayIPcLm2EEEEviT0_T1_.uses_flat_scratch, 0
	.set _ZN2at6native29vectorized_elementwise_kernelILi8EZZZNS0_12_GLOBAL__N_117hardshrink_kernelERNS_18TensorIteratorBaseERKN3c106ScalarEENKUlvE_clEvENKUlvE2_clEvEUlNS5_8BFloat16EE_St5arrayIPcLm2EEEEviT0_T1_.has_dyn_sized_stack, 0
	.set _ZN2at6native29vectorized_elementwise_kernelILi8EZZZNS0_12_GLOBAL__N_117hardshrink_kernelERNS_18TensorIteratorBaseERKN3c106ScalarEENKUlvE_clEvENKUlvE2_clEvEUlNS5_8BFloat16EE_St5arrayIPcLm2EEEEviT0_T1_.has_recursion, 0
	.set _ZN2at6native29vectorized_elementwise_kernelILi8EZZZNS0_12_GLOBAL__N_117hardshrink_kernelERNS_18TensorIteratorBaseERKN3c106ScalarEENKUlvE_clEvENKUlvE2_clEvEUlNS5_8BFloat16EE_St5arrayIPcLm2EEEEviT0_T1_.has_indirect_call, 0
	.section	.AMDGPU.csdata,"",@progbits
; Kernel info:
; codeLenInByte = 1924
; TotalNumSgprs: 46
; NumVgprs: 19
; ScratchSize: 0
; MemoryBound: 0
; FloatMode: 240
; IeeeMode: 1
; LDSByteSize: 0 bytes/workgroup (compile time only)
; SGPRBlocks: 5
; VGPRBlocks: 4
; NumSGPRsForWavesPerEU: 46
; NumVGPRsForWavesPerEU: 19
; Occupancy: 10
; WaveLimiterHint : 0
; COMPUTE_PGM_RSRC2:SCRATCH_EN: 0
; COMPUTE_PGM_RSRC2:USER_SGPR: 6
; COMPUTE_PGM_RSRC2:TRAP_HANDLER: 0
; COMPUTE_PGM_RSRC2:TGID_X_EN: 1
; COMPUTE_PGM_RSRC2:TGID_Y_EN: 0
; COMPUTE_PGM_RSRC2:TGID_Z_EN: 0
; COMPUTE_PGM_RSRC2:TIDIG_COMP_CNT: 0
	.section	.text._ZN2at6native29vectorized_elementwise_kernelILi4EZZZNS0_12_GLOBAL__N_117hardshrink_kernelERNS_18TensorIteratorBaseERKN3c106ScalarEENKUlvE_clEvENKUlvE2_clEvEUlNS5_8BFloat16EE_St5arrayIPcLm2EEEEviT0_T1_,"axG",@progbits,_ZN2at6native29vectorized_elementwise_kernelILi4EZZZNS0_12_GLOBAL__N_117hardshrink_kernelERNS_18TensorIteratorBaseERKN3c106ScalarEENKUlvE_clEvENKUlvE2_clEvEUlNS5_8BFloat16EE_St5arrayIPcLm2EEEEviT0_T1_,comdat
	.globl	_ZN2at6native29vectorized_elementwise_kernelILi4EZZZNS0_12_GLOBAL__N_117hardshrink_kernelERNS_18TensorIteratorBaseERKN3c106ScalarEENKUlvE_clEvENKUlvE2_clEvEUlNS5_8BFloat16EE_St5arrayIPcLm2EEEEviT0_T1_ ; -- Begin function _ZN2at6native29vectorized_elementwise_kernelILi4EZZZNS0_12_GLOBAL__N_117hardshrink_kernelERNS_18TensorIteratorBaseERKN3c106ScalarEENKUlvE_clEvENKUlvE2_clEvEUlNS5_8BFloat16EE_St5arrayIPcLm2EEEEviT0_T1_
	.p2align	8
	.type	_ZN2at6native29vectorized_elementwise_kernelILi4EZZZNS0_12_GLOBAL__N_117hardshrink_kernelERNS_18TensorIteratorBaseERKN3c106ScalarEENKUlvE_clEvENKUlvE2_clEvEUlNS5_8BFloat16EE_St5arrayIPcLm2EEEEviT0_T1_,@function
_ZN2at6native29vectorized_elementwise_kernelILi4EZZZNS0_12_GLOBAL__N_117hardshrink_kernelERNS_18TensorIteratorBaseERKN3c106ScalarEENKUlvE_clEvENKUlvE2_clEvEUlNS5_8BFloat16EE_St5arrayIPcLm2EEEEviT0_T1_: ; @_ZN2at6native29vectorized_elementwise_kernelILi4EZZZNS0_12_GLOBAL__N_117hardshrink_kernelERNS_18TensorIteratorBaseERKN3c106ScalarEENKUlvE_clEvENKUlvE2_clEvEUlNS5_8BFloat16EE_St5arrayIPcLm2EEEEviT0_T1_
; %bb.0:
	s_load_dwordx2 s[34:35], s[4:5], 0x0
	s_load_dwordx4 s[36:39], s[4:5], 0x8
	s_lshl_b32 s30, s6, 11
	s_mov_b64 s[0:1], -1
	s_waitcnt lgkmcnt(0)
	s_sub_i32 s33, s34, s30
	s_cmpk_gt_i32 s33, 0x7ff
	s_cbranch_scc0 .LBB26_2
; %bb.1:
	s_ashr_i32 s31, s30, 31
	s_lshl_b64 s[40:41], s[30:31], 1
	s_add_u32 s0, s38, s40
	s_addc_u32 s1, s39, s41
	v_lshlrev_b32_e32 v5, 3, v0
	global_load_dwordx2 v[1:2], v5, s[0:1]
	global_load_dwordx2 v[3:4], v5, s[0:1] offset:2048
	s_lshl_b32 s28, s35, 16
	s_xor_b32 s0, s28, 0x80000000
	s_bfe_u32 s1, s0, 0x10010
	s_add_i32 s0, s0, s1
	s_addk_i32 s0, 0x7fff
	s_and_b32 s0, s0, 0xffff0000
	v_mov_b32_e32 v6, 0x7fc00000
	v_mov_b32_e32 v7, s0
	v_cmp_o_f32_e64 vcc, s28, s28
	v_cndmask_b32_e32 v6, v6, v7, vcc
	s_waitcnt vmcnt(1)
	v_lshlrev_b32_e32 v7, 16, v1
	v_lshlrev_b32_e32 v9, 16, v2
	v_cmp_nle_f32_e32 vcc, v6, v7
	v_cmp_nge_f32_e64 s[0:1], s28, v7
	v_and_b32_e32 v8, 0xffff0000, v1
	v_and_b32_e32 v1, 0xffff, v1
	;; [unrolled: 1-line block ×4, first 2 shown]
	v_cmp_nle_f32_e64 s[6:7], v6, v9
	v_cmp_nge_f32_e64 s[8:9], s28, v9
	s_or_b64 vcc, s[0:1], vcc
	s_waitcnt vmcnt(0)
	v_and_b32_e32 v12, 0xffff0000, v3
	v_cmp_nle_f32_e64 s[10:11], v6, v2
	v_cmp_nge_f32_e64 s[12:13], s28, v2
	v_cndmask_b32_e32 v1, 0, v1, vcc
	s_or_b64 vcc, s[8:9], s[6:7]
	v_lshlrev_b32_e32 v11, 16, v3
	v_cmp_nle_f32_e64 s[2:3], v6, v8
	v_cmp_nge_f32_e64 s[4:5], s28, v8
	v_cmp_nle_f32_e64 s[18:19], v6, v12
	v_cmp_nge_f32_e64 s[20:21], s28, v12
	v_cndmask_b32_e32 v7, 0, v10, vcc
	s_or_b64 vcc, s[12:13], s[10:11]
	v_lshlrev_b32_e32 v13, 16, v4
	v_and_b32_e32 v14, 0xffff, v4
	v_and_b32_e32 v4, 0xffff0000, v4
	v_cmp_nle_f32_e64 s[14:15], v6, v11
	v_cmp_nge_f32_e64 s[16:17], s28, v11
	s_or_b64 s[2:3], s[4:5], s[2:3]
	v_cndmask_b32_e32 v2, 0, v2, vcc
	s_or_b64 vcc, s[20:21], s[18:19]
	v_and_b32_e32 v3, 0xffff, v3
	v_cmp_nle_f32_e64 s[22:23], v6, v13
	v_cmp_nge_f32_e64 s[24:25], s28, v13
	v_cmp_nle_f32_e64 s[26:27], v6, v4
	v_cndmask_b32_e64 v6, 0, v8, s[2:3]
	v_cndmask_b32_e32 v8, 0, v12, vcc
	s_or_b64 vcc, s[16:17], s[14:15]
	v_cmp_nge_f32_e64 s[28:29], s28, v4
	v_cndmask_b32_e32 v3, 0, v3, vcc
	s_or_b64 vcc, s[24:25], s[22:23]
	v_cndmask_b32_e32 v9, 0, v14, vcc
	s_or_b64 vcc, s[28:29], s[26:27]
	v_or_b32_e32 v1, v1, v6
	s_add_u32 s0, s36, s40
	v_cndmask_b32_e32 v4, 0, v4, vcc
	v_or3_b32 v2, 0, v7, v2
	v_or_b32_e32 v3, v3, v8
	v_or3_b32 v1, v1, 0, 0
	s_addc_u32 s1, s37, s41
	v_or3_b32 v4, 0, v9, v4
	v_or3_b32 v3, v3, 0, 0
	global_store_dwordx2 v5, v[1:2], s[0:1]
	global_store_dwordx2 v5, v[3:4], s[0:1] offset:2048
	s_mov_b64 s[0:1], 0
.LBB26_2:
	s_andn2_b64 vcc, exec, s[0:1]
	s_cbranch_vccnz .LBB26_28
; %bb.3:
	v_cmp_gt_i32_e32 vcc, s33, v0
	v_mov_b32_e32 v5, 0
	v_or_b32_e32 v1, s30, v0
	v_mov_b32_e32 v7, 0
	v_mov_b32_e32 v2, v0
	s_and_saveexec_b64 s[2:3], vcc
	s_cbranch_execz .LBB26_5
; %bb.4:
	v_mov_b32_e32 v2, 0
	v_lshlrev_b64 v[2:3], 1, v[1:2]
	v_mov_b32_e32 v4, s39
	v_add_co_u32_e64 v2, s[0:1], s38, v2
	v_addc_co_u32_e64 v3, s[0:1], v4, v3, s[0:1]
	global_load_ushort v7, v[2:3], off
	v_or_b32_e32 v2, 0x100, v0
.LBB26_5:
	s_or_b64 exec, exec, s[2:3]
	v_cmp_gt_i32_e64 s[0:1], s33, v2
	s_and_saveexec_b64 s[2:3], s[0:1]
	s_cbranch_execz .LBB26_7
; %bb.6:
	v_add_u32_e32 v3, s30, v2
	v_mov_b32_e32 v4, 0
	v_lshlrev_b64 v[3:4], 1, v[3:4]
	v_mov_b32_e32 v5, s39
	v_add_co_u32_e64 v3, s[0:1], s38, v3
	v_addc_co_u32_e64 v4, s[0:1], v5, v4, s[0:1]
	global_load_ushort v5, v[3:4], off
	v_add_u32_e32 v2, 0x100, v2
.LBB26_7:
	s_or_b64 exec, exec, s[2:3]
	v_cmp_gt_i32_e64 s[0:1], s33, v2
	v_mov_b32_e32 v6, 0
	v_mov_b32_e32 v10, 0
	s_and_saveexec_b64 s[2:3], s[0:1]
	s_cbranch_execz .LBB26_9
; %bb.8:
	v_add_u32_e32 v3, s30, v2
	v_mov_b32_e32 v4, 0
	v_lshlrev_b64 v[3:4], 1, v[3:4]
	v_mov_b32_e32 v8, s39
	v_add_co_u32_e64 v3, s[0:1], s38, v3
	v_addc_co_u32_e64 v4, s[0:1], v8, v4, s[0:1]
	global_load_ushort v10, v[3:4], off
	v_add_u32_e32 v2, 0x100, v2
.LBB26_9:
	s_or_b64 exec, exec, s[2:3]
	v_cmp_gt_i32_e64 s[0:1], s33, v2
	s_and_saveexec_b64 s[2:3], s[0:1]
	s_cbranch_execz .LBB26_11
; %bb.10:
	v_add_u32_e32 v3, s30, v2
	v_mov_b32_e32 v4, 0
	v_lshlrev_b64 v[3:4], 1, v[3:4]
	v_mov_b32_e32 v6, s39
	v_add_co_u32_e64 v3, s[0:1], s38, v3
	v_addc_co_u32_e64 v4, s[0:1], v6, v4, s[0:1]
	global_load_ushort v6, v[3:4], off
	v_add_u32_e32 v2, 0x100, v2
.LBB26_11:
	s_or_b64 exec, exec, s[2:3]
	v_cmp_gt_i32_e64 s[0:1], s33, v2
	v_mov_b32_e32 v4, 0
	v_mov_b32_e32 v9, 0
	s_and_saveexec_b64 s[2:3], s[0:1]
	s_cbranch_execz .LBB26_13
; %bb.12:
	v_add_u32_e32 v8, s30, v2
	v_mov_b32_e32 v9, 0
	v_lshlrev_b64 v[8:9], 1, v[8:9]
	v_mov_b32_e32 v3, s39
	v_add_co_u32_e64 v8, s[0:1], s38, v8
	v_addc_co_u32_e64 v9, s[0:1], v3, v9, s[0:1]
	global_load_ushort v9, v[8:9], off
	v_add_u32_e32 v2, 0x100, v2
.LBB26_13:
	s_or_b64 exec, exec, s[2:3]
	v_cmp_gt_i32_e64 s[0:1], s33, v2
	s_and_saveexec_b64 s[2:3], s[0:1]
	s_cbranch_execz .LBB26_15
; %bb.14:
	v_add_u32_e32 v3, s30, v2
	v_mov_b32_e32 v4, 0
	v_lshlrev_b64 v[3:4], 1, v[3:4]
	v_mov_b32_e32 v8, s39
	v_add_co_u32_e64 v3, s[0:1], s38, v3
	v_addc_co_u32_e64 v4, s[0:1], v8, v4, s[0:1]
	global_load_ushort v4, v[3:4], off
	v_add_u32_e32 v2, 0x100, v2
.LBB26_15:
	s_or_b64 exec, exec, s[2:3]
	v_cmp_gt_i32_e64 s[0:1], s33, v2
	v_mov_b32_e32 v3, 0
	v_mov_b32_e32 v8, 0
	s_and_saveexec_b64 s[2:3], s[0:1]
	s_cbranch_execz .LBB26_17
; %bb.16:
	v_add_u32_e32 v11, s30, v2
	v_mov_b32_e32 v12, 0
	v_lshlrev_b64 v[11:12], 1, v[11:12]
	v_mov_b32_e32 v8, s39
	v_add_co_u32_e64 v11, s[0:1], s38, v11
	v_addc_co_u32_e64 v12, s[0:1], v8, v12, s[0:1]
	global_load_ushort v8, v[11:12], off
	v_add_u32_e32 v2, 0x100, v2
.LBB26_17:
	s_or_b64 exec, exec, s[2:3]
	v_cmp_gt_i32_e64 s[0:1], s33, v2
	s_and_saveexec_b64 s[2:3], s[0:1]
	s_cbranch_execz .LBB26_19
; %bb.18:
	v_add_u32_e32 v2, s30, v2
	v_mov_b32_e32 v3, 0
	v_lshlrev_b64 v[2:3], 1, v[2:3]
	v_mov_b32_e32 v11, s39
	v_add_co_u32_e64 v2, s[0:1], s38, v2
	v_addc_co_u32_e64 v3, s[0:1], v11, v3, s[0:1]
	global_load_ushort v3, v[2:3], off
.LBB26_19:
	s_or_b64 exec, exec, s[2:3]
	s_lshl_b32 s0, s35, 16
	s_xor_b32 s1, s0, 0x80000000
	s_bfe_u32 s2, s1, 0x10010
	s_add_i32 s1, s1, s2
	s_addk_i32 s1, 0x7fff
	s_and_b32 s1, s1, 0xffff0000
	v_mov_b32_e32 v11, s0
	v_mov_b32_e32 v2, 0x7fc00000
	;; [unrolled: 1-line block ×3, first 2 shown]
	v_cmp_o_f32_e64 s[0:1], s0, s0
	v_cndmask_b32_e64 v12, v2, v12, s[0:1]
	s_and_saveexec_b64 s[2:3], vcc
	s_cbranch_execnz .LBB26_29
; %bb.20:
	s_or_b64 exec, exec, s[2:3]
	v_cmp_gt_i32_e32 vcc, s33, v0
	s_and_saveexec_b64 s[2:3], vcc
	s_cbranch_execnz .LBB26_30
.LBB26_21:
	s_or_b64 exec, exec, s[2:3]
	v_cmp_gt_i32_e32 vcc, s33, v0
	s_and_saveexec_b64 s[2:3], vcc
	s_cbranch_execnz .LBB26_31
.LBB26_22:
	s_or_b64 exec, exec, s[2:3]
	v_cmp_gt_i32_e32 vcc, s33, v0
	s_and_saveexec_b64 s[2:3], vcc
	s_cbranch_execnz .LBB26_32
.LBB26_23:
	s_or_b64 exec, exec, s[2:3]
	v_cmp_gt_i32_e32 vcc, s33, v0
	s_and_saveexec_b64 s[2:3], vcc
	s_cbranch_execnz .LBB26_33
.LBB26_24:
	s_or_b64 exec, exec, s[2:3]
	v_cmp_gt_i32_e32 vcc, s33, v0
	s_and_saveexec_b64 s[2:3], vcc
	s_cbranch_execnz .LBB26_34
.LBB26_25:
	s_or_b64 exec, exec, s[2:3]
	v_cmp_gt_i32_e32 vcc, s33, v0
	s_and_saveexec_b64 s[2:3], vcc
	s_cbranch_execnz .LBB26_35
.LBB26_26:
	s_or_b64 exec, exec, s[2:3]
	v_cmp_gt_i32_e32 vcc, s33, v0
	s_and_saveexec_b64 s[0:1], vcc
	s_cbranch_execz .LBB26_28
.LBB26_27:
	s_waitcnt vmcnt(0)
	v_lshlrev_b32_e32 v1, 16, v3
	v_cmp_nle_f32_e32 vcc, v12, v1
	v_cmp_nle_f32_e64 s[0:1], v1, v11
	v_add_u32_e32 v0, s30, v0
	v_mov_b32_e32 v1, 0
	v_lshlrev_b64 v[0:1], 1, v[0:1]
	s_or_b64 vcc, s[0:1], vcc
	v_cndmask_b32_e32 v2, 0, v3, vcc
	v_mov_b32_e32 v3, s37
	v_add_co_u32_e32 v0, vcc, s36, v0
	v_addc_co_u32_e32 v1, vcc, v3, v1, vcc
	global_store_short v[0:1], v2, off
.LBB26_28:
	s_endpgm
.LBB26_29:
	v_mov_b32_e32 v2, 0
	v_lshlrev_b64 v[1:2], 1, v[1:2]
	v_mov_b32_e32 v13, s37
	v_add_co_u32_e32 v1, vcc, s36, v1
	v_addc_co_u32_e32 v2, vcc, v13, v2, vcc
	s_waitcnt vmcnt(0)
	v_lshlrev_b32_e32 v13, 16, v7
	v_cmp_nge_f32_e32 vcc, v11, v13
	v_cmp_nle_f32_e64 s[0:1], v12, v13
	s_or_b64 vcc, vcc, s[0:1]
	v_or_b32_e32 v0, 0x100, v0
	v_cndmask_b32_e32 v7, 0, v7, vcc
	global_store_short v[1:2], v7, off
	s_or_b64 exec, exec, s[2:3]
	v_cmp_gt_i32_e32 vcc, s33, v0
	s_and_saveexec_b64 s[2:3], vcc
	s_cbranch_execz .LBB26_21
.LBB26_30:
	s_waitcnt vmcnt(0)
	v_lshlrev_b32_e32 v1, 16, v5
	v_cmp_nle_f32_e32 vcc, v12, v1
	v_cmp_nge_f32_e64 s[0:1], v11, v1
	v_add_u32_e32 v1, s30, v0
	v_mov_b32_e32 v2, 0
	v_lshlrev_b64 v[1:2], 1, v[1:2]
	s_or_b64 vcc, s[0:1], vcc
	v_cndmask_b32_e32 v5, 0, v5, vcc
	v_mov_b32_e32 v7, s37
	v_add_co_u32_e32 v1, vcc, s36, v1
	v_addc_co_u32_e32 v2, vcc, v7, v2, vcc
	v_add_u32_e32 v0, 0x100, v0
	global_store_short v[1:2], v5, off
	s_or_b64 exec, exec, s[2:3]
	v_cmp_gt_i32_e32 vcc, s33, v0
	s_and_saveexec_b64 s[2:3], vcc
	s_cbranch_execz .LBB26_22
.LBB26_31:
	s_waitcnt vmcnt(0)
	v_lshlrev_b32_e32 v1, 16, v10
	v_cmp_nle_f32_e32 vcc, v12, v1
	v_cmp_nge_f32_e64 s[0:1], v11, v1
	v_add_u32_e32 v1, s30, v0
	v_mov_b32_e32 v2, 0
	v_lshlrev_b64 v[1:2], 1, v[1:2]
	s_or_b64 vcc, s[0:1], vcc
	v_cndmask_b32_e32 v5, 0, v10, vcc
	v_mov_b32_e32 v7, s37
	v_add_co_u32_e32 v1, vcc, s36, v1
	v_addc_co_u32_e32 v2, vcc, v7, v2, vcc
	v_add_u32_e32 v0, 0x100, v0
	global_store_short v[1:2], v5, off
	s_or_b64 exec, exec, s[2:3]
	v_cmp_gt_i32_e32 vcc, s33, v0
	s_and_saveexec_b64 s[2:3], vcc
	s_cbranch_execz .LBB26_23
.LBB26_32:
	s_waitcnt vmcnt(0)
	v_lshlrev_b32_e32 v1, 16, v6
	v_cmp_nle_f32_e32 vcc, v12, v1
	v_cmp_nge_f32_e64 s[0:1], v11, v1
	v_add_u32_e32 v1, s30, v0
	v_mov_b32_e32 v2, 0
	v_lshlrev_b64 v[1:2], 1, v[1:2]
	s_or_b64 vcc, s[0:1], vcc
	v_cndmask_b32_e32 v5, 0, v6, vcc
	v_mov_b32_e32 v6, s37
	v_add_co_u32_e32 v1, vcc, s36, v1
	v_addc_co_u32_e32 v2, vcc, v6, v2, vcc
	v_add_u32_e32 v0, 0x100, v0
	global_store_short v[1:2], v5, off
	s_or_b64 exec, exec, s[2:3]
	v_cmp_gt_i32_e32 vcc, s33, v0
	s_and_saveexec_b64 s[2:3], vcc
	s_cbranch_execz .LBB26_24
.LBB26_33:
	s_waitcnt vmcnt(0)
	v_lshlrev_b32_e32 v1, 16, v9
	v_cmp_nle_f32_e32 vcc, v12, v1
	v_cmp_nge_f32_e64 s[0:1], v11, v1
	v_add_u32_e32 v1, s30, v0
	v_mov_b32_e32 v2, 0
	v_lshlrev_b64 v[1:2], 1, v[1:2]
	s_or_b64 vcc, s[0:1], vcc
	v_cndmask_b32_e32 v5, 0, v9, vcc
	v_mov_b32_e32 v6, s37
	v_add_co_u32_e32 v1, vcc, s36, v1
	v_addc_co_u32_e32 v2, vcc, v6, v2, vcc
	v_add_u32_e32 v0, 0x100, v0
	global_store_short v[1:2], v5, off
	s_or_b64 exec, exec, s[2:3]
	v_cmp_gt_i32_e32 vcc, s33, v0
	s_and_saveexec_b64 s[2:3], vcc
	s_cbranch_execz .LBB26_25
.LBB26_34:
	s_waitcnt vmcnt(0)
	v_lshlrev_b32_e32 v1, 16, v4
	v_cmp_nle_f32_e32 vcc, v12, v1
	v_cmp_nge_f32_e64 s[0:1], v11, v1
	v_add_u32_e32 v1, s30, v0
	v_mov_b32_e32 v2, 0
	v_lshlrev_b64 v[1:2], 1, v[1:2]
	s_or_b64 vcc, s[0:1], vcc
	v_cndmask_b32_e32 v4, 0, v4, vcc
	v_mov_b32_e32 v5, s37
	v_add_co_u32_e32 v1, vcc, s36, v1
	v_addc_co_u32_e32 v2, vcc, v5, v2, vcc
	v_add_u32_e32 v0, 0x100, v0
	global_store_short v[1:2], v4, off
	s_or_b64 exec, exec, s[2:3]
	v_cmp_gt_i32_e32 vcc, s33, v0
	s_and_saveexec_b64 s[2:3], vcc
	s_cbranch_execz .LBB26_26
.LBB26_35:
	s_waitcnt vmcnt(0)
	v_lshlrev_b32_e32 v1, 16, v8
	v_cmp_nle_f32_e32 vcc, v12, v1
	v_cmp_nge_f32_e64 s[0:1], v11, v1
	v_add_u32_e32 v1, s30, v0
	v_mov_b32_e32 v2, 0
	v_lshlrev_b64 v[1:2], 1, v[1:2]
	s_or_b64 vcc, s[0:1], vcc
	v_cndmask_b32_e32 v4, 0, v8, vcc
	v_mov_b32_e32 v5, s37
	v_add_co_u32_e32 v1, vcc, s36, v1
	v_addc_co_u32_e32 v2, vcc, v5, v2, vcc
	v_add_u32_e32 v0, 0x100, v0
	global_store_short v[1:2], v4, off
	s_or_b64 exec, exec, s[2:3]
	v_cmp_gt_i32_e32 vcc, s33, v0
	s_and_saveexec_b64 s[0:1], vcc
	s_cbranch_execnz .LBB26_27
	s_branch .LBB26_28
	.section	.rodata,"a",@progbits
	.p2align	6, 0x0
	.amdhsa_kernel _ZN2at6native29vectorized_elementwise_kernelILi4EZZZNS0_12_GLOBAL__N_117hardshrink_kernelERNS_18TensorIteratorBaseERKN3c106ScalarEENKUlvE_clEvENKUlvE2_clEvEUlNS5_8BFloat16EE_St5arrayIPcLm2EEEEviT0_T1_
		.amdhsa_group_segment_fixed_size 0
		.amdhsa_private_segment_fixed_size 0
		.amdhsa_kernarg_size 24
		.amdhsa_user_sgpr_count 6
		.amdhsa_user_sgpr_private_segment_buffer 1
		.amdhsa_user_sgpr_dispatch_ptr 0
		.amdhsa_user_sgpr_queue_ptr 0
		.amdhsa_user_sgpr_kernarg_segment_ptr 1
		.amdhsa_user_sgpr_dispatch_id 0
		.amdhsa_user_sgpr_flat_scratch_init 0
		.amdhsa_user_sgpr_private_segment_size 0
		.amdhsa_uses_dynamic_stack 0
		.amdhsa_system_sgpr_private_segment_wavefront_offset 0
		.amdhsa_system_sgpr_workgroup_id_x 1
		.amdhsa_system_sgpr_workgroup_id_y 0
		.amdhsa_system_sgpr_workgroup_id_z 0
		.amdhsa_system_sgpr_workgroup_info 0
		.amdhsa_system_vgpr_workitem_id 0
		.amdhsa_next_free_vgpr 15
		.amdhsa_next_free_sgpr 42
		.amdhsa_reserve_vcc 1
		.amdhsa_reserve_flat_scratch 0
		.amdhsa_float_round_mode_32 0
		.amdhsa_float_round_mode_16_64 0
		.amdhsa_float_denorm_mode_32 3
		.amdhsa_float_denorm_mode_16_64 3
		.amdhsa_dx10_clamp 1
		.amdhsa_ieee_mode 1
		.amdhsa_fp16_overflow 0
		.amdhsa_exception_fp_ieee_invalid_op 0
		.amdhsa_exception_fp_denorm_src 0
		.amdhsa_exception_fp_ieee_div_zero 0
		.amdhsa_exception_fp_ieee_overflow 0
		.amdhsa_exception_fp_ieee_underflow 0
		.amdhsa_exception_fp_ieee_inexact 0
		.amdhsa_exception_int_div_zero 0
	.end_amdhsa_kernel
	.section	.text._ZN2at6native29vectorized_elementwise_kernelILi4EZZZNS0_12_GLOBAL__N_117hardshrink_kernelERNS_18TensorIteratorBaseERKN3c106ScalarEENKUlvE_clEvENKUlvE2_clEvEUlNS5_8BFloat16EE_St5arrayIPcLm2EEEEviT0_T1_,"axG",@progbits,_ZN2at6native29vectorized_elementwise_kernelILi4EZZZNS0_12_GLOBAL__N_117hardshrink_kernelERNS_18TensorIteratorBaseERKN3c106ScalarEENKUlvE_clEvENKUlvE2_clEvEUlNS5_8BFloat16EE_St5arrayIPcLm2EEEEviT0_T1_,comdat
.Lfunc_end26:
	.size	_ZN2at6native29vectorized_elementwise_kernelILi4EZZZNS0_12_GLOBAL__N_117hardshrink_kernelERNS_18TensorIteratorBaseERKN3c106ScalarEENKUlvE_clEvENKUlvE2_clEvEUlNS5_8BFloat16EE_St5arrayIPcLm2EEEEviT0_T1_, .Lfunc_end26-_ZN2at6native29vectorized_elementwise_kernelILi4EZZZNS0_12_GLOBAL__N_117hardshrink_kernelERNS_18TensorIteratorBaseERKN3c106ScalarEENKUlvE_clEvENKUlvE2_clEvEUlNS5_8BFloat16EE_St5arrayIPcLm2EEEEviT0_T1_
                                        ; -- End function
	.set _ZN2at6native29vectorized_elementwise_kernelILi4EZZZNS0_12_GLOBAL__N_117hardshrink_kernelERNS_18TensorIteratorBaseERKN3c106ScalarEENKUlvE_clEvENKUlvE2_clEvEUlNS5_8BFloat16EE_St5arrayIPcLm2EEEEviT0_T1_.num_vgpr, 15
	.set _ZN2at6native29vectorized_elementwise_kernelILi4EZZZNS0_12_GLOBAL__N_117hardshrink_kernelERNS_18TensorIteratorBaseERKN3c106ScalarEENKUlvE_clEvENKUlvE2_clEvEUlNS5_8BFloat16EE_St5arrayIPcLm2EEEEviT0_T1_.num_agpr, 0
	.set _ZN2at6native29vectorized_elementwise_kernelILi4EZZZNS0_12_GLOBAL__N_117hardshrink_kernelERNS_18TensorIteratorBaseERKN3c106ScalarEENKUlvE_clEvENKUlvE2_clEvEUlNS5_8BFloat16EE_St5arrayIPcLm2EEEEviT0_T1_.numbered_sgpr, 42
	.set _ZN2at6native29vectorized_elementwise_kernelILi4EZZZNS0_12_GLOBAL__N_117hardshrink_kernelERNS_18TensorIteratorBaseERKN3c106ScalarEENKUlvE_clEvENKUlvE2_clEvEUlNS5_8BFloat16EE_St5arrayIPcLm2EEEEviT0_T1_.num_named_barrier, 0
	.set _ZN2at6native29vectorized_elementwise_kernelILi4EZZZNS0_12_GLOBAL__N_117hardshrink_kernelERNS_18TensorIteratorBaseERKN3c106ScalarEENKUlvE_clEvENKUlvE2_clEvEUlNS5_8BFloat16EE_St5arrayIPcLm2EEEEviT0_T1_.private_seg_size, 0
	.set _ZN2at6native29vectorized_elementwise_kernelILi4EZZZNS0_12_GLOBAL__N_117hardshrink_kernelERNS_18TensorIteratorBaseERKN3c106ScalarEENKUlvE_clEvENKUlvE2_clEvEUlNS5_8BFloat16EE_St5arrayIPcLm2EEEEviT0_T1_.uses_vcc, 1
	.set _ZN2at6native29vectorized_elementwise_kernelILi4EZZZNS0_12_GLOBAL__N_117hardshrink_kernelERNS_18TensorIteratorBaseERKN3c106ScalarEENKUlvE_clEvENKUlvE2_clEvEUlNS5_8BFloat16EE_St5arrayIPcLm2EEEEviT0_T1_.uses_flat_scratch, 0
	.set _ZN2at6native29vectorized_elementwise_kernelILi4EZZZNS0_12_GLOBAL__N_117hardshrink_kernelERNS_18TensorIteratorBaseERKN3c106ScalarEENKUlvE_clEvENKUlvE2_clEvEUlNS5_8BFloat16EE_St5arrayIPcLm2EEEEviT0_T1_.has_dyn_sized_stack, 0
	.set _ZN2at6native29vectorized_elementwise_kernelILi4EZZZNS0_12_GLOBAL__N_117hardshrink_kernelERNS_18TensorIteratorBaseERKN3c106ScalarEENKUlvE_clEvENKUlvE2_clEvEUlNS5_8BFloat16EE_St5arrayIPcLm2EEEEviT0_T1_.has_recursion, 0
	.set _ZN2at6native29vectorized_elementwise_kernelILi4EZZZNS0_12_GLOBAL__N_117hardshrink_kernelERNS_18TensorIteratorBaseERKN3c106ScalarEENKUlvE_clEvENKUlvE2_clEvEUlNS5_8BFloat16EE_St5arrayIPcLm2EEEEviT0_T1_.has_indirect_call, 0
	.section	.AMDGPU.csdata,"",@progbits
; Kernel info:
; codeLenInByte = 1964
; TotalNumSgprs: 46
; NumVgprs: 15
; ScratchSize: 0
; MemoryBound: 0
; FloatMode: 240
; IeeeMode: 1
; LDSByteSize: 0 bytes/workgroup (compile time only)
; SGPRBlocks: 5
; VGPRBlocks: 3
; NumSGPRsForWavesPerEU: 46
; NumVGPRsForWavesPerEU: 15
; Occupancy: 10
; WaveLimiterHint : 1
; COMPUTE_PGM_RSRC2:SCRATCH_EN: 0
; COMPUTE_PGM_RSRC2:USER_SGPR: 6
; COMPUTE_PGM_RSRC2:TRAP_HANDLER: 0
; COMPUTE_PGM_RSRC2:TGID_X_EN: 1
; COMPUTE_PGM_RSRC2:TGID_Y_EN: 0
; COMPUTE_PGM_RSRC2:TGID_Z_EN: 0
; COMPUTE_PGM_RSRC2:TIDIG_COMP_CNT: 0
	.section	.text._ZN2at6native29vectorized_elementwise_kernelILi2EZZZNS0_12_GLOBAL__N_117hardshrink_kernelERNS_18TensorIteratorBaseERKN3c106ScalarEENKUlvE_clEvENKUlvE2_clEvEUlNS5_8BFloat16EE_St5arrayIPcLm2EEEEviT0_T1_,"axG",@progbits,_ZN2at6native29vectorized_elementwise_kernelILi2EZZZNS0_12_GLOBAL__N_117hardshrink_kernelERNS_18TensorIteratorBaseERKN3c106ScalarEENKUlvE_clEvENKUlvE2_clEvEUlNS5_8BFloat16EE_St5arrayIPcLm2EEEEviT0_T1_,comdat
	.globl	_ZN2at6native29vectorized_elementwise_kernelILi2EZZZNS0_12_GLOBAL__N_117hardshrink_kernelERNS_18TensorIteratorBaseERKN3c106ScalarEENKUlvE_clEvENKUlvE2_clEvEUlNS5_8BFloat16EE_St5arrayIPcLm2EEEEviT0_T1_ ; -- Begin function _ZN2at6native29vectorized_elementwise_kernelILi2EZZZNS0_12_GLOBAL__N_117hardshrink_kernelERNS_18TensorIteratorBaseERKN3c106ScalarEENKUlvE_clEvENKUlvE2_clEvEUlNS5_8BFloat16EE_St5arrayIPcLm2EEEEviT0_T1_
	.p2align	8
	.type	_ZN2at6native29vectorized_elementwise_kernelILi2EZZZNS0_12_GLOBAL__N_117hardshrink_kernelERNS_18TensorIteratorBaseERKN3c106ScalarEENKUlvE_clEvENKUlvE2_clEvEUlNS5_8BFloat16EE_St5arrayIPcLm2EEEEviT0_T1_,@function
_ZN2at6native29vectorized_elementwise_kernelILi2EZZZNS0_12_GLOBAL__N_117hardshrink_kernelERNS_18TensorIteratorBaseERKN3c106ScalarEENKUlvE_clEvENKUlvE2_clEvEUlNS5_8BFloat16EE_St5arrayIPcLm2EEEEviT0_T1_: ; @_ZN2at6native29vectorized_elementwise_kernelILi2EZZZNS0_12_GLOBAL__N_117hardshrink_kernelERNS_18TensorIteratorBaseERKN3c106ScalarEENKUlvE_clEvENKUlvE2_clEvEUlNS5_8BFloat16EE_St5arrayIPcLm2EEEEviT0_T1_
; %bb.0:
	s_load_dwordx2 s[34:35], s[4:5], 0x0
	s_load_dwordx4 s[36:39], s[4:5], 0x8
	s_lshl_b32 s30, s6, 11
	s_mov_b64 s[0:1], -1
	s_waitcnt lgkmcnt(0)
	s_sub_i32 s33, s34, s30
	s_cmpk_gt_i32 s33, 0x7ff
	s_cbranch_scc0 .LBB27_2
; %bb.1:
	s_ashr_i32 s31, s30, 31
	s_lshl_b64 s[40:41], s[30:31], 1
	s_add_u32 s0, s38, s40
	s_addc_u32 s1, s39, s41
	v_lshlrev_b32_e32 v1, 2, v0
	global_load_dword v2, v1, s[0:1]
	global_load_dword v3, v1, s[0:1] offset:1024
	global_load_dword v4, v1, s[0:1] offset:2048
	global_load_dword v5, v1, s[0:1] offset:3072
	s_lshl_b32 s28, s35, 16
	s_xor_b32 s0, s28, 0x80000000
	s_bfe_u32 s1, s0, 0x10010
	s_add_i32 s0, s0, s1
	s_addk_i32 s0, 0x7fff
	s_and_b32 s0, s0, 0xffff0000
	v_mov_b32_e32 v6, 0x7fc00000
	v_mov_b32_e32 v7, s0
	v_cmp_o_f32_e64 vcc, s28, s28
	v_cndmask_b32_e32 v6, v6, v7, vcc
	s_waitcnt vmcnt(3)
	v_lshlrev_b32_e32 v7, 16, v2
	v_and_b32_e32 v8, 0xffff, v2
	v_and_b32_e32 v2, 0xffff0000, v2
	v_cmp_nle_f32_e32 vcc, v6, v7
	v_cmp_nge_f32_e64 s[0:1], s28, v7
	s_waitcnt vmcnt(2)
	v_lshlrev_b32_e32 v9, 16, v3
	v_and_b32_e32 v10, 0xffff, v3
	v_and_b32_e32 v3, 0xffff0000, v3
	s_waitcnt vmcnt(1)
	v_lshlrev_b32_e32 v11, 16, v4
	v_and_b32_e32 v12, 0xffff, v4
	v_and_b32_e32 v4, 0xffff0000, v4
	;; [unrolled: 4-line block ×3, first 2 shown]
	v_cmp_nle_f32_e64 s[2:3], v6, v2
	v_cmp_nge_f32_e64 s[4:5], s28, v2
	s_or_b64 vcc, s[0:1], vcc
	v_cmp_nle_f32_e64 s[6:7], v6, v9
	v_cmp_nge_f32_e64 s[8:9], s28, v9
	v_cmp_nle_f32_e64 s[10:11], v6, v3
	v_cmp_nle_f32_e64 s[14:15], v6, v11
	;; [unrolled: 1-line block ×5, first 2 shown]
	v_cndmask_b32_e32 v6, 0, v8, vcc
	s_or_b64 vcc, s[4:5], s[2:3]
	v_cmp_nge_f32_e64 s[12:13], s28, v3
	v_cndmask_b32_e32 v2, 0, v2, vcc
	s_or_b64 vcc, s[8:9], s[6:7]
	v_cmp_nge_f32_e64 s[16:17], s28, v11
	;; [unrolled: 3-line block ×5, first 2 shown]
	v_cndmask_b32_e32 v4, 0, v4, vcc
	s_or_b64 vcc, s[24:25], s[22:23]
	v_cndmask_b32_e32 v9, 0, v14, vcc
	s_or_b64 vcc, s[28:29], s[26:27]
	s_add_u32 s0, s36, s40
	v_cndmask_b32_e32 v5, 0, v5, vcc
	v_or_b32_e32 v2, v6, v2
	s_addc_u32 s1, s37, s41
	v_or_b32_e32 v3, v7, v3
	v_or_b32_e32 v4, v8, v4
	;; [unrolled: 1-line block ×3, first 2 shown]
	global_store_dword v1, v2, s[0:1]
	global_store_dword v1, v3, s[0:1] offset:1024
	global_store_dword v1, v4, s[0:1] offset:2048
	;; [unrolled: 1-line block ×3, first 2 shown]
	s_mov_b64 s[0:1], 0
.LBB27_2:
	s_andn2_b64 vcc, exec, s[0:1]
	s_cbranch_vccnz .LBB27_28
; %bb.3:
	v_cmp_gt_i32_e32 vcc, s33, v0
	v_mov_b32_e32 v5, 0
	v_or_b32_e32 v1, s30, v0
	v_mov_b32_e32 v7, 0
	v_mov_b32_e32 v2, v0
	s_and_saveexec_b64 s[2:3], vcc
	s_cbranch_execz .LBB27_5
; %bb.4:
	v_mov_b32_e32 v2, 0
	v_lshlrev_b64 v[2:3], 1, v[1:2]
	v_mov_b32_e32 v4, s39
	v_add_co_u32_e64 v2, s[0:1], s38, v2
	v_addc_co_u32_e64 v3, s[0:1], v4, v3, s[0:1]
	global_load_ushort v7, v[2:3], off
	v_or_b32_e32 v2, 0x100, v0
.LBB27_5:
	s_or_b64 exec, exec, s[2:3]
	v_cmp_gt_i32_e64 s[0:1], s33, v2
	s_and_saveexec_b64 s[2:3], s[0:1]
	s_cbranch_execz .LBB27_7
; %bb.6:
	v_add_u32_e32 v3, s30, v2
	v_mov_b32_e32 v4, 0
	v_lshlrev_b64 v[3:4], 1, v[3:4]
	v_mov_b32_e32 v5, s39
	v_add_co_u32_e64 v3, s[0:1], s38, v3
	v_addc_co_u32_e64 v4, s[0:1], v5, v4, s[0:1]
	global_load_ushort v5, v[3:4], off
	v_add_u32_e32 v2, 0x100, v2
.LBB27_7:
	s_or_b64 exec, exec, s[2:3]
	v_cmp_gt_i32_e64 s[0:1], s33, v2
	v_mov_b32_e32 v6, 0
	v_mov_b32_e32 v10, 0
	s_and_saveexec_b64 s[2:3], s[0:1]
	s_cbranch_execz .LBB27_9
; %bb.8:
	v_add_u32_e32 v3, s30, v2
	v_mov_b32_e32 v4, 0
	v_lshlrev_b64 v[3:4], 1, v[3:4]
	v_mov_b32_e32 v8, s39
	v_add_co_u32_e64 v3, s[0:1], s38, v3
	v_addc_co_u32_e64 v4, s[0:1], v8, v4, s[0:1]
	global_load_ushort v10, v[3:4], off
	v_add_u32_e32 v2, 0x100, v2
.LBB27_9:
	s_or_b64 exec, exec, s[2:3]
	v_cmp_gt_i32_e64 s[0:1], s33, v2
	s_and_saveexec_b64 s[2:3], s[0:1]
	s_cbranch_execz .LBB27_11
; %bb.10:
	v_add_u32_e32 v3, s30, v2
	v_mov_b32_e32 v4, 0
	v_lshlrev_b64 v[3:4], 1, v[3:4]
	v_mov_b32_e32 v6, s39
	v_add_co_u32_e64 v3, s[0:1], s38, v3
	v_addc_co_u32_e64 v4, s[0:1], v6, v4, s[0:1]
	global_load_ushort v6, v[3:4], off
	v_add_u32_e32 v2, 0x100, v2
.LBB27_11:
	s_or_b64 exec, exec, s[2:3]
	v_cmp_gt_i32_e64 s[0:1], s33, v2
	v_mov_b32_e32 v4, 0
	v_mov_b32_e32 v9, 0
	s_and_saveexec_b64 s[2:3], s[0:1]
	s_cbranch_execz .LBB27_13
; %bb.12:
	v_add_u32_e32 v8, s30, v2
	v_mov_b32_e32 v9, 0
	v_lshlrev_b64 v[8:9], 1, v[8:9]
	v_mov_b32_e32 v3, s39
	v_add_co_u32_e64 v8, s[0:1], s38, v8
	v_addc_co_u32_e64 v9, s[0:1], v3, v9, s[0:1]
	global_load_ushort v9, v[8:9], off
	v_add_u32_e32 v2, 0x100, v2
.LBB27_13:
	;; [unrolled: 30-line block ×3, first 2 shown]
	s_or_b64 exec, exec, s[2:3]
	v_cmp_gt_i32_e64 s[0:1], s33, v2
	s_and_saveexec_b64 s[2:3], s[0:1]
	s_cbranch_execz .LBB27_19
; %bb.18:
	v_add_u32_e32 v2, s30, v2
	v_mov_b32_e32 v3, 0
	v_lshlrev_b64 v[2:3], 1, v[2:3]
	v_mov_b32_e32 v11, s39
	v_add_co_u32_e64 v2, s[0:1], s38, v2
	v_addc_co_u32_e64 v3, s[0:1], v11, v3, s[0:1]
	global_load_ushort v3, v[2:3], off
.LBB27_19:
	s_or_b64 exec, exec, s[2:3]
	s_lshl_b32 s0, s35, 16
	s_xor_b32 s1, s0, 0x80000000
	s_bfe_u32 s2, s1, 0x10010
	s_add_i32 s1, s1, s2
	s_addk_i32 s1, 0x7fff
	s_and_b32 s1, s1, 0xffff0000
	v_mov_b32_e32 v11, s0
	v_mov_b32_e32 v2, 0x7fc00000
	;; [unrolled: 1-line block ×3, first 2 shown]
	v_cmp_o_f32_e64 s[0:1], s0, s0
	v_cndmask_b32_e64 v12, v2, v12, s[0:1]
	s_and_saveexec_b64 s[2:3], vcc
	s_cbranch_execnz .LBB27_29
; %bb.20:
	s_or_b64 exec, exec, s[2:3]
	v_cmp_gt_i32_e32 vcc, s33, v0
	s_and_saveexec_b64 s[2:3], vcc
	s_cbranch_execnz .LBB27_30
.LBB27_21:
	s_or_b64 exec, exec, s[2:3]
	v_cmp_gt_i32_e32 vcc, s33, v0
	s_and_saveexec_b64 s[2:3], vcc
	s_cbranch_execnz .LBB27_31
.LBB27_22:
	s_or_b64 exec, exec, s[2:3]
	v_cmp_gt_i32_e32 vcc, s33, v0
	s_and_saveexec_b64 s[2:3], vcc
	s_cbranch_execnz .LBB27_32
.LBB27_23:
	s_or_b64 exec, exec, s[2:3]
	v_cmp_gt_i32_e32 vcc, s33, v0
	s_and_saveexec_b64 s[2:3], vcc
	s_cbranch_execnz .LBB27_33
.LBB27_24:
	s_or_b64 exec, exec, s[2:3]
	v_cmp_gt_i32_e32 vcc, s33, v0
	s_and_saveexec_b64 s[2:3], vcc
	s_cbranch_execnz .LBB27_34
.LBB27_25:
	s_or_b64 exec, exec, s[2:3]
	v_cmp_gt_i32_e32 vcc, s33, v0
	s_and_saveexec_b64 s[2:3], vcc
	s_cbranch_execnz .LBB27_35
.LBB27_26:
	s_or_b64 exec, exec, s[2:3]
	v_cmp_gt_i32_e32 vcc, s33, v0
	s_and_saveexec_b64 s[0:1], vcc
	s_cbranch_execz .LBB27_28
.LBB27_27:
	s_waitcnt vmcnt(0)
	v_lshlrev_b32_e32 v1, 16, v3
	v_cmp_nle_f32_e32 vcc, v12, v1
	v_cmp_nle_f32_e64 s[0:1], v1, v11
	v_add_u32_e32 v0, s30, v0
	v_mov_b32_e32 v1, 0
	v_lshlrev_b64 v[0:1], 1, v[0:1]
	s_or_b64 vcc, s[0:1], vcc
	v_cndmask_b32_e32 v2, 0, v3, vcc
	v_mov_b32_e32 v3, s37
	v_add_co_u32_e32 v0, vcc, s36, v0
	v_addc_co_u32_e32 v1, vcc, v3, v1, vcc
	global_store_short v[0:1], v2, off
.LBB27_28:
	s_endpgm
.LBB27_29:
	v_mov_b32_e32 v2, 0
	v_lshlrev_b64 v[1:2], 1, v[1:2]
	v_mov_b32_e32 v13, s37
	v_add_co_u32_e32 v1, vcc, s36, v1
	v_addc_co_u32_e32 v2, vcc, v13, v2, vcc
	s_waitcnt vmcnt(0)
	v_lshlrev_b32_e32 v13, 16, v7
	v_cmp_nge_f32_e32 vcc, v11, v13
	v_cmp_nle_f32_e64 s[0:1], v12, v13
	s_or_b64 vcc, vcc, s[0:1]
	v_or_b32_e32 v0, 0x100, v0
	v_cndmask_b32_e32 v7, 0, v7, vcc
	global_store_short v[1:2], v7, off
	s_or_b64 exec, exec, s[2:3]
	v_cmp_gt_i32_e32 vcc, s33, v0
	s_and_saveexec_b64 s[2:3], vcc
	s_cbranch_execz .LBB27_21
.LBB27_30:
	s_waitcnt vmcnt(0)
	v_lshlrev_b32_e32 v1, 16, v5
	v_cmp_nle_f32_e32 vcc, v12, v1
	v_cmp_nge_f32_e64 s[0:1], v11, v1
	v_add_u32_e32 v1, s30, v0
	v_mov_b32_e32 v2, 0
	v_lshlrev_b64 v[1:2], 1, v[1:2]
	s_or_b64 vcc, s[0:1], vcc
	v_cndmask_b32_e32 v5, 0, v5, vcc
	v_mov_b32_e32 v7, s37
	v_add_co_u32_e32 v1, vcc, s36, v1
	v_addc_co_u32_e32 v2, vcc, v7, v2, vcc
	v_add_u32_e32 v0, 0x100, v0
	global_store_short v[1:2], v5, off
	s_or_b64 exec, exec, s[2:3]
	v_cmp_gt_i32_e32 vcc, s33, v0
	s_and_saveexec_b64 s[2:3], vcc
	s_cbranch_execz .LBB27_22
.LBB27_31:
	s_waitcnt vmcnt(0)
	v_lshlrev_b32_e32 v1, 16, v10
	v_cmp_nle_f32_e32 vcc, v12, v1
	v_cmp_nge_f32_e64 s[0:1], v11, v1
	v_add_u32_e32 v1, s30, v0
	v_mov_b32_e32 v2, 0
	v_lshlrev_b64 v[1:2], 1, v[1:2]
	s_or_b64 vcc, s[0:1], vcc
	v_cndmask_b32_e32 v5, 0, v10, vcc
	v_mov_b32_e32 v7, s37
	v_add_co_u32_e32 v1, vcc, s36, v1
	v_addc_co_u32_e32 v2, vcc, v7, v2, vcc
	v_add_u32_e32 v0, 0x100, v0
	global_store_short v[1:2], v5, off
	s_or_b64 exec, exec, s[2:3]
	v_cmp_gt_i32_e32 vcc, s33, v0
	s_and_saveexec_b64 s[2:3], vcc
	s_cbranch_execz .LBB27_23
.LBB27_32:
	s_waitcnt vmcnt(0)
	v_lshlrev_b32_e32 v1, 16, v6
	v_cmp_nle_f32_e32 vcc, v12, v1
	v_cmp_nge_f32_e64 s[0:1], v11, v1
	v_add_u32_e32 v1, s30, v0
	v_mov_b32_e32 v2, 0
	v_lshlrev_b64 v[1:2], 1, v[1:2]
	s_or_b64 vcc, s[0:1], vcc
	v_cndmask_b32_e32 v5, 0, v6, vcc
	v_mov_b32_e32 v6, s37
	v_add_co_u32_e32 v1, vcc, s36, v1
	v_addc_co_u32_e32 v2, vcc, v6, v2, vcc
	v_add_u32_e32 v0, 0x100, v0
	global_store_short v[1:2], v5, off
	s_or_b64 exec, exec, s[2:3]
	v_cmp_gt_i32_e32 vcc, s33, v0
	s_and_saveexec_b64 s[2:3], vcc
	s_cbranch_execz .LBB27_24
.LBB27_33:
	s_waitcnt vmcnt(0)
	v_lshlrev_b32_e32 v1, 16, v9
	v_cmp_nle_f32_e32 vcc, v12, v1
	v_cmp_nge_f32_e64 s[0:1], v11, v1
	v_add_u32_e32 v1, s30, v0
	v_mov_b32_e32 v2, 0
	v_lshlrev_b64 v[1:2], 1, v[1:2]
	s_or_b64 vcc, s[0:1], vcc
	v_cndmask_b32_e32 v5, 0, v9, vcc
	v_mov_b32_e32 v6, s37
	v_add_co_u32_e32 v1, vcc, s36, v1
	v_addc_co_u32_e32 v2, vcc, v6, v2, vcc
	v_add_u32_e32 v0, 0x100, v0
	global_store_short v[1:2], v5, off
	s_or_b64 exec, exec, s[2:3]
	v_cmp_gt_i32_e32 vcc, s33, v0
	s_and_saveexec_b64 s[2:3], vcc
	s_cbranch_execz .LBB27_25
.LBB27_34:
	s_waitcnt vmcnt(0)
	v_lshlrev_b32_e32 v1, 16, v4
	v_cmp_nle_f32_e32 vcc, v12, v1
	v_cmp_nge_f32_e64 s[0:1], v11, v1
	v_add_u32_e32 v1, s30, v0
	v_mov_b32_e32 v2, 0
	v_lshlrev_b64 v[1:2], 1, v[1:2]
	s_or_b64 vcc, s[0:1], vcc
	v_cndmask_b32_e32 v4, 0, v4, vcc
	v_mov_b32_e32 v5, s37
	v_add_co_u32_e32 v1, vcc, s36, v1
	v_addc_co_u32_e32 v2, vcc, v5, v2, vcc
	v_add_u32_e32 v0, 0x100, v0
	global_store_short v[1:2], v4, off
	s_or_b64 exec, exec, s[2:3]
	v_cmp_gt_i32_e32 vcc, s33, v0
	s_and_saveexec_b64 s[2:3], vcc
	s_cbranch_execz .LBB27_26
.LBB27_35:
	s_waitcnt vmcnt(0)
	v_lshlrev_b32_e32 v1, 16, v8
	v_cmp_nle_f32_e32 vcc, v12, v1
	v_cmp_nge_f32_e64 s[0:1], v11, v1
	v_add_u32_e32 v1, s30, v0
	v_mov_b32_e32 v2, 0
	v_lshlrev_b64 v[1:2], 1, v[1:2]
	s_or_b64 vcc, s[0:1], vcc
	v_cndmask_b32_e32 v4, 0, v8, vcc
	v_mov_b32_e32 v5, s37
	v_add_co_u32_e32 v1, vcc, s36, v1
	v_addc_co_u32_e32 v2, vcc, v5, v2, vcc
	v_add_u32_e32 v0, 0x100, v0
	global_store_short v[1:2], v4, off
	s_or_b64 exec, exec, s[2:3]
	v_cmp_gt_i32_e32 vcc, s33, v0
	s_and_saveexec_b64 s[0:1], vcc
	s_cbranch_execnz .LBB27_27
	s_branch .LBB27_28
	.section	.rodata,"a",@progbits
	.p2align	6, 0x0
	.amdhsa_kernel _ZN2at6native29vectorized_elementwise_kernelILi2EZZZNS0_12_GLOBAL__N_117hardshrink_kernelERNS_18TensorIteratorBaseERKN3c106ScalarEENKUlvE_clEvENKUlvE2_clEvEUlNS5_8BFloat16EE_St5arrayIPcLm2EEEEviT0_T1_
		.amdhsa_group_segment_fixed_size 0
		.amdhsa_private_segment_fixed_size 0
		.amdhsa_kernarg_size 24
		.amdhsa_user_sgpr_count 6
		.amdhsa_user_sgpr_private_segment_buffer 1
		.amdhsa_user_sgpr_dispatch_ptr 0
		.amdhsa_user_sgpr_queue_ptr 0
		.amdhsa_user_sgpr_kernarg_segment_ptr 1
		.amdhsa_user_sgpr_dispatch_id 0
		.amdhsa_user_sgpr_flat_scratch_init 0
		.amdhsa_user_sgpr_private_segment_size 0
		.amdhsa_uses_dynamic_stack 0
		.amdhsa_system_sgpr_private_segment_wavefront_offset 0
		.amdhsa_system_sgpr_workgroup_id_x 1
		.amdhsa_system_sgpr_workgroup_id_y 0
		.amdhsa_system_sgpr_workgroup_id_z 0
		.amdhsa_system_sgpr_workgroup_info 0
		.amdhsa_system_vgpr_workitem_id 0
		.amdhsa_next_free_vgpr 15
		.amdhsa_next_free_sgpr 42
		.amdhsa_reserve_vcc 1
		.amdhsa_reserve_flat_scratch 0
		.amdhsa_float_round_mode_32 0
		.amdhsa_float_round_mode_16_64 0
		.amdhsa_float_denorm_mode_32 3
		.amdhsa_float_denorm_mode_16_64 3
		.amdhsa_dx10_clamp 1
		.amdhsa_ieee_mode 1
		.amdhsa_fp16_overflow 0
		.amdhsa_exception_fp_ieee_invalid_op 0
		.amdhsa_exception_fp_denorm_src 0
		.amdhsa_exception_fp_ieee_div_zero 0
		.amdhsa_exception_fp_ieee_overflow 0
		.amdhsa_exception_fp_ieee_underflow 0
		.amdhsa_exception_fp_ieee_inexact 0
		.amdhsa_exception_int_div_zero 0
	.end_amdhsa_kernel
	.section	.text._ZN2at6native29vectorized_elementwise_kernelILi2EZZZNS0_12_GLOBAL__N_117hardshrink_kernelERNS_18TensorIteratorBaseERKN3c106ScalarEENKUlvE_clEvENKUlvE2_clEvEUlNS5_8BFloat16EE_St5arrayIPcLm2EEEEviT0_T1_,"axG",@progbits,_ZN2at6native29vectorized_elementwise_kernelILi2EZZZNS0_12_GLOBAL__N_117hardshrink_kernelERNS_18TensorIteratorBaseERKN3c106ScalarEENKUlvE_clEvENKUlvE2_clEvEUlNS5_8BFloat16EE_St5arrayIPcLm2EEEEviT0_T1_,comdat
.Lfunc_end27:
	.size	_ZN2at6native29vectorized_elementwise_kernelILi2EZZZNS0_12_GLOBAL__N_117hardshrink_kernelERNS_18TensorIteratorBaseERKN3c106ScalarEENKUlvE_clEvENKUlvE2_clEvEUlNS5_8BFloat16EE_St5arrayIPcLm2EEEEviT0_T1_, .Lfunc_end27-_ZN2at6native29vectorized_elementwise_kernelILi2EZZZNS0_12_GLOBAL__N_117hardshrink_kernelERNS_18TensorIteratorBaseERKN3c106ScalarEENKUlvE_clEvENKUlvE2_clEvEUlNS5_8BFloat16EE_St5arrayIPcLm2EEEEviT0_T1_
                                        ; -- End function
	.set _ZN2at6native29vectorized_elementwise_kernelILi2EZZZNS0_12_GLOBAL__N_117hardshrink_kernelERNS_18TensorIteratorBaseERKN3c106ScalarEENKUlvE_clEvENKUlvE2_clEvEUlNS5_8BFloat16EE_St5arrayIPcLm2EEEEviT0_T1_.num_vgpr, 15
	.set _ZN2at6native29vectorized_elementwise_kernelILi2EZZZNS0_12_GLOBAL__N_117hardshrink_kernelERNS_18TensorIteratorBaseERKN3c106ScalarEENKUlvE_clEvENKUlvE2_clEvEUlNS5_8BFloat16EE_St5arrayIPcLm2EEEEviT0_T1_.num_agpr, 0
	.set _ZN2at6native29vectorized_elementwise_kernelILi2EZZZNS0_12_GLOBAL__N_117hardshrink_kernelERNS_18TensorIteratorBaseERKN3c106ScalarEENKUlvE_clEvENKUlvE2_clEvEUlNS5_8BFloat16EE_St5arrayIPcLm2EEEEviT0_T1_.numbered_sgpr, 42
	.set _ZN2at6native29vectorized_elementwise_kernelILi2EZZZNS0_12_GLOBAL__N_117hardshrink_kernelERNS_18TensorIteratorBaseERKN3c106ScalarEENKUlvE_clEvENKUlvE2_clEvEUlNS5_8BFloat16EE_St5arrayIPcLm2EEEEviT0_T1_.num_named_barrier, 0
	.set _ZN2at6native29vectorized_elementwise_kernelILi2EZZZNS0_12_GLOBAL__N_117hardshrink_kernelERNS_18TensorIteratorBaseERKN3c106ScalarEENKUlvE_clEvENKUlvE2_clEvEUlNS5_8BFloat16EE_St5arrayIPcLm2EEEEviT0_T1_.private_seg_size, 0
	.set _ZN2at6native29vectorized_elementwise_kernelILi2EZZZNS0_12_GLOBAL__N_117hardshrink_kernelERNS_18TensorIteratorBaseERKN3c106ScalarEENKUlvE_clEvENKUlvE2_clEvEUlNS5_8BFloat16EE_St5arrayIPcLm2EEEEviT0_T1_.uses_vcc, 1
	.set _ZN2at6native29vectorized_elementwise_kernelILi2EZZZNS0_12_GLOBAL__N_117hardshrink_kernelERNS_18TensorIteratorBaseERKN3c106ScalarEENKUlvE_clEvENKUlvE2_clEvEUlNS5_8BFloat16EE_St5arrayIPcLm2EEEEviT0_T1_.uses_flat_scratch, 0
	.set _ZN2at6native29vectorized_elementwise_kernelILi2EZZZNS0_12_GLOBAL__N_117hardshrink_kernelERNS_18TensorIteratorBaseERKN3c106ScalarEENKUlvE_clEvENKUlvE2_clEvEUlNS5_8BFloat16EE_St5arrayIPcLm2EEEEviT0_T1_.has_dyn_sized_stack, 0
	.set _ZN2at6native29vectorized_elementwise_kernelILi2EZZZNS0_12_GLOBAL__N_117hardshrink_kernelERNS_18TensorIteratorBaseERKN3c106ScalarEENKUlvE_clEvENKUlvE2_clEvEUlNS5_8BFloat16EE_St5arrayIPcLm2EEEEviT0_T1_.has_recursion, 0
	.set _ZN2at6native29vectorized_elementwise_kernelILi2EZZZNS0_12_GLOBAL__N_117hardshrink_kernelERNS_18TensorIteratorBaseERKN3c106ScalarEENKUlvE_clEvENKUlvE2_clEvEUlNS5_8BFloat16EE_St5arrayIPcLm2EEEEviT0_T1_.has_indirect_call, 0
	.section	.AMDGPU.csdata,"",@progbits
; Kernel info:
; codeLenInByte = 1976
; TotalNumSgprs: 46
; NumVgprs: 15
; ScratchSize: 0
; MemoryBound: 0
; FloatMode: 240
; IeeeMode: 1
; LDSByteSize: 0 bytes/workgroup (compile time only)
; SGPRBlocks: 5
; VGPRBlocks: 3
; NumSGPRsForWavesPerEU: 46
; NumVGPRsForWavesPerEU: 15
; Occupancy: 10
; WaveLimiterHint : 1
; COMPUTE_PGM_RSRC2:SCRATCH_EN: 0
; COMPUTE_PGM_RSRC2:USER_SGPR: 6
; COMPUTE_PGM_RSRC2:TRAP_HANDLER: 0
; COMPUTE_PGM_RSRC2:TGID_X_EN: 1
; COMPUTE_PGM_RSRC2:TGID_Y_EN: 0
; COMPUTE_PGM_RSRC2:TGID_Z_EN: 0
; COMPUTE_PGM_RSRC2:TIDIG_COMP_CNT: 0
	.section	.text._ZN2at6native27unrolled_elementwise_kernelIZZZNS0_12_GLOBAL__N_117hardshrink_kernelERNS_18TensorIteratorBaseERKN3c106ScalarEENKUlvE_clEvENKUlvE2_clEvEUlNS5_8BFloat16EE_St5arrayIPcLm2EELi4E23TrivialOffsetCalculatorILi1EjESH_NS0_6memory15LoadWithoutCastENSI_16StoreWithoutCastEEEviT_T0_T2_T3_T4_T5_,"axG",@progbits,_ZN2at6native27unrolled_elementwise_kernelIZZZNS0_12_GLOBAL__N_117hardshrink_kernelERNS_18TensorIteratorBaseERKN3c106ScalarEENKUlvE_clEvENKUlvE2_clEvEUlNS5_8BFloat16EE_St5arrayIPcLm2EELi4E23TrivialOffsetCalculatorILi1EjESH_NS0_6memory15LoadWithoutCastENSI_16StoreWithoutCastEEEviT_T0_T2_T3_T4_T5_,comdat
	.globl	_ZN2at6native27unrolled_elementwise_kernelIZZZNS0_12_GLOBAL__N_117hardshrink_kernelERNS_18TensorIteratorBaseERKN3c106ScalarEENKUlvE_clEvENKUlvE2_clEvEUlNS5_8BFloat16EE_St5arrayIPcLm2EELi4E23TrivialOffsetCalculatorILi1EjESH_NS0_6memory15LoadWithoutCastENSI_16StoreWithoutCastEEEviT_T0_T2_T3_T4_T5_ ; -- Begin function _ZN2at6native27unrolled_elementwise_kernelIZZZNS0_12_GLOBAL__N_117hardshrink_kernelERNS_18TensorIteratorBaseERKN3c106ScalarEENKUlvE_clEvENKUlvE2_clEvEUlNS5_8BFloat16EE_St5arrayIPcLm2EELi4E23TrivialOffsetCalculatorILi1EjESH_NS0_6memory15LoadWithoutCastENSI_16StoreWithoutCastEEEviT_T0_T2_T3_T4_T5_
	.p2align	8
	.type	_ZN2at6native27unrolled_elementwise_kernelIZZZNS0_12_GLOBAL__N_117hardshrink_kernelERNS_18TensorIteratorBaseERKN3c106ScalarEENKUlvE_clEvENKUlvE2_clEvEUlNS5_8BFloat16EE_St5arrayIPcLm2EELi4E23TrivialOffsetCalculatorILi1EjESH_NS0_6memory15LoadWithoutCastENSI_16StoreWithoutCastEEEviT_T0_T2_T3_T4_T5_,@function
_ZN2at6native27unrolled_elementwise_kernelIZZZNS0_12_GLOBAL__N_117hardshrink_kernelERNS_18TensorIteratorBaseERKN3c106ScalarEENKUlvE_clEvENKUlvE2_clEvEUlNS5_8BFloat16EE_St5arrayIPcLm2EELi4E23TrivialOffsetCalculatorILi1EjESH_NS0_6memory15LoadWithoutCastENSI_16StoreWithoutCastEEEviT_T0_T2_T3_T4_T5_: ; @_ZN2at6native27unrolled_elementwise_kernelIZZZNS0_12_GLOBAL__N_117hardshrink_kernelERNS_18TensorIteratorBaseERKN3c106ScalarEENKUlvE_clEvENKUlvE2_clEvEUlNS5_8BFloat16EE_St5arrayIPcLm2EELi4E23TrivialOffsetCalculatorILi1EjESH_NS0_6memory15LoadWithoutCastENSI_16StoreWithoutCastEEEviT_T0_T2_T3_T4_T5_
; %bb.0:
	s_load_dwordx2 s[2:3], s[4:5], 0x0
	s_load_dwordx4 s[8:11], s[4:5], 0x8
	s_lshl_b32 s6, s6, 10
	v_mov_b32_e32 v4, 0
	v_or_b32_e32 v1, s6, v0
	s_waitcnt lgkmcnt(0)
	s_sub_i32 s7, s2, s6
	v_cmp_gt_i32_e32 vcc, s7, v0
	v_mov_b32_e32 v5, 0
	v_mov_b32_e32 v2, v0
	s_and_saveexec_b64 s[4:5], vcc
	s_cbranch_execz .LBB28_2
; %bb.1:
	v_mov_b32_e32 v2, 0
	v_lshlrev_b64 v[2:3], 1, v[1:2]
	v_mov_b32_e32 v5, s11
	v_add_co_u32_e64 v2, s[0:1], s10, v2
	v_addc_co_u32_e64 v3, s[0:1], v5, v3, s[0:1]
	global_load_ushort v5, v[2:3], off
	v_or_b32_e32 v2, 0x100, v0
.LBB28_2:
	s_or_b64 exec, exec, s[4:5]
	v_cmp_gt_i32_e64 s[0:1], s7, v2
	s_and_saveexec_b64 s[4:5], s[0:1]
	s_cbranch_execz .LBB28_4
; %bb.3:
	v_add_u32_e32 v3, s6, v2
	v_mov_b32_e32 v4, 0
	v_lshlrev_b64 v[3:4], 1, v[3:4]
	v_mov_b32_e32 v6, s11
	v_add_co_u32_e64 v3, s[0:1], s10, v3
	v_addc_co_u32_e64 v4, s[0:1], v6, v4, s[0:1]
	global_load_ushort v4, v[3:4], off
	v_add_u32_e32 v2, 0x100, v2
.LBB28_4:
	s_or_b64 exec, exec, s[4:5]
	v_cmp_gt_i32_e64 s[0:1], s7, v2
	v_mov_b32_e32 v3, 0
	v_mov_b32_e32 v6, 0
	s_and_saveexec_b64 s[4:5], s[0:1]
	s_cbranch_execz .LBB28_6
; %bb.5:
	v_add_u32_e32 v6, s6, v2
	v_mov_b32_e32 v7, 0
	v_lshlrev_b64 v[6:7], 1, v[6:7]
	v_mov_b32_e32 v8, s11
	v_add_co_u32_e64 v6, s[0:1], s10, v6
	v_addc_co_u32_e64 v7, s[0:1], v8, v7, s[0:1]
	global_load_ushort v6, v[6:7], off
	v_add_u32_e32 v2, 0x100, v2
.LBB28_6:
	s_or_b64 exec, exec, s[4:5]
	v_cmp_gt_i32_e64 s[0:1], s7, v2
	s_and_saveexec_b64 s[4:5], s[0:1]
	s_cbranch_execz .LBB28_8
; %bb.7:
	v_add_u32_e32 v2, s6, v2
	v_mov_b32_e32 v3, 0
	v_lshlrev_b64 v[2:3], 1, v[2:3]
	v_mov_b32_e32 v7, s11
	v_add_co_u32_e64 v2, s[0:1], s10, v2
	v_addc_co_u32_e64 v3, s[0:1], v7, v3, s[0:1]
	global_load_ushort v3, v[2:3], off
.LBB28_8:
	s_or_b64 exec, exec, s[4:5]
	s_lshl_b32 s0, s3, 16
	s_xor_b32 s1, s0, 0x80000000
	s_bfe_u32 s2, s1, 0x10010
	s_add_i32 s1, s1, s2
	s_addk_i32 s1, 0x7fff
	s_and_b32 s1, s1, 0xffff0000
	v_mov_b32_e32 v7, s0
	v_mov_b32_e32 v2, 0x7fc00000
	;; [unrolled: 1-line block ×3, first 2 shown]
	v_cmp_o_f32_e64 s[0:1], s0, s0
	v_cndmask_b32_e64 v8, v2, v8, s[0:1]
	s_and_saveexec_b64 s[2:3], vcc
	s_cbranch_execnz .LBB28_13
; %bb.9:
	s_or_b64 exec, exec, s[2:3]
	v_cmp_gt_i32_e32 vcc, s7, v0
	s_and_saveexec_b64 s[2:3], vcc
	s_cbranch_execnz .LBB28_14
.LBB28_10:
	s_or_b64 exec, exec, s[2:3]
	v_cmp_gt_i32_e32 vcc, s7, v0
	s_and_saveexec_b64 s[2:3], vcc
	s_cbranch_execnz .LBB28_15
.LBB28_11:
	s_or_b64 exec, exec, s[2:3]
	v_cmp_gt_i32_e32 vcc, s7, v0
	s_and_saveexec_b64 s[0:1], vcc
	s_cbranch_execnz .LBB28_16
.LBB28_12:
	s_endpgm
.LBB28_13:
	v_mov_b32_e32 v2, 0
	v_lshlrev_b64 v[1:2], 1, v[1:2]
	v_mov_b32_e32 v9, s9
	v_add_co_u32_e32 v1, vcc, s8, v1
	v_addc_co_u32_e32 v2, vcc, v9, v2, vcc
	s_waitcnt vmcnt(0)
	v_lshlrev_b32_e32 v9, 16, v5
	v_cmp_nge_f32_e32 vcc, v7, v9
	v_cmp_nle_f32_e64 s[0:1], v8, v9
	s_or_b64 vcc, vcc, s[0:1]
	v_or_b32_e32 v0, 0x100, v0
	v_cndmask_b32_e32 v5, 0, v5, vcc
	global_store_short v[1:2], v5, off
	s_or_b64 exec, exec, s[2:3]
	v_cmp_gt_i32_e32 vcc, s7, v0
	s_and_saveexec_b64 s[2:3], vcc
	s_cbranch_execz .LBB28_10
.LBB28_14:
	s_waitcnt vmcnt(0)
	v_lshlrev_b32_e32 v1, 16, v4
	v_cmp_nle_f32_e32 vcc, v8, v1
	v_cmp_nge_f32_e64 s[0:1], v7, v1
	s_or_b64 vcc, s[0:1], vcc
	v_cndmask_b32_e32 v2, 0, v4, vcc
	v_add_u32_e32 v4, 0x100, v0
	v_add_u32_e32 v0, s6, v0
	v_mov_b32_e32 v1, 0
	v_lshlrev_b64 v[0:1], 1, v[0:1]
	v_mov_b32_e32 v5, s9
	v_add_co_u32_e32 v0, vcc, s8, v0
	v_addc_co_u32_e32 v1, vcc, v5, v1, vcc
	global_store_short v[0:1], v2, off
	v_mov_b32_e32 v0, v4
	s_or_b64 exec, exec, s[2:3]
	v_cmp_gt_i32_e32 vcc, s7, v0
	s_and_saveexec_b64 s[2:3], vcc
	s_cbranch_execz .LBB28_11
.LBB28_15:
	s_waitcnt vmcnt(0)
	v_lshlrev_b32_e32 v1, 16, v6
	v_cmp_nle_f32_e32 vcc, v8, v1
	v_cmp_nge_f32_e64 s[0:1], v7, v1
	v_add_u32_e32 v4, 0x100, v0
	v_add_u32_e32 v0, s6, v0
	v_mov_b32_e32 v1, 0
	v_lshlrev_b64 v[0:1], 1, v[0:1]
	s_or_b64 vcc, s[0:1], vcc
	v_cndmask_b32_e32 v2, 0, v6, vcc
	v_mov_b32_e32 v5, s9
	v_add_co_u32_e32 v0, vcc, s8, v0
	v_addc_co_u32_e32 v1, vcc, v5, v1, vcc
	global_store_short v[0:1], v2, off
	v_mov_b32_e32 v0, v4
	s_or_b64 exec, exec, s[2:3]
	v_cmp_gt_i32_e32 vcc, s7, v0
	s_and_saveexec_b64 s[0:1], vcc
	s_cbranch_execz .LBB28_12
.LBB28_16:
	s_waitcnt vmcnt(0)
	v_lshlrev_b32_e32 v1, 16, v3
	v_cmp_nle_f32_e32 vcc, v8, v1
	v_cmp_nle_f32_e64 s[0:1], v1, v7
	v_add_u32_e32 v0, s6, v0
	v_mov_b32_e32 v1, 0
	v_lshlrev_b64 v[0:1], 1, v[0:1]
	s_or_b64 vcc, s[0:1], vcc
	v_cndmask_b32_e32 v2, 0, v3, vcc
	v_mov_b32_e32 v3, s9
	v_add_co_u32_e32 v0, vcc, s8, v0
	v_addc_co_u32_e32 v1, vcc, v3, v1, vcc
	global_store_short v[0:1], v2, off
	s_endpgm
	.section	.rodata,"a",@progbits
	.p2align	6, 0x0
	.amdhsa_kernel _ZN2at6native27unrolled_elementwise_kernelIZZZNS0_12_GLOBAL__N_117hardshrink_kernelERNS_18TensorIteratorBaseERKN3c106ScalarEENKUlvE_clEvENKUlvE2_clEvEUlNS5_8BFloat16EE_St5arrayIPcLm2EELi4E23TrivialOffsetCalculatorILi1EjESH_NS0_6memory15LoadWithoutCastENSI_16StoreWithoutCastEEEviT_T0_T2_T3_T4_T5_
		.amdhsa_group_segment_fixed_size 0
		.amdhsa_private_segment_fixed_size 0
		.amdhsa_kernarg_size 28
		.amdhsa_user_sgpr_count 6
		.amdhsa_user_sgpr_private_segment_buffer 1
		.amdhsa_user_sgpr_dispatch_ptr 0
		.amdhsa_user_sgpr_queue_ptr 0
		.amdhsa_user_sgpr_kernarg_segment_ptr 1
		.amdhsa_user_sgpr_dispatch_id 0
		.amdhsa_user_sgpr_flat_scratch_init 0
		.amdhsa_user_sgpr_private_segment_size 0
		.amdhsa_uses_dynamic_stack 0
		.amdhsa_system_sgpr_private_segment_wavefront_offset 0
		.amdhsa_system_sgpr_workgroup_id_x 1
		.amdhsa_system_sgpr_workgroup_id_y 0
		.amdhsa_system_sgpr_workgroup_id_z 0
		.amdhsa_system_sgpr_workgroup_info 0
		.amdhsa_system_vgpr_workitem_id 0
		.amdhsa_next_free_vgpr 10
		.amdhsa_next_free_sgpr 12
		.amdhsa_reserve_vcc 1
		.amdhsa_reserve_flat_scratch 0
		.amdhsa_float_round_mode_32 0
		.amdhsa_float_round_mode_16_64 0
		.amdhsa_float_denorm_mode_32 3
		.amdhsa_float_denorm_mode_16_64 3
		.amdhsa_dx10_clamp 1
		.amdhsa_ieee_mode 1
		.amdhsa_fp16_overflow 0
		.amdhsa_exception_fp_ieee_invalid_op 0
		.amdhsa_exception_fp_denorm_src 0
		.amdhsa_exception_fp_ieee_div_zero 0
		.amdhsa_exception_fp_ieee_overflow 0
		.amdhsa_exception_fp_ieee_underflow 0
		.amdhsa_exception_fp_ieee_inexact 0
		.amdhsa_exception_int_div_zero 0
	.end_amdhsa_kernel
	.section	.text._ZN2at6native27unrolled_elementwise_kernelIZZZNS0_12_GLOBAL__N_117hardshrink_kernelERNS_18TensorIteratorBaseERKN3c106ScalarEENKUlvE_clEvENKUlvE2_clEvEUlNS5_8BFloat16EE_St5arrayIPcLm2EELi4E23TrivialOffsetCalculatorILi1EjESH_NS0_6memory15LoadWithoutCastENSI_16StoreWithoutCastEEEviT_T0_T2_T3_T4_T5_,"axG",@progbits,_ZN2at6native27unrolled_elementwise_kernelIZZZNS0_12_GLOBAL__N_117hardshrink_kernelERNS_18TensorIteratorBaseERKN3c106ScalarEENKUlvE_clEvENKUlvE2_clEvEUlNS5_8BFloat16EE_St5arrayIPcLm2EELi4E23TrivialOffsetCalculatorILi1EjESH_NS0_6memory15LoadWithoutCastENSI_16StoreWithoutCastEEEviT_T0_T2_T3_T4_T5_,comdat
.Lfunc_end28:
	.size	_ZN2at6native27unrolled_elementwise_kernelIZZZNS0_12_GLOBAL__N_117hardshrink_kernelERNS_18TensorIteratorBaseERKN3c106ScalarEENKUlvE_clEvENKUlvE2_clEvEUlNS5_8BFloat16EE_St5arrayIPcLm2EELi4E23TrivialOffsetCalculatorILi1EjESH_NS0_6memory15LoadWithoutCastENSI_16StoreWithoutCastEEEviT_T0_T2_T3_T4_T5_, .Lfunc_end28-_ZN2at6native27unrolled_elementwise_kernelIZZZNS0_12_GLOBAL__N_117hardshrink_kernelERNS_18TensorIteratorBaseERKN3c106ScalarEENKUlvE_clEvENKUlvE2_clEvEUlNS5_8BFloat16EE_St5arrayIPcLm2EELi4E23TrivialOffsetCalculatorILi1EjESH_NS0_6memory15LoadWithoutCastENSI_16StoreWithoutCastEEEviT_T0_T2_T3_T4_T5_
                                        ; -- End function
	.set _ZN2at6native27unrolled_elementwise_kernelIZZZNS0_12_GLOBAL__N_117hardshrink_kernelERNS_18TensorIteratorBaseERKN3c106ScalarEENKUlvE_clEvENKUlvE2_clEvEUlNS5_8BFloat16EE_St5arrayIPcLm2EELi4E23TrivialOffsetCalculatorILi1EjESH_NS0_6memory15LoadWithoutCastENSI_16StoreWithoutCastEEEviT_T0_T2_T3_T4_T5_.num_vgpr, 10
	.set _ZN2at6native27unrolled_elementwise_kernelIZZZNS0_12_GLOBAL__N_117hardshrink_kernelERNS_18TensorIteratorBaseERKN3c106ScalarEENKUlvE_clEvENKUlvE2_clEvEUlNS5_8BFloat16EE_St5arrayIPcLm2EELi4E23TrivialOffsetCalculatorILi1EjESH_NS0_6memory15LoadWithoutCastENSI_16StoreWithoutCastEEEviT_T0_T2_T3_T4_T5_.num_agpr, 0
	.set _ZN2at6native27unrolled_elementwise_kernelIZZZNS0_12_GLOBAL__N_117hardshrink_kernelERNS_18TensorIteratorBaseERKN3c106ScalarEENKUlvE_clEvENKUlvE2_clEvEUlNS5_8BFloat16EE_St5arrayIPcLm2EELi4E23TrivialOffsetCalculatorILi1EjESH_NS0_6memory15LoadWithoutCastENSI_16StoreWithoutCastEEEviT_T0_T2_T3_T4_T5_.numbered_sgpr, 12
	.set _ZN2at6native27unrolled_elementwise_kernelIZZZNS0_12_GLOBAL__N_117hardshrink_kernelERNS_18TensorIteratorBaseERKN3c106ScalarEENKUlvE_clEvENKUlvE2_clEvEUlNS5_8BFloat16EE_St5arrayIPcLm2EELi4E23TrivialOffsetCalculatorILi1EjESH_NS0_6memory15LoadWithoutCastENSI_16StoreWithoutCastEEEviT_T0_T2_T3_T4_T5_.num_named_barrier, 0
	.set _ZN2at6native27unrolled_elementwise_kernelIZZZNS0_12_GLOBAL__N_117hardshrink_kernelERNS_18TensorIteratorBaseERKN3c106ScalarEENKUlvE_clEvENKUlvE2_clEvEUlNS5_8BFloat16EE_St5arrayIPcLm2EELi4E23TrivialOffsetCalculatorILi1EjESH_NS0_6memory15LoadWithoutCastENSI_16StoreWithoutCastEEEviT_T0_T2_T3_T4_T5_.private_seg_size, 0
	.set _ZN2at6native27unrolled_elementwise_kernelIZZZNS0_12_GLOBAL__N_117hardshrink_kernelERNS_18TensorIteratorBaseERKN3c106ScalarEENKUlvE_clEvENKUlvE2_clEvEUlNS5_8BFloat16EE_St5arrayIPcLm2EELi4E23TrivialOffsetCalculatorILi1EjESH_NS0_6memory15LoadWithoutCastENSI_16StoreWithoutCastEEEviT_T0_T2_T3_T4_T5_.uses_vcc, 1
	.set _ZN2at6native27unrolled_elementwise_kernelIZZZNS0_12_GLOBAL__N_117hardshrink_kernelERNS_18TensorIteratorBaseERKN3c106ScalarEENKUlvE_clEvENKUlvE2_clEvEUlNS5_8BFloat16EE_St5arrayIPcLm2EELi4E23TrivialOffsetCalculatorILi1EjESH_NS0_6memory15LoadWithoutCastENSI_16StoreWithoutCastEEEviT_T0_T2_T3_T4_T5_.uses_flat_scratch, 0
	.set _ZN2at6native27unrolled_elementwise_kernelIZZZNS0_12_GLOBAL__N_117hardshrink_kernelERNS_18TensorIteratorBaseERKN3c106ScalarEENKUlvE_clEvENKUlvE2_clEvEUlNS5_8BFloat16EE_St5arrayIPcLm2EELi4E23TrivialOffsetCalculatorILi1EjESH_NS0_6memory15LoadWithoutCastENSI_16StoreWithoutCastEEEviT_T0_T2_T3_T4_T5_.has_dyn_sized_stack, 0
	.set _ZN2at6native27unrolled_elementwise_kernelIZZZNS0_12_GLOBAL__N_117hardshrink_kernelERNS_18TensorIteratorBaseERKN3c106ScalarEENKUlvE_clEvENKUlvE2_clEvEUlNS5_8BFloat16EE_St5arrayIPcLm2EELi4E23TrivialOffsetCalculatorILi1EjESH_NS0_6memory15LoadWithoutCastENSI_16StoreWithoutCastEEEviT_T0_T2_T3_T4_T5_.has_recursion, 0
	.set _ZN2at6native27unrolled_elementwise_kernelIZZZNS0_12_GLOBAL__N_117hardshrink_kernelERNS_18TensorIteratorBaseERKN3c106ScalarEENKUlvE_clEvENKUlvE2_clEvEUlNS5_8BFloat16EE_St5arrayIPcLm2EELi4E23TrivialOffsetCalculatorILi1EjESH_NS0_6memory15LoadWithoutCastENSI_16StoreWithoutCastEEEviT_T0_T2_T3_T4_T5_.has_indirect_call, 0
	.section	.AMDGPU.csdata,"",@progbits
; Kernel info:
; codeLenInByte = 788
; TotalNumSgprs: 16
; NumVgprs: 10
; ScratchSize: 0
; MemoryBound: 0
; FloatMode: 240
; IeeeMode: 1
; LDSByteSize: 0 bytes/workgroup (compile time only)
; SGPRBlocks: 1
; VGPRBlocks: 2
; NumSGPRsForWavesPerEU: 16
; NumVGPRsForWavesPerEU: 10
; Occupancy: 10
; WaveLimiterHint : 0
; COMPUTE_PGM_RSRC2:SCRATCH_EN: 0
; COMPUTE_PGM_RSRC2:USER_SGPR: 6
; COMPUTE_PGM_RSRC2:TRAP_HANDLER: 0
; COMPUTE_PGM_RSRC2:TGID_X_EN: 1
; COMPUTE_PGM_RSRC2:TGID_Y_EN: 0
; COMPUTE_PGM_RSRC2:TGID_Z_EN: 0
; COMPUTE_PGM_RSRC2:TIDIG_COMP_CNT: 0
	.section	.text._ZN2at6native32elementwise_kernel_manual_unrollILi128ELi8EZNS0_22gpu_kernel_impl_nocastIZZZNS0_12_GLOBAL__N_117hardshrink_kernelERNS_18TensorIteratorBaseERKN3c106ScalarEENKUlvE_clEvENKUlvE2_clEvEUlNS6_8BFloat16EE_EEvS5_RKT_EUlibE_EEviT1_,"axG",@progbits,_ZN2at6native32elementwise_kernel_manual_unrollILi128ELi8EZNS0_22gpu_kernel_impl_nocastIZZZNS0_12_GLOBAL__N_117hardshrink_kernelERNS_18TensorIteratorBaseERKN3c106ScalarEENKUlvE_clEvENKUlvE2_clEvEUlNS6_8BFloat16EE_EEvS5_RKT_EUlibE_EEviT1_,comdat
	.globl	_ZN2at6native32elementwise_kernel_manual_unrollILi128ELi8EZNS0_22gpu_kernel_impl_nocastIZZZNS0_12_GLOBAL__N_117hardshrink_kernelERNS_18TensorIteratorBaseERKN3c106ScalarEENKUlvE_clEvENKUlvE2_clEvEUlNS6_8BFloat16EE_EEvS5_RKT_EUlibE_EEviT1_ ; -- Begin function _ZN2at6native32elementwise_kernel_manual_unrollILi128ELi8EZNS0_22gpu_kernel_impl_nocastIZZZNS0_12_GLOBAL__N_117hardshrink_kernelERNS_18TensorIteratorBaseERKN3c106ScalarEENKUlvE_clEvENKUlvE2_clEvEUlNS6_8BFloat16EE_EEvS5_RKT_EUlibE_EEviT1_
	.p2align	8
	.type	_ZN2at6native32elementwise_kernel_manual_unrollILi128ELi8EZNS0_22gpu_kernel_impl_nocastIZZZNS0_12_GLOBAL__N_117hardshrink_kernelERNS_18TensorIteratorBaseERKN3c106ScalarEENKUlvE_clEvENKUlvE2_clEvEUlNS6_8BFloat16EE_EEvS5_RKT_EUlibE_EEviT1_,@function
_ZN2at6native32elementwise_kernel_manual_unrollILi128ELi8EZNS0_22gpu_kernel_impl_nocastIZZZNS0_12_GLOBAL__N_117hardshrink_kernelERNS_18TensorIteratorBaseERKN3c106ScalarEENKUlvE_clEvENKUlvE2_clEvEUlNS6_8BFloat16EE_EEvS5_RKT_EUlibE_EEviT1_: ; @_ZN2at6native32elementwise_kernel_manual_unrollILi128ELi8EZNS0_22gpu_kernel_impl_nocastIZZZNS0_12_GLOBAL__N_117hardshrink_kernelERNS_18TensorIteratorBaseERKN3c106ScalarEENKUlvE_clEvENKUlvE2_clEvEUlNS6_8BFloat16EE_EEvS5_RKT_EUlibE_EEviT1_
; %bb.0:
	s_load_dword s56, s[4:5], 0x0
	s_load_dword s33, s[4:5], 0x8
	s_add_u32 s34, s4, 8
	s_addc_u32 s35, s5, 0
	v_lshl_or_b32 v19, s6, 10, v0
	v_or_b32_e32 v25, 0x380, v19
	s_waitcnt lgkmcnt(0)
	s_add_i32 s54, s33, -1
	s_cmp_gt_u32 s54, 1
	v_cmp_le_i32_e32 vcc, s56, v25
	s_cselect_b64 s[36:37], -1, 0
	s_and_saveexec_b64 s[0:1], vcc
	s_xor_b64 s[38:39], exec, s[0:1]
	s_cbranch_execz .LBB29_7
; %bb.1:
	s_load_dwordx4 s[20:23], s[34:35], 0x4
	s_load_dwordx2 s[40:41], s[34:35], 0x14
	s_load_dword s0, s[34:35], 0x158
	s_cmp_lg_u32 s33, 0
	s_cselect_b64 s[46:47], -1, 0
	s_add_u32 s44, s34, 0xc4
	s_addc_u32 s45, s35, 0
	s_min_u32 s57, s54, 15
	s_cmp_gt_u32 s33, 1
	s_cselect_b64 s[42:43], -1, 0
	s_waitcnt lgkmcnt(0)
	s_lshl_b32 s55, s0, 16
	s_xor_b32 s0, s55, 0x80000000
	s_bfe_u32 s1, s0, 0x10010
	s_load_dwordx4 s[24:27], s[34:35], 0xc4
	s_load_dwordx4 s[16:19], s[34:35], 0x148
	s_add_i32 s0, s0, s1
	s_addk_i32 s0, 0x7fff
	s_and_b32 s0, s0, 0xffff0000
	v_mov_b32_e32 v0, 0x7fc00000
	v_mov_b32_e32 v1, s0
	v_cmp_o_f32_e64 vcc, s55, s55
	v_cndmask_b32_e32 v4, v0, v1, vcc
	v_cmp_gt_i32_e32 vcc, s56, v19
	s_and_saveexec_b64 s[48:49], vcc
	s_cbranch_execz .LBB29_14
; %bb.2:
	s_andn2_b64 vcc, exec, s[36:37]
	s_cbranch_vccnz .LBB29_21
; %bb.3:
	s_andn2_b64 vcc, exec, s[46:47]
	s_cbranch_vccnz .LBB29_129
; %bb.4:
	s_add_i32 s59, s57, 1
	s_cmp_eq_u32 s54, 2
	s_cbranch_scc1 .LBB29_131
; %bb.5:
	s_and_b32 s58, s59, 28
	v_mov_b32_e32 v2, 0
	s_mov_b32 s60, 0
	s_mov_b64 s[50:51], s[34:35]
	s_mov_b64 s[52:53], s[44:45]
	v_mov_b32_e32 v0, 0
	v_mov_b32_e32 v1, v19
.LBB29_6:                               ; =>This Inner Loop Header: Depth=1
	s_load_dwordx8 s[8:15], s[50:51], 0x4
	s_load_dwordx4 s[28:31], s[50:51], 0x24
	s_load_dwordx8 s[0:7], s[52:53], 0x0
	s_add_u32 s50, s50, 48
	s_addc_u32 s51, s51, 0
	s_waitcnt lgkmcnt(0)
	v_mul_hi_u32 v3, s9, v1
	s_add_i32 s60, s60, 4
	s_add_u32 s52, s52, 32
	s_addc_u32 s53, s53, 0
	v_add_u32_e32 v3, v1, v3
	v_lshrrev_b32_e32 v3, s10, v3
	v_mul_lo_u32 v5, v3, s8
	v_mul_hi_u32 v6, s12, v3
	s_cmp_lg_u32 s58, s60
	v_sub_u32_e32 v1, v1, v5
	v_add_u32_e32 v5, v3, v6
	v_mul_lo_u32 v6, v1, s0
	v_mul_lo_u32 v7, v1, s1
	v_lshrrev_b32_e32 v1, s13, v5
	v_mul_lo_u32 v5, v1, s11
	v_mul_hi_u32 v8, s15, v1
	v_sub_u32_e32 v3, v3, v5
	v_add_u32_e32 v5, v1, v8
	v_lshrrev_b32_e32 v5, s28, v5
	v_mul_hi_u32 v9, s30, v5
	v_mul_lo_u32 v10, v5, s14
	v_mul_lo_u32 v8, v3, s2
	;; [unrolled: 1-line block ×3, first 2 shown]
	v_sub_u32_e32 v10, v1, v10
	v_add_u32_e32 v1, v5, v9
	v_lshrrev_b32_e32 v1, s31, v1
	v_mul_lo_u32 v9, v1, s29
	v_mul_lo_u32 v11, v10, s4
	;; [unrolled: 1-line block ×3, first 2 shown]
	v_add3_u32 v0, v6, v0, v8
	v_sub_u32_e32 v5, v5, v9
	v_mul_lo_u32 v9, v5, s6
	v_mul_lo_u32 v5, v5, s7
	v_add3_u32 v2, v7, v2, v3
	v_add3_u32 v0, v11, v0, v9
	;; [unrolled: 1-line block ×3, first 2 shown]
	s_cbranch_scc1 .LBB29_6
	s_branch .LBB29_132
.LBB29_7:
	s_andn2_saveexec_b64 s[0:1], s[38:39]
	s_cbranch_execz .LBB29_221
.LBB29_8:
	v_cndmask_b32_e64 v0, 0, 1, s[36:37]
	v_cmp_ne_u32_e64 s[0:1], 1, v0
	s_andn2_b64 vcc, exec, s[36:37]
	s_cbranch_vccnz .LBB29_20
; %bb.9:
	s_cmp_lg_u32 s33, 0
	s_waitcnt lgkmcnt(0)
	s_mov_b32 s26, 0
	s_cbranch_scc0 .LBB29_23
; %bb.10:
	s_min_u32 s27, s54, 15
	s_add_i32 s27, s27, 1
	s_cmp_eq_u32 s54, 2
	s_cbranch_scc1 .LBB29_24
; %bb.11:
	s_and_b32 s26, s27, 28
	s_add_u32 s2, s34, 0xc4
	s_addc_u32 s3, s35, 0
	v_mov_b32_e32 v2, 0
	s_mov_b32 s28, 0
	s_mov_b64 s[24:25], s[34:35]
	v_mov_b32_e32 v0, 0
	v_mov_b32_e32 v1, v19
.LBB29_12:                              ; =>This Inner Loop Header: Depth=1
	s_load_dwordx8 s[12:19], s[24:25], 0x4
	s_load_dwordx4 s[20:23], s[24:25], 0x24
	s_load_dwordx8 s[4:11], s[2:3], 0x0
	s_add_u32 s24, s24, 48
	s_addc_u32 s25, s25, 0
	s_waitcnt lgkmcnt(0)
	v_mul_hi_u32 v3, s13, v1
	s_add_i32 s28, s28, 4
	s_add_u32 s2, s2, 32
	s_addc_u32 s3, s3, 0
	v_add_u32_e32 v3, v1, v3
	v_lshrrev_b32_e32 v3, s14, v3
	v_mul_lo_u32 v4, v3, s12
	v_mul_hi_u32 v5, s16, v3
	s_cmp_lg_u32 s26, s28
	v_sub_u32_e32 v1, v1, v4
	v_add_u32_e32 v4, v3, v5
	v_mul_lo_u32 v5, v1, s4
	v_mul_lo_u32 v6, v1, s5
	v_lshrrev_b32_e32 v1, s17, v4
	v_mul_lo_u32 v4, v1, s15
	v_mul_hi_u32 v7, s19, v1
	v_sub_u32_e32 v3, v3, v4
	v_add_u32_e32 v4, v1, v7
	v_lshrrev_b32_e32 v4, s20, v4
	v_mul_hi_u32 v8, s22, v4
	v_mul_lo_u32 v9, v4, s18
	v_mul_lo_u32 v7, v3, s6
	;; [unrolled: 1-line block ×3, first 2 shown]
	v_sub_u32_e32 v9, v1, v9
	v_add_u32_e32 v1, v4, v8
	v_lshrrev_b32_e32 v1, s23, v1
	v_mul_lo_u32 v8, v1, s21
	v_mul_lo_u32 v10, v9, s8
	;; [unrolled: 1-line block ×3, first 2 shown]
	v_add3_u32 v0, v5, v0, v7
	v_sub_u32_e32 v4, v4, v8
	v_mul_lo_u32 v8, v4, s10
	v_mul_lo_u32 v4, v4, s11
	v_add3_u32 v2, v6, v2, v3
	v_add3_u32 v0, v10, v0, v8
	;; [unrolled: 1-line block ×3, first 2 shown]
	s_cbranch_scc1 .LBB29_12
; %bb.13:
	s_and_b32 s6, s27, 3
	s_cmp_eq_u32 s6, 0
	s_cbranch_scc0 .LBB29_25
	s_branch .LBB29_27
.LBB29_14:
	s_or_b64 exec, exec, s[48:49]
	v_cmp_gt_i32_e32 vcc, s56, v19
	s_and_saveexec_b64 s[48:49], vcc
	s_cbranch_execz .LBB29_139
.LBB29_15:
	s_andn2_b64 vcc, exec, s[36:37]
	s_cbranch_vccnz .LBB29_22
; %bb.16:
	s_andn2_b64 vcc, exec, s[46:47]
	s_cbranch_vccnz .LBB29_130
; %bb.17:
	s_add_i32 s59, s57, 1
	s_cmp_eq_u32 s54, 2
	s_cbranch_scc1 .LBB29_147
; %bb.18:
	s_and_b32 s58, s59, 28
	v_mov_b32_e32 v2, 0
	s_mov_b32 s60, 0
	s_mov_b64 s[50:51], s[34:35]
	s_mov_b64 s[52:53], s[44:45]
	v_mov_b32_e32 v0, 0
	v_mov_b32_e32 v1, v19
.LBB29_19:                              ; =>This Inner Loop Header: Depth=1
	s_load_dwordx8 s[8:15], s[50:51], 0x4
	s_load_dwordx4 s[28:31], s[50:51], 0x24
	s_load_dwordx8 s[0:7], s[52:53], 0x0
	s_add_u32 s50, s50, 48
	s_addc_u32 s51, s51, 0
	s_waitcnt lgkmcnt(0)
	v_mul_hi_u32 v3, s9, v1
	s_add_i32 s60, s60, 4
	s_add_u32 s52, s52, 32
	s_addc_u32 s53, s53, 0
	v_add_u32_e32 v3, v1, v3
	v_lshrrev_b32_e32 v3, s10, v3
	v_mul_lo_u32 v5, v3, s8
	v_mul_hi_u32 v6, s12, v3
	s_cmp_eq_u32 s58, s60
	v_sub_u32_e32 v1, v1, v5
	v_add_u32_e32 v5, v3, v6
	v_mul_lo_u32 v6, v1, s0
	v_mul_lo_u32 v7, v1, s1
	v_lshrrev_b32_e32 v1, s13, v5
	v_mul_lo_u32 v5, v1, s11
	v_mul_hi_u32 v8, s15, v1
	v_sub_u32_e32 v3, v3, v5
	v_add_u32_e32 v5, v1, v8
	v_lshrrev_b32_e32 v5, s28, v5
	v_mul_hi_u32 v9, s30, v5
	v_mul_lo_u32 v10, v5, s14
	v_mul_lo_u32 v8, v3, s2
	;; [unrolled: 1-line block ×3, first 2 shown]
	v_sub_u32_e32 v10, v1, v10
	v_add_u32_e32 v1, v5, v9
	v_lshrrev_b32_e32 v1, s31, v1
	v_mul_lo_u32 v9, v1, s29
	v_mul_lo_u32 v11, v10, s4
	v_mul_lo_u32 v10, v10, s5
	v_add3_u32 v0, v6, v0, v8
	v_sub_u32_e32 v5, v5, v9
	v_mul_lo_u32 v9, v5, s6
	v_mul_lo_u32 v5, v5, s7
	v_add3_u32 v2, v7, v2, v3
	v_add3_u32 v0, v11, v0, v9
	;; [unrolled: 1-line block ×3, first 2 shown]
	s_cbranch_scc0 .LBB29_19
	s_branch .LBB29_148
.LBB29_20:
                                        ; implicit-def: $vgpr0
                                        ; implicit-def: $vgpr2
	s_branch .LBB29_28
.LBB29_21:
                                        ; implicit-def: $vgpr0
                                        ; implicit-def: $vgpr2
	s_branch .LBB29_136
.LBB29_22:
                                        ; implicit-def: $vgpr0
                                        ; implicit-def: $vgpr2
	s_branch .LBB29_152
.LBB29_23:
	v_mov_b32_e32 v0, 0
	v_mov_b32_e32 v2, 0
	s_branch .LBB29_27
.LBB29_24:
	v_mov_b32_e32 v0, 0
	v_mov_b32_e32 v2, 0
	;; [unrolled: 1-line block ×3, first 2 shown]
	s_and_b32 s6, s27, 3
	s_cmp_eq_u32 s6, 0
	s_cbranch_scc1 .LBB29_27
.LBB29_25:
	s_lshl_b32 s2, s26, 3
	s_add_u32 s2, s34, s2
	s_addc_u32 s3, s35, 0
	s_add_u32 s2, s2, 0xc4
	s_addc_u32 s3, s3, 0
	s_mul_i32 s4, s26, 12
	s_add_u32 s4, s34, s4
	s_addc_u32 s5, s35, 0
.LBB29_26:                              ; =>This Inner Loop Header: Depth=1
	s_load_dwordx2 s[8:9], s[4:5], 0x4
	s_load_dword s7, s[4:5], 0xc
	s_load_dwordx2 s[10:11], s[2:3], 0x0
	s_add_u32 s4, s4, 12
	s_addc_u32 s5, s5, 0
	s_waitcnt lgkmcnt(0)
	v_mul_hi_u32 v4, s9, v1
	s_add_u32 s2, s2, 8
	s_addc_u32 s3, s3, 0
	s_add_i32 s6, s6, -1
	v_add_u32_e32 v4, v1, v4
	v_lshrrev_b32_e32 v4, s7, v4
	v_mul_lo_u32 v5, v4, s8
	s_cmp_lg_u32 s6, 0
	v_sub_u32_e32 v5, v1, v5
	v_mad_u64_u32 v[0:1], s[8:9], v5, s10, v[0:1]
	v_mad_u64_u32 v[2:3], s[8:9], v5, s11, v[2:3]
	v_mov_b32_e32 v1, v4
	s_cbranch_scc1 .LBB29_26
.LBB29_27:
	s_cbranch_execnz .LBB29_30
.LBB29_28:
	s_load_dwordx4 s[4:7], s[34:35], 0x4
	s_load_dwordx2 s[2:3], s[34:35], 0xc4
	s_cmp_lt_u32 s33, 2
	s_waitcnt lgkmcnt(0)
	v_mul_hi_u32 v0, s5, v19
	v_add_u32_e32 v0, v19, v0
	v_lshrrev_b32_e32 v1, s6, v0
	v_mul_lo_u32 v0, v1, s4
	v_sub_u32_e32 v2, v19, v0
	v_mul_lo_u32 v0, v2, s2
	v_mul_lo_u32 v2, v2, s3
	s_cbranch_scc1 .LBB29_30
; %bb.29:
	s_load_dwordx4 s[4:7], s[34:35], 0x10
	s_load_dwordx2 s[2:3], s[34:35], 0xcc
	s_waitcnt lgkmcnt(0)
	v_mul_hi_u32 v3, s5, v1
	v_add_u32_e32 v3, v1, v3
	v_lshrrev_b32_e32 v3, s6, v3
	v_mul_lo_u32 v3, v3, s4
	v_sub_u32_e32 v3, v1, v3
	v_mad_u64_u32 v[0:1], s[4:5], v3, s2, v[0:1]
	v_mad_u64_u32 v[2:3], s[2:3], v3, s3, v[2:3]
.LBB29_30:
	s_and_b64 vcc, exec, s[0:1]
	v_add_u32_e32 v1, 0x80, v19
	s_cbranch_vccnz .LBB29_36
; %bb.31:
	s_cmp_lg_u32 s33, 0
	s_waitcnt lgkmcnt(0)
	s_mov_b32 s26, 0
	s_cbranch_scc0 .LBB29_37
; %bb.32:
	s_min_u32 s27, s54, 15
	s_add_i32 s27, s27, 1
	s_cmp_eq_u32 s54, 2
	s_cbranch_scc1 .LBB29_38
; %bb.33:
	s_and_b32 s26, s27, 28
	s_add_u32 s2, s34, 0xc4
	s_addc_u32 s3, s35, 0
	v_mov_b32_e32 v5, 0
	s_mov_b32 s28, 0
	s_mov_b64 s[24:25], s[34:35]
	v_mov_b32_e32 v3, 0
	v_mov_b32_e32 v4, v1
.LBB29_34:                              ; =>This Inner Loop Header: Depth=1
	s_load_dwordx8 s[12:19], s[24:25], 0x4
	s_load_dwordx4 s[20:23], s[24:25], 0x24
	s_load_dwordx8 s[4:11], s[2:3], 0x0
	s_add_u32 s24, s24, 48
	s_addc_u32 s25, s25, 0
	s_waitcnt lgkmcnt(0)
	v_mul_hi_u32 v6, s13, v4
	s_add_i32 s28, s28, 4
	s_add_u32 s2, s2, 32
	s_addc_u32 s3, s3, 0
	v_add_u32_e32 v6, v4, v6
	v_lshrrev_b32_e32 v6, s14, v6
	v_mul_lo_u32 v7, v6, s12
	v_mul_hi_u32 v8, s16, v6
	s_cmp_lg_u32 s26, s28
	v_sub_u32_e32 v4, v4, v7
	v_add_u32_e32 v7, v6, v8
	v_mul_lo_u32 v8, v4, s4
	v_mul_lo_u32 v9, v4, s5
	v_lshrrev_b32_e32 v4, s17, v7
	v_mul_lo_u32 v7, v4, s15
	v_mul_hi_u32 v10, s19, v4
	v_sub_u32_e32 v6, v6, v7
	v_add_u32_e32 v7, v4, v10
	v_lshrrev_b32_e32 v7, s20, v7
	v_mul_hi_u32 v11, s22, v7
	v_mul_lo_u32 v12, v7, s18
	v_mul_lo_u32 v10, v6, s6
	;; [unrolled: 1-line block ×3, first 2 shown]
	v_sub_u32_e32 v12, v4, v12
	v_add_u32_e32 v4, v7, v11
	v_lshrrev_b32_e32 v4, s23, v4
	v_mul_lo_u32 v11, v4, s21
	v_mul_lo_u32 v13, v12, s8
	;; [unrolled: 1-line block ×3, first 2 shown]
	v_add3_u32 v3, v8, v3, v10
	v_sub_u32_e32 v7, v7, v11
	v_mul_lo_u32 v11, v7, s10
	v_mul_lo_u32 v7, v7, s11
	v_add3_u32 v5, v9, v5, v6
	v_add3_u32 v3, v13, v3, v11
	;; [unrolled: 1-line block ×3, first 2 shown]
	s_cbranch_scc1 .LBB29_34
; %bb.35:
	s_and_b32 s6, s27, 3
	s_cmp_eq_u32 s6, 0
	s_cbranch_scc0 .LBB29_39
	s_branch .LBB29_41
.LBB29_36:
                                        ; implicit-def: $vgpr3
                                        ; implicit-def: $vgpr5
	s_branch .LBB29_42
.LBB29_37:
	v_mov_b32_e32 v3, 0
	v_mov_b32_e32 v5, 0
	s_branch .LBB29_41
.LBB29_38:
	v_mov_b32_e32 v3, 0
	v_mov_b32_e32 v5, 0
	;; [unrolled: 1-line block ×3, first 2 shown]
	s_and_b32 s6, s27, 3
	s_cmp_eq_u32 s6, 0
	s_cbranch_scc1 .LBB29_41
.LBB29_39:
	s_lshl_b32 s2, s26, 3
	s_add_u32 s2, s34, s2
	s_addc_u32 s3, s35, 0
	s_add_u32 s2, s2, 0xc4
	s_addc_u32 s3, s3, 0
	s_mul_i32 s4, s26, 12
	s_add_u32 s4, s34, s4
	s_addc_u32 s5, s35, 0
.LBB29_40:                              ; =>This Inner Loop Header: Depth=1
	s_load_dwordx2 s[8:9], s[4:5], 0x4
	s_load_dword s7, s[4:5], 0xc
	s_load_dwordx2 s[10:11], s[2:3], 0x0
	s_add_u32 s4, s4, 12
	s_addc_u32 s5, s5, 0
	s_waitcnt lgkmcnt(0)
	v_mul_hi_u32 v7, s9, v4
	s_add_u32 s2, s2, 8
	s_addc_u32 s3, s3, 0
	s_add_i32 s6, s6, -1
	v_add_u32_e32 v7, v4, v7
	v_lshrrev_b32_e32 v7, s7, v7
	v_mul_lo_u32 v8, v7, s8
	s_cmp_lg_u32 s6, 0
	v_sub_u32_e32 v8, v4, v8
	v_mad_u64_u32 v[3:4], s[8:9], v8, s10, v[3:4]
	v_mad_u64_u32 v[5:6], s[8:9], v8, s11, v[5:6]
	v_mov_b32_e32 v4, v7
	s_cbranch_scc1 .LBB29_40
.LBB29_41:
	s_cbranch_execnz .LBB29_44
.LBB29_42:
	s_load_dwordx4 s[4:7], s[34:35], 0x4
	s_load_dwordx2 s[2:3], s[34:35], 0xc4
	s_cmp_lt_u32 s33, 2
	s_waitcnt lgkmcnt(0)
	v_mul_hi_u32 v3, s5, v1
	v_add_u32_e32 v3, v1, v3
	v_lshrrev_b32_e32 v4, s6, v3
	v_mul_lo_u32 v3, v4, s4
	v_sub_u32_e32 v1, v1, v3
	v_mul_lo_u32 v3, v1, s2
	v_mul_lo_u32 v5, v1, s3
	s_cbranch_scc1 .LBB29_44
; %bb.43:
	s_load_dwordx4 s[4:7], s[34:35], 0x10
	s_load_dwordx2 s[2:3], s[34:35], 0xcc
	s_waitcnt lgkmcnt(0)
	v_mul_hi_u32 v1, s5, v4
	v_add_u32_e32 v1, v4, v1
	v_lshrrev_b32_e32 v1, s6, v1
	v_mul_lo_u32 v1, v1, s4
	v_sub_u32_e32 v1, v4, v1
	v_mad_u64_u32 v[3:4], s[4:5], v1, s2, v[3:4]
	v_mad_u64_u32 v[5:6], s[2:3], v1, s3, v[5:6]
.LBB29_44:
	s_and_b64 vcc, exec, s[0:1]
	v_add_u32_e32 v1, 0x100, v19
	s_cbranch_vccnz .LBB29_50
; %bb.45:
	s_cmp_lg_u32 s33, 0
	s_waitcnt lgkmcnt(0)
	s_mov_b32 s26, 0
	s_cbranch_scc0 .LBB29_51
; %bb.46:
	s_min_u32 s27, s54, 15
	s_add_i32 s27, s27, 1
	s_cmp_eq_u32 s54, 2
	s_cbranch_scc1 .LBB29_52
; %bb.47:
	s_and_b32 s26, s27, 28
	s_add_u32 s2, s34, 0xc4
	s_addc_u32 s3, s35, 0
	v_mov_b32_e32 v8, 0
	s_mov_b32 s28, 0
	s_mov_b64 s[24:25], s[34:35]
	v_mov_b32_e32 v6, 0
	v_mov_b32_e32 v4, v1
.LBB29_48:                              ; =>This Inner Loop Header: Depth=1
	s_load_dwordx8 s[12:19], s[24:25], 0x4
	s_load_dwordx4 s[20:23], s[24:25], 0x24
	s_load_dwordx8 s[4:11], s[2:3], 0x0
	s_add_u32 s24, s24, 48
	s_addc_u32 s25, s25, 0
	s_waitcnt lgkmcnt(0)
	v_mul_hi_u32 v7, s13, v4
	s_add_i32 s28, s28, 4
	s_add_u32 s2, s2, 32
	s_addc_u32 s3, s3, 0
	v_add_u32_e32 v7, v4, v7
	v_lshrrev_b32_e32 v7, s14, v7
	v_mul_lo_u32 v9, v7, s12
	v_mul_hi_u32 v10, s16, v7
	s_cmp_lg_u32 s26, s28
	v_sub_u32_e32 v4, v4, v9
	v_add_u32_e32 v9, v7, v10
	v_mul_lo_u32 v10, v4, s4
	v_mul_lo_u32 v11, v4, s5
	v_lshrrev_b32_e32 v4, s17, v9
	v_mul_lo_u32 v9, v4, s15
	v_mul_hi_u32 v12, s19, v4
	v_sub_u32_e32 v7, v7, v9
	v_add_u32_e32 v9, v4, v12
	v_lshrrev_b32_e32 v9, s20, v9
	v_mul_hi_u32 v13, s22, v9
	v_mul_lo_u32 v14, v9, s18
	v_mul_lo_u32 v12, v7, s6
	;; [unrolled: 1-line block ×3, first 2 shown]
	v_sub_u32_e32 v14, v4, v14
	v_add_u32_e32 v4, v9, v13
	v_lshrrev_b32_e32 v4, s23, v4
	v_mul_lo_u32 v13, v4, s21
	v_mul_lo_u32 v15, v14, s8
	;; [unrolled: 1-line block ×3, first 2 shown]
	v_add3_u32 v6, v10, v6, v12
	v_sub_u32_e32 v9, v9, v13
	v_mul_lo_u32 v13, v9, s10
	v_mul_lo_u32 v9, v9, s11
	v_add3_u32 v7, v11, v8, v7
	v_add3_u32 v6, v15, v6, v13
	;; [unrolled: 1-line block ×3, first 2 shown]
	s_cbranch_scc1 .LBB29_48
; %bb.49:
	s_and_b32 s6, s27, 3
	s_cmp_eq_u32 s6, 0
	s_cbranch_scc0 .LBB29_53
	s_branch .LBB29_55
.LBB29_50:
                                        ; implicit-def: $vgpr6
                                        ; implicit-def: $vgpr8
	s_branch .LBB29_56
.LBB29_51:
	v_mov_b32_e32 v6, 0
	v_mov_b32_e32 v8, 0
	s_branch .LBB29_55
.LBB29_52:
	v_mov_b32_e32 v6, 0
	v_mov_b32_e32 v8, 0
	;; [unrolled: 1-line block ×3, first 2 shown]
	s_and_b32 s6, s27, 3
	s_cmp_eq_u32 s6, 0
	s_cbranch_scc1 .LBB29_55
.LBB29_53:
	s_lshl_b32 s2, s26, 3
	s_add_u32 s2, s34, s2
	s_addc_u32 s3, s35, 0
	s_add_u32 s2, s2, 0xc4
	s_addc_u32 s3, s3, 0
	s_mul_i32 s4, s26, 12
	s_add_u32 s4, s34, s4
	s_addc_u32 s5, s35, 0
.LBB29_54:                              ; =>This Inner Loop Header: Depth=1
	s_load_dwordx2 s[8:9], s[4:5], 0x4
	s_load_dword s7, s[4:5], 0xc
	s_load_dwordx2 s[10:11], s[2:3], 0x0
	s_add_u32 s4, s4, 12
	s_addc_u32 s5, s5, 0
	s_waitcnt lgkmcnt(0)
	v_mul_hi_u32 v7, s9, v4
	s_add_u32 s2, s2, 8
	s_addc_u32 s3, s3, 0
	s_add_i32 s6, s6, -1
	v_add_u32_e32 v7, v4, v7
	v_lshrrev_b32_e32 v10, s7, v7
	v_mul_lo_u32 v7, v10, s8
	s_cmp_lg_u32 s6, 0
	v_sub_u32_e32 v4, v4, v7
	v_mad_u64_u32 v[6:7], s[8:9], v4, s10, v[6:7]
	v_mad_u64_u32 v[8:9], s[8:9], v4, s11, v[8:9]
	v_mov_b32_e32 v4, v10
	s_cbranch_scc1 .LBB29_54
.LBB29_55:
	s_cbranch_execnz .LBB29_58
.LBB29_56:
	s_load_dwordx4 s[4:7], s[34:35], 0x4
	s_load_dwordx2 s[2:3], s[34:35], 0xc4
	s_cmp_lt_u32 s33, 2
	s_waitcnt lgkmcnt(0)
	v_mul_hi_u32 v4, s5, v1
	v_add_u32_e32 v4, v1, v4
	v_lshrrev_b32_e32 v4, s6, v4
	v_mul_lo_u32 v6, v4, s4
	v_sub_u32_e32 v1, v1, v6
	v_mul_lo_u32 v6, v1, s2
	v_mul_lo_u32 v8, v1, s3
	s_cbranch_scc1 .LBB29_58
; %bb.57:
	s_load_dwordx4 s[4:7], s[34:35], 0x10
	s_load_dwordx2 s[2:3], s[34:35], 0xcc
	s_waitcnt lgkmcnt(0)
	v_mul_hi_u32 v1, s5, v4
	v_add_u32_e32 v1, v4, v1
	v_lshrrev_b32_e32 v1, s6, v1
	v_mul_lo_u32 v1, v1, s4
	v_sub_u32_e32 v1, v4, v1
	v_mad_u64_u32 v[6:7], s[4:5], v1, s2, v[6:7]
	v_mad_u64_u32 v[8:9], s[2:3], v1, s3, v[8:9]
.LBB29_58:
	s_and_b64 vcc, exec, s[0:1]
	v_add_u32_e32 v1, 0x180, v19
	s_cbranch_vccnz .LBB29_64
; %bb.59:
	s_cmp_lg_u32 s33, 0
	s_waitcnt lgkmcnt(0)
	s_mov_b32 s26, 0
	s_cbranch_scc0 .LBB29_65
; %bb.60:
	s_min_u32 s27, s54, 15
	s_add_i32 s27, s27, 1
	s_cmp_eq_u32 s54, 2
	s_cbranch_scc1 .LBB29_66
; %bb.61:
	s_and_b32 s26, s27, 28
	s_add_u32 s2, s34, 0xc4
	s_addc_u32 s3, s35, 0
	v_mov_b32_e32 v11, 0
	s_mov_b32 s28, 0
	s_mov_b64 s[24:25], s[34:35]
	v_mov_b32_e32 v9, 0
	v_mov_b32_e32 v4, v1
.LBB29_62:                              ; =>This Inner Loop Header: Depth=1
	s_load_dwordx8 s[12:19], s[24:25], 0x4
	s_load_dwordx4 s[20:23], s[24:25], 0x24
	s_load_dwordx8 s[4:11], s[2:3], 0x0
	s_add_u32 s24, s24, 48
	s_addc_u32 s25, s25, 0
	s_waitcnt lgkmcnt(0)
	v_mul_hi_u32 v7, s13, v4
	s_add_i32 s28, s28, 4
	s_add_u32 s2, s2, 32
	s_addc_u32 s3, s3, 0
	v_add_u32_e32 v7, v4, v7
	v_lshrrev_b32_e32 v7, s14, v7
	v_mul_lo_u32 v10, v7, s12
	v_mul_hi_u32 v12, s16, v7
	s_cmp_lg_u32 s26, s28
	v_sub_u32_e32 v4, v4, v10
	v_add_u32_e32 v10, v7, v12
	v_mul_lo_u32 v12, v4, s4
	v_mul_lo_u32 v13, v4, s5
	v_lshrrev_b32_e32 v4, s17, v10
	v_mul_lo_u32 v10, v4, s15
	v_mul_hi_u32 v14, s19, v4
	v_sub_u32_e32 v7, v7, v10
	v_add_u32_e32 v10, v4, v14
	v_lshrrev_b32_e32 v10, s20, v10
	v_mul_hi_u32 v15, s22, v10
	v_mul_lo_u32 v16, v10, s18
	v_mul_lo_u32 v14, v7, s6
	;; [unrolled: 1-line block ×3, first 2 shown]
	v_sub_u32_e32 v16, v4, v16
	v_add_u32_e32 v4, v10, v15
	v_lshrrev_b32_e32 v4, s23, v4
	v_mul_lo_u32 v15, v4, s21
	v_mul_lo_u32 v17, v16, s8
	;; [unrolled: 1-line block ×3, first 2 shown]
	v_add3_u32 v9, v12, v9, v14
	v_sub_u32_e32 v10, v10, v15
	v_mul_lo_u32 v15, v10, s10
	v_mul_lo_u32 v10, v10, s11
	v_add3_u32 v7, v13, v11, v7
	v_add3_u32 v9, v17, v9, v15
	;; [unrolled: 1-line block ×3, first 2 shown]
	s_cbranch_scc1 .LBB29_62
; %bb.63:
	s_and_b32 s6, s27, 3
	s_cmp_eq_u32 s6, 0
	s_cbranch_scc0 .LBB29_67
	s_branch .LBB29_69
.LBB29_64:
                                        ; implicit-def: $vgpr9
                                        ; implicit-def: $vgpr11
	s_branch .LBB29_70
.LBB29_65:
	v_mov_b32_e32 v9, 0
	v_mov_b32_e32 v11, 0
	s_branch .LBB29_69
.LBB29_66:
	v_mov_b32_e32 v9, 0
	v_mov_b32_e32 v11, 0
	;; [unrolled: 1-line block ×3, first 2 shown]
	s_and_b32 s6, s27, 3
	s_cmp_eq_u32 s6, 0
	s_cbranch_scc1 .LBB29_69
.LBB29_67:
	s_lshl_b32 s2, s26, 3
	s_add_u32 s2, s34, s2
	s_addc_u32 s3, s35, 0
	s_add_u32 s2, s2, 0xc4
	s_addc_u32 s3, s3, 0
	s_mul_i32 s4, s26, 12
	s_add_u32 s4, s34, s4
	s_addc_u32 s5, s35, 0
.LBB29_68:                              ; =>This Inner Loop Header: Depth=1
	s_load_dwordx2 s[8:9], s[4:5], 0x4
	s_load_dword s7, s[4:5], 0xc
	s_load_dwordx2 s[10:11], s[2:3], 0x0
	s_add_u32 s4, s4, 12
	s_addc_u32 s5, s5, 0
	s_waitcnt lgkmcnt(0)
	v_mul_hi_u32 v7, s9, v4
	s_add_u32 s2, s2, 8
	s_addc_u32 s3, s3, 0
	s_add_i32 s6, s6, -1
	v_add_u32_e32 v7, v4, v7
	v_lshrrev_b32_e32 v7, s7, v7
	v_mul_lo_u32 v10, v7, s8
	s_cmp_lg_u32 s6, 0
	v_sub_u32_e32 v4, v4, v10
	v_mad_u64_u32 v[9:10], s[8:9], v4, s10, v[9:10]
	v_mad_u64_u32 v[11:12], s[8:9], v4, s11, v[11:12]
	v_mov_b32_e32 v4, v7
	s_cbranch_scc1 .LBB29_68
.LBB29_69:
	s_cbranch_execnz .LBB29_72
.LBB29_70:
	s_load_dwordx4 s[4:7], s[34:35], 0x4
	s_load_dwordx2 s[2:3], s[34:35], 0xc4
	s_cmp_lt_u32 s33, 2
	s_waitcnt lgkmcnt(0)
	v_mul_hi_u32 v4, s5, v1
	v_add_u32_e32 v4, v1, v4
	v_lshrrev_b32_e32 v4, s6, v4
	v_mul_lo_u32 v7, v4, s4
	v_sub_u32_e32 v1, v1, v7
	v_mul_lo_u32 v9, v1, s2
	v_mul_lo_u32 v11, v1, s3
	s_cbranch_scc1 .LBB29_72
; %bb.71:
	s_load_dwordx4 s[4:7], s[34:35], 0x10
	s_load_dwordx2 s[2:3], s[34:35], 0xcc
	s_waitcnt lgkmcnt(0)
	v_mul_hi_u32 v1, s5, v4
	v_add_u32_e32 v1, v4, v1
	v_lshrrev_b32_e32 v1, s6, v1
	v_mul_lo_u32 v1, v1, s4
	v_sub_u32_e32 v1, v4, v1
	v_mad_u64_u32 v[9:10], s[4:5], v1, s2, v[9:10]
	v_mad_u64_u32 v[11:12], s[2:3], v1, s3, v[11:12]
.LBB29_72:
	s_and_b64 vcc, exec, s[0:1]
	v_add_u32_e32 v1, 0x200, v19
	s_cbranch_vccnz .LBB29_78
; %bb.73:
	s_cmp_lg_u32 s33, 0
	s_waitcnt lgkmcnt(0)
	s_mov_b32 s26, 0
	s_cbranch_scc0 .LBB29_79
; %bb.74:
	s_min_u32 s27, s54, 15
	s_add_i32 s27, s27, 1
	s_cmp_eq_u32 s54, 2
	s_cbranch_scc1 .LBB29_80
; %bb.75:
	s_and_b32 s26, s27, 28
	s_add_u32 s2, s34, 0xc4
	s_addc_u32 s3, s35, 0
	v_mov_b32_e32 v14, 0
	s_mov_b32 s28, 0
	s_mov_b64 s[24:25], s[34:35]
	v_mov_b32_e32 v12, 0
	v_mov_b32_e32 v4, v1
.LBB29_76:                              ; =>This Inner Loop Header: Depth=1
	s_load_dwordx8 s[12:19], s[24:25], 0x4
	s_load_dwordx4 s[20:23], s[24:25], 0x24
	s_load_dwordx8 s[4:11], s[2:3], 0x0
	s_add_u32 s24, s24, 48
	s_addc_u32 s25, s25, 0
	s_waitcnt lgkmcnt(0)
	v_mul_hi_u32 v7, s13, v4
	s_add_i32 s28, s28, 4
	s_add_u32 s2, s2, 32
	s_addc_u32 s3, s3, 0
	v_add_u32_e32 v7, v4, v7
	v_lshrrev_b32_e32 v7, s14, v7
	v_mul_lo_u32 v10, v7, s12
	v_mul_hi_u32 v13, s16, v7
	s_cmp_lg_u32 s26, s28
	v_sub_u32_e32 v4, v4, v10
	v_add_u32_e32 v10, v7, v13
	v_mul_lo_u32 v13, v4, s4
	v_mul_lo_u32 v15, v4, s5
	v_lshrrev_b32_e32 v4, s17, v10
	v_mul_lo_u32 v10, v4, s15
	v_mul_hi_u32 v16, s19, v4
	v_sub_u32_e32 v7, v7, v10
	v_add_u32_e32 v10, v4, v16
	v_lshrrev_b32_e32 v10, s20, v10
	v_mul_hi_u32 v17, s22, v10
	v_mul_lo_u32 v18, v10, s18
	v_mul_lo_u32 v16, v7, s6
	;; [unrolled: 1-line block ×3, first 2 shown]
	v_sub_u32_e32 v18, v4, v18
	v_add_u32_e32 v4, v10, v17
	v_lshrrev_b32_e32 v4, s23, v4
	v_mul_lo_u32 v17, v4, s21
	v_mul_lo_u32 v20, v18, s8
	;; [unrolled: 1-line block ×3, first 2 shown]
	v_add3_u32 v12, v13, v12, v16
	v_sub_u32_e32 v10, v10, v17
	v_mul_lo_u32 v17, v10, s10
	v_mul_lo_u32 v10, v10, s11
	v_add3_u32 v7, v15, v14, v7
	v_add3_u32 v12, v20, v12, v17
	;; [unrolled: 1-line block ×3, first 2 shown]
	s_cbranch_scc1 .LBB29_76
; %bb.77:
	s_and_b32 s6, s27, 3
	s_cmp_eq_u32 s6, 0
	s_cbranch_scc0 .LBB29_81
	s_branch .LBB29_83
.LBB29_78:
                                        ; implicit-def: $vgpr12
                                        ; implicit-def: $vgpr14
	s_branch .LBB29_84
.LBB29_79:
	v_mov_b32_e32 v12, 0
	v_mov_b32_e32 v14, 0
	s_branch .LBB29_83
.LBB29_80:
	v_mov_b32_e32 v12, 0
	v_mov_b32_e32 v14, 0
	;; [unrolled: 1-line block ×3, first 2 shown]
	s_and_b32 s6, s27, 3
	s_cmp_eq_u32 s6, 0
	s_cbranch_scc1 .LBB29_83
.LBB29_81:
	s_lshl_b32 s2, s26, 3
	s_add_u32 s2, s34, s2
	s_addc_u32 s3, s35, 0
	s_add_u32 s2, s2, 0xc4
	s_addc_u32 s3, s3, 0
	s_mul_i32 s4, s26, 12
	s_add_u32 s4, s34, s4
	s_addc_u32 s5, s35, 0
.LBB29_82:                              ; =>This Inner Loop Header: Depth=1
	s_load_dwordx2 s[8:9], s[4:5], 0x4
	s_load_dword s7, s[4:5], 0xc
	s_load_dwordx2 s[10:11], s[2:3], 0x0
	s_add_u32 s4, s4, 12
	s_addc_u32 s5, s5, 0
	s_waitcnt lgkmcnt(0)
	v_mul_hi_u32 v7, s9, v4
	s_add_u32 s2, s2, 8
	s_addc_u32 s3, s3, 0
	s_add_i32 s6, s6, -1
	v_add_u32_e32 v7, v4, v7
	v_lshrrev_b32_e32 v7, s7, v7
	v_mul_lo_u32 v10, v7, s8
	s_cmp_lg_u32 s6, 0
	v_sub_u32_e32 v4, v4, v10
	v_mad_u64_u32 v[12:13], s[8:9], v4, s10, v[12:13]
	v_mad_u64_u32 v[14:15], s[8:9], v4, s11, v[14:15]
	v_mov_b32_e32 v4, v7
	s_cbranch_scc1 .LBB29_82
.LBB29_83:
	s_cbranch_execnz .LBB29_86
.LBB29_84:
	s_load_dwordx4 s[4:7], s[34:35], 0x4
	s_load_dwordx2 s[2:3], s[34:35], 0xc4
	s_cmp_lt_u32 s33, 2
	s_waitcnt lgkmcnt(0)
	v_mul_hi_u32 v4, s5, v1
	v_add_u32_e32 v4, v1, v4
	v_lshrrev_b32_e32 v4, s6, v4
	v_mul_lo_u32 v7, v4, s4
	v_sub_u32_e32 v1, v1, v7
	v_mul_lo_u32 v12, v1, s2
	v_mul_lo_u32 v14, v1, s3
	s_cbranch_scc1 .LBB29_86
; %bb.85:
	s_load_dwordx4 s[4:7], s[34:35], 0x10
	s_load_dwordx2 s[2:3], s[34:35], 0xcc
	s_waitcnt lgkmcnt(0)
	v_mul_hi_u32 v1, s5, v4
	v_add_u32_e32 v1, v4, v1
	v_lshrrev_b32_e32 v1, s6, v1
	v_mul_lo_u32 v1, v1, s4
	v_sub_u32_e32 v1, v4, v1
	v_mad_u64_u32 v[12:13], s[4:5], v1, s2, v[12:13]
	v_mad_u64_u32 v[14:15], s[2:3], v1, s3, v[14:15]
.LBB29_86:
	s_and_b64 vcc, exec, s[0:1]
	v_add_u32_e32 v1, 0x280, v19
	s_cbranch_vccnz .LBB29_92
; %bb.87:
	s_cmp_lg_u32 s33, 0
	s_waitcnt lgkmcnt(0)
	s_mov_b32 s26, 0
	s_cbranch_scc0 .LBB29_93
; %bb.88:
	s_min_u32 s27, s54, 15
	s_add_i32 s27, s27, 1
	s_cmp_eq_u32 s54, 2
	s_cbranch_scc1 .LBB29_94
; %bb.89:
	s_and_b32 s26, s27, 28
	s_add_u32 s2, s34, 0xc4
	s_addc_u32 s3, s35, 0
	v_mov_b32_e32 v17, 0
	s_mov_b32 s28, 0
	s_mov_b64 s[24:25], s[34:35]
	v_mov_b32_e32 v15, 0
	v_mov_b32_e32 v4, v1
.LBB29_90:                              ; =>This Inner Loop Header: Depth=1
	s_load_dwordx8 s[12:19], s[24:25], 0x4
	s_load_dwordx4 s[20:23], s[24:25], 0x24
	s_load_dwordx8 s[4:11], s[2:3], 0x0
	s_add_u32 s24, s24, 48
	s_addc_u32 s25, s25, 0
	s_waitcnt lgkmcnt(0)
	v_mul_hi_u32 v7, s13, v4
	s_add_i32 s28, s28, 4
	s_add_u32 s2, s2, 32
	s_addc_u32 s3, s3, 0
	v_add_u32_e32 v7, v4, v7
	v_lshrrev_b32_e32 v7, s14, v7
	v_mul_lo_u32 v10, v7, s12
	v_mul_hi_u32 v13, s16, v7
	s_cmp_lg_u32 s26, s28
	v_sub_u32_e32 v4, v4, v10
	v_add_u32_e32 v10, v7, v13
	v_mul_lo_u32 v13, v4, s4
	v_mul_lo_u32 v16, v4, s5
	v_lshrrev_b32_e32 v4, s17, v10
	v_mul_lo_u32 v10, v4, s15
	v_mul_hi_u32 v18, s19, v4
	v_sub_u32_e32 v7, v7, v10
	v_add_u32_e32 v10, v4, v18
	v_lshrrev_b32_e32 v10, s20, v10
	v_mul_hi_u32 v20, s22, v10
	v_mul_lo_u32 v21, v10, s18
	v_mul_lo_u32 v18, v7, s6
	;; [unrolled: 1-line block ×3, first 2 shown]
	v_sub_u32_e32 v21, v4, v21
	v_add_u32_e32 v4, v10, v20
	v_lshrrev_b32_e32 v4, s23, v4
	v_mul_lo_u32 v20, v4, s21
	v_mul_lo_u32 v22, v21, s8
	;; [unrolled: 1-line block ×3, first 2 shown]
	v_add3_u32 v13, v13, v15, v18
	v_sub_u32_e32 v10, v10, v20
	v_mul_lo_u32 v20, v10, s10
	v_mul_lo_u32 v10, v10, s11
	v_add3_u32 v7, v16, v17, v7
	v_add3_u32 v15, v22, v13, v20
	;; [unrolled: 1-line block ×3, first 2 shown]
	s_cbranch_scc1 .LBB29_90
; %bb.91:
	s_and_b32 s6, s27, 3
	s_cmp_eq_u32 s6, 0
	s_cbranch_scc0 .LBB29_95
	s_branch .LBB29_97
.LBB29_92:
                                        ; implicit-def: $vgpr15
                                        ; implicit-def: $vgpr17
	s_branch .LBB29_98
.LBB29_93:
	v_mov_b32_e32 v15, 0
	v_mov_b32_e32 v17, 0
	s_branch .LBB29_97
.LBB29_94:
	v_mov_b32_e32 v15, 0
	v_mov_b32_e32 v17, 0
	;; [unrolled: 1-line block ×3, first 2 shown]
	s_and_b32 s6, s27, 3
	s_cmp_eq_u32 s6, 0
	s_cbranch_scc1 .LBB29_97
.LBB29_95:
	s_lshl_b32 s2, s26, 3
	s_add_u32 s2, s34, s2
	s_addc_u32 s3, s35, 0
	s_add_u32 s2, s2, 0xc4
	s_addc_u32 s3, s3, 0
	s_mul_i32 s4, s26, 12
	s_add_u32 s4, s34, s4
	s_addc_u32 s5, s35, 0
.LBB29_96:                              ; =>This Inner Loop Header: Depth=1
	s_load_dwordx2 s[8:9], s[4:5], 0x4
	s_load_dword s7, s[4:5], 0xc
	s_load_dwordx2 s[10:11], s[2:3], 0x0
	s_add_u32 s4, s4, 12
	s_addc_u32 s5, s5, 0
	s_waitcnt lgkmcnt(0)
	v_mul_hi_u32 v7, s9, v4
	s_add_u32 s2, s2, 8
	s_addc_u32 s3, s3, 0
	s_add_i32 s6, s6, -1
	v_add_u32_e32 v7, v4, v7
	v_lshrrev_b32_e32 v7, s7, v7
	v_mul_lo_u32 v10, v7, s8
	s_cmp_lg_u32 s6, 0
	v_sub_u32_e32 v4, v4, v10
	v_mad_u64_u32 v[15:16], s[8:9], v4, s10, v[15:16]
	v_mad_u64_u32 v[17:18], s[8:9], v4, s11, v[17:18]
	v_mov_b32_e32 v4, v7
	s_cbranch_scc1 .LBB29_96
.LBB29_97:
	s_cbranch_execnz .LBB29_100
.LBB29_98:
	s_load_dwordx4 s[4:7], s[34:35], 0x4
	s_load_dwordx2 s[2:3], s[34:35], 0xc4
	s_cmp_lt_u32 s33, 2
	s_waitcnt lgkmcnt(0)
	v_mul_hi_u32 v4, s5, v1
	v_add_u32_e32 v4, v1, v4
	v_lshrrev_b32_e32 v4, s6, v4
	v_mul_lo_u32 v7, v4, s4
	v_sub_u32_e32 v1, v1, v7
	v_mul_lo_u32 v15, v1, s2
	v_mul_lo_u32 v17, v1, s3
	s_cbranch_scc1 .LBB29_100
; %bb.99:
	s_load_dwordx4 s[4:7], s[34:35], 0x10
	s_load_dwordx2 s[2:3], s[34:35], 0xcc
	s_waitcnt lgkmcnt(0)
	v_mul_hi_u32 v1, s5, v4
	v_add_u32_e32 v1, v4, v1
	v_lshrrev_b32_e32 v1, s6, v1
	v_mul_lo_u32 v1, v1, s4
	v_sub_u32_e32 v1, v4, v1
	v_mad_u64_u32 v[15:16], s[4:5], v1, s2, v[15:16]
	v_mad_u64_u32 v[17:18], s[2:3], v1, s3, v[17:18]
.LBB29_100:
	s_and_b64 vcc, exec, s[0:1]
	v_add_u32_e32 v1, 0x300, v19
	s_cbranch_vccnz .LBB29_106
; %bb.101:
	s_cmp_lg_u32 s33, 0
	s_waitcnt lgkmcnt(0)
	s_mov_b32 s26, 0
	s_cbranch_scc0 .LBB29_107
; %bb.102:
	s_min_u32 s27, s54, 15
	s_add_i32 s27, s27, 1
	s_cmp_eq_u32 s54, 2
	s_cbranch_scc1 .LBB29_108
; %bb.103:
	s_and_b32 s26, s27, 28
	s_add_u32 s2, s34, 0xc4
	s_addc_u32 s3, s35, 0
	v_mov_b32_e32 v20, 0
	s_mov_b32 s28, 0
	s_mov_b64 s[24:25], s[34:35]
	v_mov_b32_e32 v18, 0
	v_mov_b32_e32 v4, v1
.LBB29_104:                             ; =>This Inner Loop Header: Depth=1
	s_load_dwordx8 s[12:19], s[24:25], 0x4
	s_load_dwordx4 s[20:23], s[24:25], 0x24
	s_load_dwordx8 s[4:11], s[2:3], 0x0
	s_add_u32 s24, s24, 48
	s_addc_u32 s25, s25, 0
	s_waitcnt lgkmcnt(0)
	v_mul_hi_u32 v7, s13, v4
	s_add_i32 s28, s28, 4
	s_add_u32 s2, s2, 32
	s_addc_u32 s3, s3, 0
	v_add_u32_e32 v7, v4, v7
	v_lshrrev_b32_e32 v7, s14, v7
	v_mul_lo_u32 v10, v7, s12
	v_mul_hi_u32 v13, s16, v7
	s_cmp_lg_u32 s26, s28
	v_sub_u32_e32 v4, v4, v10
	v_add_u32_e32 v10, v7, v13
	v_mul_lo_u32 v13, v4, s4
	v_mul_lo_u32 v16, v4, s5
	v_lshrrev_b32_e32 v4, s17, v10
	v_mul_lo_u32 v10, v4, s15
	v_mul_hi_u32 v19, s19, v4
	v_sub_u32_e32 v7, v7, v10
	v_add_u32_e32 v10, v4, v19
	v_lshrrev_b32_e32 v10, s20, v10
	v_mul_hi_u32 v21, s22, v10
	v_mul_lo_u32 v22, v10, s18
	v_mul_lo_u32 v19, v7, s6
	;; [unrolled: 1-line block ×3, first 2 shown]
	v_sub_u32_e32 v22, v4, v22
	v_add_u32_e32 v4, v10, v21
	v_lshrrev_b32_e32 v4, s23, v4
	v_mul_lo_u32 v21, v4, s21
	v_mul_lo_u32 v23, v22, s8
	v_mul_lo_u32 v22, v22, s9
	v_add3_u32 v13, v13, v18, v19
	v_sub_u32_e32 v10, v10, v21
	v_mul_lo_u32 v21, v10, s10
	v_mul_lo_u32 v10, v10, s11
	v_add3_u32 v7, v16, v20, v7
	v_add3_u32 v18, v23, v13, v21
	v_add3_u32 v20, v22, v7, v10
	s_cbranch_scc1 .LBB29_104
; %bb.105:
	s_and_b32 s6, s27, 3
	s_cmp_eq_u32 s6, 0
	s_cbranch_scc0 .LBB29_109
	s_branch .LBB29_111
.LBB29_106:
                                        ; implicit-def: $vgpr18
                                        ; implicit-def: $vgpr20
	s_branch .LBB29_112
.LBB29_107:
	v_mov_b32_e32 v18, 0
	v_mov_b32_e32 v20, 0
	s_branch .LBB29_111
.LBB29_108:
	v_mov_b32_e32 v18, 0
	v_mov_b32_e32 v20, 0
	;; [unrolled: 1-line block ×3, first 2 shown]
	s_and_b32 s6, s27, 3
	s_cmp_eq_u32 s6, 0
	s_cbranch_scc1 .LBB29_111
.LBB29_109:
	s_lshl_b32 s2, s26, 3
	s_add_u32 s2, s34, s2
	s_addc_u32 s3, s35, 0
	s_add_u32 s2, s2, 0xc4
	s_addc_u32 s3, s3, 0
	s_mul_i32 s4, s26, 12
	s_add_u32 s4, s34, s4
	s_addc_u32 s5, s35, 0
.LBB29_110:                             ; =>This Inner Loop Header: Depth=1
	s_load_dwordx2 s[8:9], s[4:5], 0x4
	s_load_dword s7, s[4:5], 0xc
	s_load_dwordx2 s[10:11], s[2:3], 0x0
	s_add_u32 s4, s4, 12
	s_addc_u32 s5, s5, 0
	s_waitcnt lgkmcnt(0)
	v_mul_hi_u32 v7, s9, v4
	s_add_u32 s2, s2, 8
	s_addc_u32 s3, s3, 0
	s_add_i32 s6, s6, -1
	v_add_u32_e32 v7, v4, v7
	v_lshrrev_b32_e32 v7, s7, v7
	v_mul_lo_u32 v10, v7, s8
	s_cmp_lg_u32 s6, 0
	v_sub_u32_e32 v4, v4, v10
	v_mad_u64_u32 v[18:19], s[8:9], v4, s10, v[18:19]
	v_mad_u64_u32 v[20:21], s[8:9], v4, s11, v[20:21]
	v_mov_b32_e32 v4, v7
	s_cbranch_scc1 .LBB29_110
.LBB29_111:
	s_cbranch_execnz .LBB29_114
.LBB29_112:
	s_load_dwordx4 s[4:7], s[34:35], 0x4
	s_load_dwordx2 s[2:3], s[34:35], 0xc4
	s_cmp_lt_u32 s33, 2
	s_waitcnt lgkmcnt(0)
	v_mul_hi_u32 v4, s5, v1
	v_add_u32_e32 v4, v1, v4
	v_lshrrev_b32_e32 v4, s6, v4
	v_mul_lo_u32 v7, v4, s4
	v_sub_u32_e32 v1, v1, v7
	v_mul_lo_u32 v18, v1, s2
	v_mul_lo_u32 v20, v1, s3
	s_cbranch_scc1 .LBB29_114
; %bb.113:
	s_load_dwordx4 s[4:7], s[34:35], 0x10
	s_load_dwordx2 s[2:3], s[34:35], 0xcc
	s_waitcnt lgkmcnt(0)
	v_mul_hi_u32 v1, s5, v4
	v_add_u32_e32 v1, v4, v1
	v_lshrrev_b32_e32 v1, s6, v1
	v_mul_lo_u32 v1, v1, s4
	v_sub_u32_e32 v1, v4, v1
	v_mad_u64_u32 v[18:19], s[4:5], v1, s2, v[18:19]
	v_mad_u64_u32 v[20:21], s[2:3], v1, s3, v[20:21]
.LBB29_114:
	s_and_b64 vcc, exec, s[0:1]
	s_cbranch_vccnz .LBB29_120
; %bb.115:
	s_cmp_lg_u32 s33, 0
	s_waitcnt lgkmcnt(0)
	s_mov_b32 s24, 0
	s_cbranch_scc0 .LBB29_121
; %bb.116:
	s_min_u32 s25, s54, 15
	s_add_i32 s25, s25, 1
	s_cmp_eq_u32 s54, 2
	s_cbranch_scc1 .LBB29_122
; %bb.117:
	s_and_b32 s24, s25, 28
	s_add_u32 s20, s34, 0xc4
	s_addc_u32 s21, s35, 0
	v_mov_b32_e32 v23, 0
	s_mov_b32 s26, 0
	s_mov_b64 s[22:23], s[34:35]
	v_mov_b32_e32 v21, 0
	v_mov_b32_e32 v1, v25
.LBB29_118:                             ; =>This Inner Loop Header: Depth=1
	s_load_dwordx8 s[8:15], s[22:23], 0x4
	s_load_dwordx4 s[16:19], s[22:23], 0x24
	s_load_dwordx8 s[0:7], s[20:21], 0x0
	s_add_u32 s22, s22, 48
	s_addc_u32 s23, s23, 0
	s_waitcnt lgkmcnt(0)
	v_mul_hi_u32 v4, s9, v1
	s_add_i32 s26, s26, 4
	s_add_u32 s20, s20, 32
	s_addc_u32 s21, s21, 0
	v_add_u32_e32 v4, v1, v4
	v_lshrrev_b32_e32 v4, s10, v4
	v_mul_lo_u32 v7, v4, s8
	v_mul_hi_u32 v10, s12, v4
	s_cmp_lg_u32 s24, s26
	v_sub_u32_e32 v1, v1, v7
	v_add_u32_e32 v7, v4, v10
	v_mul_lo_u32 v10, v1, s0
	v_mul_lo_u32 v13, v1, s1
	v_lshrrev_b32_e32 v1, s13, v7
	v_mul_lo_u32 v7, v1, s11
	v_mul_hi_u32 v16, s15, v1
	v_sub_u32_e32 v4, v4, v7
	v_add_u32_e32 v7, v1, v16
	v_lshrrev_b32_e32 v7, s16, v7
	v_mul_hi_u32 v19, s18, v7
	v_mul_lo_u32 v22, v7, s14
	v_mul_lo_u32 v16, v4, s2
	;; [unrolled: 1-line block ×3, first 2 shown]
	v_sub_u32_e32 v22, v1, v22
	v_add_u32_e32 v1, v7, v19
	v_lshrrev_b32_e32 v1, s19, v1
	v_mul_lo_u32 v19, v1, s17
	v_mul_lo_u32 v24, v22, s4
	;; [unrolled: 1-line block ×3, first 2 shown]
	v_add3_u32 v10, v10, v21, v16
	v_sub_u32_e32 v7, v7, v19
	v_mul_lo_u32 v19, v7, s6
	v_mul_lo_u32 v7, v7, s7
	v_add3_u32 v4, v13, v23, v4
	v_add3_u32 v21, v24, v10, v19
	;; [unrolled: 1-line block ×3, first 2 shown]
	s_cbranch_scc1 .LBB29_118
; %bb.119:
	s_and_b32 s4, s25, 3
	s_cmp_eq_u32 s4, 0
	s_cbranch_scc0 .LBB29_123
	s_branch .LBB29_125
.LBB29_120:
                                        ; implicit-def: $vgpr21
                                        ; implicit-def: $vgpr23
	s_branch .LBB29_126
.LBB29_121:
	v_mov_b32_e32 v21, 0
	v_mov_b32_e32 v23, 0
	s_branch .LBB29_125
.LBB29_122:
	v_mov_b32_e32 v21, 0
	v_mov_b32_e32 v23, 0
	v_mov_b32_e32 v1, v25
	s_and_b32 s4, s25, 3
	s_cmp_eq_u32 s4, 0
	s_cbranch_scc1 .LBB29_125
.LBB29_123:
	s_lshl_b32 s0, s24, 3
	s_add_u32 s0, s34, s0
	s_addc_u32 s1, s35, 0
	s_add_u32 s0, s0, 0xc4
	s_addc_u32 s1, s1, 0
	s_mul_i32 s2, s24, 12
	s_add_u32 s2, s34, s2
	s_addc_u32 s3, s35, 0
.LBB29_124:                             ; =>This Inner Loop Header: Depth=1
	s_load_dwordx2 s[6:7], s[2:3], 0x4
	s_load_dword s5, s[2:3], 0xc
	s_load_dwordx2 s[8:9], s[0:1], 0x0
	s_add_u32 s2, s2, 12
	s_addc_u32 s3, s3, 0
	s_waitcnt lgkmcnt(0)
	v_mul_hi_u32 v4, s7, v1
	s_add_u32 s0, s0, 8
	s_addc_u32 s1, s1, 0
	s_add_i32 s4, s4, -1
	v_add_u32_e32 v4, v1, v4
	v_lshrrev_b32_e32 v4, s5, v4
	v_mul_lo_u32 v7, v4, s6
	s_cmp_lg_u32 s4, 0
	v_sub_u32_e32 v1, v1, v7
	v_mad_u64_u32 v[21:22], s[6:7], v1, s8, v[21:22]
	v_mad_u64_u32 v[23:24], s[6:7], v1, s9, v[23:24]
	v_mov_b32_e32 v1, v4
	s_cbranch_scc1 .LBB29_124
.LBB29_125:
	s_cbranch_execnz .LBB29_128
.LBB29_126:
	s_load_dwordx4 s[0:3], s[34:35], 0x4
	s_load_dwordx2 s[4:5], s[34:35], 0xc4
	s_cmp_lt_u32 s33, 2
	s_waitcnt lgkmcnt(0)
	v_mul_hi_u32 v1, s1, v25
	v_add_u32_e32 v1, v25, v1
	v_lshrrev_b32_e32 v1, s2, v1
	v_mul_lo_u32 v4, v1, s0
	v_sub_u32_e32 v4, v25, v4
	v_mul_lo_u32 v21, v4, s4
	v_mul_lo_u32 v23, v4, s5
	s_cbranch_scc1 .LBB29_128
; %bb.127:
	s_load_dwordx4 s[0:3], s[34:35], 0x10
	s_load_dwordx2 s[4:5], s[34:35], 0xcc
	s_waitcnt lgkmcnt(0)
	v_mul_hi_u32 v4, s1, v1
	v_add_u32_e32 v4, v1, v4
	v_lshrrev_b32_e32 v4, s2, v4
	v_mul_lo_u32 v4, v4, s0
	v_sub_u32_e32 v1, v1, v4
	v_mad_u64_u32 v[21:22], s[0:1], v1, s4, v[21:22]
	v_mad_u64_u32 v[23:24], s[0:1], v1, s5, v[23:24]
.LBB29_128:
	s_load_dwordx4 s[36:39], s[34:35], 0x148
	s_load_dword s0, s[34:35], 0x158
	s_waitcnt lgkmcnt(0)
	global_load_ushort v1, v2, s[38:39]
	global_load_ushort v4, v5, s[38:39]
	;; [unrolled: 1-line block ×8, first 2 shown]
	s_lshl_b32 s28, s0, 16
	s_xor_b32 s0, s28, 0x80000000
	s_bfe_u32 s1, s0, 0x10010
	s_add_i32 s0, s0, s1
	s_addk_i32 s0, 0x7fff
	s_and_b32 s0, s0, 0xffff0000
	v_mov_b32_e32 v2, 0x7fc00000
	v_mov_b32_e32 v5, s0
	v_cmp_o_f32_e64 vcc, s28, s28
	v_cndmask_b32_e32 v2, v2, v5, vcc
	s_waitcnt vmcnt(7)
	v_lshlrev_b32_e32 v5, 16, v1
	v_cmp_nle_f32_e32 vcc, v2, v5
	v_cmp_nge_f32_e64 s[0:1], s28, v5
	s_waitcnt vmcnt(6)
	v_lshlrev_b32_e32 v5, 16, v4
	v_cmp_nle_f32_e64 s[2:3], v2, v5
	v_cmp_nge_f32_e64 s[4:5], s28, v5
	s_waitcnt vmcnt(5)
	v_lshlrev_b32_e32 v5, 16, v7
	v_cmp_nle_f32_e64 s[6:7], v2, v5
	;; [unrolled: 4-line block ×5, first 2 shown]
	v_cmp_nge_f32_e64 s[20:21], s28, v5
	s_waitcnt vmcnt(1)
	v_lshlrev_b32_e32 v5, 16, v19
	s_or_b64 vcc, s[0:1], vcc
	v_cmp_nle_f32_e64 s[22:23], v2, v5
	v_cmp_nge_f32_e64 s[24:25], s28, v5
	s_waitcnt vmcnt(0)
	v_lshlrev_b32_e32 v5, 16, v22
	v_cndmask_b32_e32 v1, 0, v1, vcc
	s_or_b64 vcc, s[4:5], s[2:3]
	v_cmp_nle_f32_e64 s[26:27], v2, v5
	v_cndmask_b32_e32 v2, 0, v4, vcc
	s_or_b64 vcc, s[8:9], s[6:7]
	v_cndmask_b32_e32 v4, 0, v7, vcc
	s_or_b64 vcc, s[12:13], s[10:11]
	v_cmp_nge_f32_e64 s[28:29], s28, v5
	v_cndmask_b32_e32 v5, 0, v10, vcc
	s_or_b64 vcc, s[16:17], s[14:15]
	v_cndmask_b32_e32 v7, 0, v13, vcc
	s_or_b64 vcc, s[20:21], s[18:19]
	;; [unrolled: 2-line block ×4, first 2 shown]
	v_cndmask_b32_e32 v11, 0, v22, vcc
	global_store_short v0, v1, s[36:37]
	global_store_short v3, v2, s[36:37]
	;; [unrolled: 1-line block ×8, first 2 shown]
	s_endpgm
.LBB29_129:
	v_mov_b32_e32 v0, 0
	v_mov_b32_e32 v2, 0
	s_branch .LBB29_135
.LBB29_130:
	v_mov_b32_e32 v0, 0
	v_mov_b32_e32 v2, 0
	s_branch .LBB29_151
.LBB29_131:
	s_mov_b32 s58, 0
	v_mov_b32_e32 v0, 0
	v_mov_b32_e32 v2, 0
	;; [unrolled: 1-line block ×3, first 2 shown]
.LBB29_132:
	s_and_b32 s4, s59, 3
	s_cmp_eq_u32 s4, 0
	s_cbranch_scc1 .LBB29_135
; %bb.133:
	s_lshl_b32 s0, s58, 3
	s_add_u32 s0, s34, s0
	s_addc_u32 s1, s35, 0
	s_add_u32 s0, s0, 0xc4
	s_addc_u32 s1, s1, 0
	s_mul_i32 s2, s58, 12
	s_add_u32 s2, s34, s2
	s_addc_u32 s3, s35, 0
.LBB29_134:                             ; =>This Inner Loop Header: Depth=1
	s_load_dwordx2 s[6:7], s[2:3], 0x4
	s_load_dword s5, s[2:3], 0xc
	s_load_dwordx2 s[8:9], s[0:1], 0x0
	s_add_u32 s2, s2, 12
	s_addc_u32 s3, s3, 0
	s_waitcnt lgkmcnt(0)
	v_mul_hi_u32 v3, s7, v1
	s_add_u32 s0, s0, 8
	s_addc_u32 s1, s1, 0
	s_add_i32 s4, s4, -1
	v_add_u32_e32 v3, v1, v3
	v_lshrrev_b32_e32 v5, s5, v3
	v_mul_lo_u32 v3, v5, s6
	s_cmp_lg_u32 s4, 0
	v_sub_u32_e32 v3, v1, v3
	v_mad_u64_u32 v[0:1], s[6:7], v3, s8, v[0:1]
	v_mad_u64_u32 v[2:3], s[6:7], v3, s9, v[2:3]
	v_mov_b32_e32 v1, v5
	s_cbranch_scc1 .LBB29_134
.LBB29_135:
	s_cbranch_execnz .LBB29_138
.LBB29_136:
	v_mul_hi_u32 v0, s21, v19
	s_andn2_b64 vcc, exec, s[42:43]
	v_add_u32_e32 v0, v19, v0
	v_lshrrev_b32_e32 v1, s22, v0
	v_mul_lo_u32 v0, v1, s20
	v_sub_u32_e32 v2, v19, v0
	s_waitcnt lgkmcnt(0)
	v_mul_lo_u32 v0, v2, s24
	v_mul_lo_u32 v2, v2, s25
	s_cbranch_vccnz .LBB29_138
; %bb.137:
	v_mul_hi_u32 v3, s40, v1
	v_add_u32_e32 v3, v1, v3
	v_lshrrev_b32_e32 v3, s41, v3
	v_mul_lo_u32 v3, v3, s23
	v_sub_u32_e32 v3, v1, v3
	v_mad_u64_u32 v[0:1], s[0:1], v3, s26, v[0:1]
	v_mad_u64_u32 v[2:3], s[0:1], v3, s27, v[2:3]
.LBB29_138:
	s_waitcnt lgkmcnt(0)
	global_load_ushort v1, v2, s[18:19]
	v_add_u32_e32 v19, 0x80, v19
	s_waitcnt vmcnt(0)
	v_lshlrev_b32_e32 v2, 16, v1
	v_cmp_nle_f32_e32 vcc, v4, v2
	v_cmp_nge_f32_e64 s[0:1], s55, v2
	s_or_b64 vcc, s[0:1], vcc
	v_cndmask_b32_e32 v1, 0, v1, vcc
	global_store_short v0, v1, s[16:17]
	s_or_b64 exec, exec, s[48:49]
	v_cmp_gt_i32_e32 vcc, s56, v19
	s_and_saveexec_b64 s[48:49], vcc
	s_cbranch_execnz .LBB29_15
.LBB29_139:
	s_or_b64 exec, exec, s[48:49]
	v_cmp_gt_i32_e32 vcc, s56, v19
	s_and_saveexec_b64 s[48:49], vcc
	s_cbranch_execz .LBB29_155
.LBB29_140:
	s_andn2_b64 vcc, exec, s[36:37]
	s_cbranch_vccnz .LBB29_145
; %bb.141:
	s_andn2_b64 vcc, exec, s[46:47]
	s_cbranch_vccnz .LBB29_146
; %bb.142:
	s_add_i32 s59, s57, 1
	s_cmp_eq_u32 s54, 2
	s_cbranch_scc1 .LBB29_163
; %bb.143:
	s_and_b32 s58, s59, 28
	v_mov_b32_e32 v2, 0
	s_mov_b32 s60, 0
	s_mov_b64 s[50:51], s[34:35]
	s_mov_b64 s[52:53], s[44:45]
	v_mov_b32_e32 v0, 0
	v_mov_b32_e32 v1, v19
.LBB29_144:                             ; =>This Inner Loop Header: Depth=1
	s_load_dwordx8 s[8:15], s[50:51], 0x4
	s_load_dwordx4 s[28:31], s[50:51], 0x24
	s_load_dwordx8 s[0:7], s[52:53], 0x0
	s_add_u32 s50, s50, 48
	s_addc_u32 s51, s51, 0
	s_waitcnt lgkmcnt(0)
	v_mul_hi_u32 v3, s9, v1
	s_add_i32 s60, s60, 4
	s_add_u32 s52, s52, 32
	s_addc_u32 s53, s53, 0
	v_add_u32_e32 v3, v1, v3
	v_lshrrev_b32_e32 v3, s10, v3
	v_mul_lo_u32 v5, v3, s8
	v_mul_hi_u32 v6, s12, v3
	s_cmp_eq_u32 s58, s60
	v_sub_u32_e32 v1, v1, v5
	v_add_u32_e32 v5, v3, v6
	v_mul_lo_u32 v6, v1, s0
	v_mul_lo_u32 v7, v1, s1
	v_lshrrev_b32_e32 v1, s13, v5
	v_mul_lo_u32 v5, v1, s11
	v_mul_hi_u32 v8, s15, v1
	v_sub_u32_e32 v3, v3, v5
	v_add_u32_e32 v5, v1, v8
	v_lshrrev_b32_e32 v5, s28, v5
	v_mul_hi_u32 v9, s30, v5
	v_mul_lo_u32 v10, v5, s14
	v_mul_lo_u32 v8, v3, s2
	;; [unrolled: 1-line block ×3, first 2 shown]
	v_sub_u32_e32 v10, v1, v10
	v_add_u32_e32 v1, v5, v9
	v_lshrrev_b32_e32 v1, s31, v1
	v_mul_lo_u32 v9, v1, s29
	v_mul_lo_u32 v11, v10, s4
	;; [unrolled: 1-line block ×3, first 2 shown]
	v_add3_u32 v0, v6, v0, v8
	v_sub_u32_e32 v5, v5, v9
	v_mul_lo_u32 v9, v5, s6
	v_mul_lo_u32 v5, v5, s7
	v_add3_u32 v2, v7, v2, v3
	v_add3_u32 v0, v11, v0, v9
	;; [unrolled: 1-line block ×3, first 2 shown]
	s_cbranch_scc0 .LBB29_144
	s_branch .LBB29_164
.LBB29_145:
                                        ; implicit-def: $vgpr0
                                        ; implicit-def: $vgpr2
	s_branch .LBB29_168
.LBB29_146:
	v_mov_b32_e32 v0, 0
	v_mov_b32_e32 v2, 0
	s_branch .LBB29_167
.LBB29_147:
	s_mov_b32 s58, 0
	v_mov_b32_e32 v0, 0
	v_mov_b32_e32 v2, 0
	;; [unrolled: 1-line block ×3, first 2 shown]
.LBB29_148:
	s_and_b32 s4, s59, 3
	s_cmp_eq_u32 s4, 0
	s_cbranch_scc1 .LBB29_151
; %bb.149:
	s_lshl_b32 s0, s58, 3
	s_add_u32 s0, s34, s0
	s_addc_u32 s1, s35, 0
	s_add_u32 s0, s0, 0xc4
	s_addc_u32 s1, s1, 0
	s_mul_i32 s2, s58, 12
	s_add_u32 s2, s34, s2
	s_addc_u32 s3, s35, 0
.LBB29_150:                             ; =>This Inner Loop Header: Depth=1
	s_load_dwordx2 s[6:7], s[2:3], 0x4
	s_load_dword s5, s[2:3], 0xc
	s_load_dwordx2 s[8:9], s[0:1], 0x0
	s_add_u32 s2, s2, 12
	s_addc_u32 s3, s3, 0
	s_waitcnt lgkmcnt(0)
	v_mul_hi_u32 v3, s7, v1
	s_add_u32 s0, s0, 8
	s_addc_u32 s1, s1, 0
	s_add_i32 s4, s4, -1
	v_add_u32_e32 v3, v1, v3
	v_lshrrev_b32_e32 v5, s5, v3
	v_mul_lo_u32 v3, v5, s6
	s_cmp_lg_u32 s4, 0
	v_sub_u32_e32 v3, v1, v3
	v_mad_u64_u32 v[0:1], s[6:7], v3, s8, v[0:1]
	v_mad_u64_u32 v[2:3], s[6:7], v3, s9, v[2:3]
	v_mov_b32_e32 v1, v5
	s_cbranch_scc1 .LBB29_150
.LBB29_151:
	s_cbranch_execnz .LBB29_154
.LBB29_152:
	v_mul_hi_u32 v0, s21, v19
	s_andn2_b64 vcc, exec, s[42:43]
	v_add_u32_e32 v0, v19, v0
	v_lshrrev_b32_e32 v1, s22, v0
	v_mul_lo_u32 v0, v1, s20
	v_sub_u32_e32 v2, v19, v0
	s_waitcnt lgkmcnt(0)
	v_mul_lo_u32 v0, v2, s24
	v_mul_lo_u32 v2, v2, s25
	s_cbranch_vccnz .LBB29_154
; %bb.153:
	v_mul_hi_u32 v3, s40, v1
	v_add_u32_e32 v3, v1, v3
	v_lshrrev_b32_e32 v3, s41, v3
	v_mul_lo_u32 v3, v3, s23
	v_sub_u32_e32 v3, v1, v3
	v_mad_u64_u32 v[0:1], s[0:1], v3, s26, v[0:1]
	v_mad_u64_u32 v[2:3], s[0:1], v3, s27, v[2:3]
.LBB29_154:
	s_waitcnt lgkmcnt(0)
	global_load_ushort v1, v2, s[18:19]
	v_add_u32_e32 v19, 0x80, v19
	s_waitcnt vmcnt(0)
	v_lshlrev_b32_e32 v2, 16, v1
	v_cmp_nle_f32_e32 vcc, v4, v2
	v_cmp_nge_f32_e64 s[0:1], s55, v2
	s_or_b64 vcc, s[0:1], vcc
	v_cndmask_b32_e32 v1, 0, v1, vcc
	global_store_short v0, v1, s[16:17]
	s_or_b64 exec, exec, s[48:49]
	v_cmp_gt_i32_e32 vcc, s56, v19
	s_and_saveexec_b64 s[48:49], vcc
	s_cbranch_execnz .LBB29_140
.LBB29_155:
	s_or_b64 exec, exec, s[48:49]
	v_cmp_gt_i32_e32 vcc, s56, v19
	s_and_saveexec_b64 s[48:49], vcc
	s_cbranch_execz .LBB29_171
.LBB29_156:
	s_andn2_b64 vcc, exec, s[36:37]
	s_cbranch_vccnz .LBB29_161
; %bb.157:
	s_andn2_b64 vcc, exec, s[46:47]
	s_cbranch_vccnz .LBB29_162
; %bb.158:
	s_add_i32 s59, s57, 1
	s_cmp_eq_u32 s54, 2
	s_cbranch_scc1 .LBB29_179
; %bb.159:
	s_and_b32 s58, s59, 28
	v_mov_b32_e32 v2, 0
	s_mov_b32 s60, 0
	s_mov_b64 s[50:51], s[34:35]
	s_mov_b64 s[52:53], s[44:45]
	v_mov_b32_e32 v0, 0
	v_mov_b32_e32 v1, v19
.LBB29_160:                             ; =>This Inner Loop Header: Depth=1
	s_load_dwordx8 s[8:15], s[50:51], 0x4
	s_load_dwordx4 s[28:31], s[50:51], 0x24
	s_load_dwordx8 s[0:7], s[52:53], 0x0
	s_add_u32 s50, s50, 48
	s_addc_u32 s51, s51, 0
	s_waitcnt lgkmcnt(0)
	v_mul_hi_u32 v3, s9, v1
	s_add_i32 s60, s60, 4
	s_add_u32 s52, s52, 32
	s_addc_u32 s53, s53, 0
	v_add_u32_e32 v3, v1, v3
	v_lshrrev_b32_e32 v3, s10, v3
	v_mul_lo_u32 v5, v3, s8
	v_mul_hi_u32 v6, s12, v3
	s_cmp_eq_u32 s58, s60
	v_sub_u32_e32 v1, v1, v5
	v_add_u32_e32 v5, v3, v6
	v_mul_lo_u32 v6, v1, s0
	v_mul_lo_u32 v7, v1, s1
	v_lshrrev_b32_e32 v1, s13, v5
	v_mul_lo_u32 v5, v1, s11
	v_mul_hi_u32 v8, s15, v1
	v_sub_u32_e32 v3, v3, v5
	v_add_u32_e32 v5, v1, v8
	v_lshrrev_b32_e32 v5, s28, v5
	v_mul_hi_u32 v9, s30, v5
	v_mul_lo_u32 v10, v5, s14
	v_mul_lo_u32 v8, v3, s2
	v_mul_lo_u32 v3, v3, s3
	v_sub_u32_e32 v10, v1, v10
	v_add_u32_e32 v1, v5, v9
	v_lshrrev_b32_e32 v1, s31, v1
	v_mul_lo_u32 v9, v1, s29
	v_mul_lo_u32 v11, v10, s4
	v_mul_lo_u32 v10, v10, s5
	v_add3_u32 v0, v6, v0, v8
	v_sub_u32_e32 v5, v5, v9
	v_mul_lo_u32 v9, v5, s6
	v_mul_lo_u32 v5, v5, s7
	v_add3_u32 v2, v7, v2, v3
	v_add3_u32 v0, v11, v0, v9
	;; [unrolled: 1-line block ×3, first 2 shown]
	s_cbranch_scc0 .LBB29_160
	s_branch .LBB29_180
.LBB29_161:
                                        ; implicit-def: $vgpr0
                                        ; implicit-def: $vgpr2
	s_branch .LBB29_184
.LBB29_162:
	v_mov_b32_e32 v0, 0
	v_mov_b32_e32 v2, 0
	s_branch .LBB29_183
.LBB29_163:
	s_mov_b32 s58, 0
	v_mov_b32_e32 v0, 0
	v_mov_b32_e32 v2, 0
	;; [unrolled: 1-line block ×3, first 2 shown]
.LBB29_164:
	s_and_b32 s4, s59, 3
	s_cmp_eq_u32 s4, 0
	s_cbranch_scc1 .LBB29_167
; %bb.165:
	s_lshl_b32 s0, s58, 3
	s_add_u32 s0, s34, s0
	s_addc_u32 s1, s35, 0
	s_add_u32 s0, s0, 0xc4
	s_addc_u32 s1, s1, 0
	s_mul_i32 s2, s58, 12
	s_add_u32 s2, s34, s2
	s_addc_u32 s3, s35, 0
.LBB29_166:                             ; =>This Inner Loop Header: Depth=1
	s_load_dwordx2 s[6:7], s[2:3], 0x4
	s_load_dword s5, s[2:3], 0xc
	s_load_dwordx2 s[8:9], s[0:1], 0x0
	s_add_u32 s2, s2, 12
	s_addc_u32 s3, s3, 0
	s_waitcnt lgkmcnt(0)
	v_mul_hi_u32 v3, s7, v1
	s_add_u32 s0, s0, 8
	s_addc_u32 s1, s1, 0
	s_add_i32 s4, s4, -1
	v_add_u32_e32 v3, v1, v3
	v_lshrrev_b32_e32 v5, s5, v3
	v_mul_lo_u32 v3, v5, s6
	s_cmp_lg_u32 s4, 0
	v_sub_u32_e32 v3, v1, v3
	v_mad_u64_u32 v[0:1], s[6:7], v3, s8, v[0:1]
	v_mad_u64_u32 v[2:3], s[6:7], v3, s9, v[2:3]
	v_mov_b32_e32 v1, v5
	s_cbranch_scc1 .LBB29_166
.LBB29_167:
	s_cbranch_execnz .LBB29_170
.LBB29_168:
	v_mul_hi_u32 v0, s21, v19
	s_andn2_b64 vcc, exec, s[42:43]
	v_add_u32_e32 v0, v19, v0
	v_lshrrev_b32_e32 v1, s22, v0
	v_mul_lo_u32 v0, v1, s20
	v_sub_u32_e32 v2, v19, v0
	s_waitcnt lgkmcnt(0)
	v_mul_lo_u32 v0, v2, s24
	v_mul_lo_u32 v2, v2, s25
	s_cbranch_vccnz .LBB29_170
; %bb.169:
	v_mul_hi_u32 v3, s40, v1
	v_add_u32_e32 v3, v1, v3
	v_lshrrev_b32_e32 v3, s41, v3
	v_mul_lo_u32 v3, v3, s23
	v_sub_u32_e32 v3, v1, v3
	v_mad_u64_u32 v[0:1], s[0:1], v3, s26, v[0:1]
	v_mad_u64_u32 v[2:3], s[0:1], v3, s27, v[2:3]
.LBB29_170:
	s_waitcnt lgkmcnt(0)
	global_load_ushort v1, v2, s[18:19]
	v_add_u32_e32 v19, 0x80, v19
	s_waitcnt vmcnt(0)
	v_lshlrev_b32_e32 v2, 16, v1
	v_cmp_nle_f32_e32 vcc, v4, v2
	v_cmp_nge_f32_e64 s[0:1], s55, v2
	s_or_b64 vcc, s[0:1], vcc
	v_cndmask_b32_e32 v1, 0, v1, vcc
	global_store_short v0, v1, s[16:17]
	s_or_b64 exec, exec, s[48:49]
	v_cmp_gt_i32_e32 vcc, s56, v19
	s_and_saveexec_b64 s[48:49], vcc
	s_cbranch_execnz .LBB29_156
.LBB29_171:
	s_or_b64 exec, exec, s[48:49]
	v_cmp_gt_i32_e32 vcc, s56, v19
	s_and_saveexec_b64 s[48:49], vcc
	s_cbranch_execz .LBB29_187
.LBB29_172:
	s_andn2_b64 vcc, exec, s[36:37]
	s_cbranch_vccnz .LBB29_177
; %bb.173:
	s_andn2_b64 vcc, exec, s[46:47]
	s_cbranch_vccnz .LBB29_178
; %bb.174:
	s_add_i32 s59, s57, 1
	s_cmp_eq_u32 s54, 2
	s_cbranch_scc1 .LBB29_195
; %bb.175:
	s_and_b32 s58, s59, 28
	v_mov_b32_e32 v2, 0
	s_mov_b32 s60, 0
	s_mov_b64 s[50:51], s[34:35]
	s_mov_b64 s[52:53], s[44:45]
	v_mov_b32_e32 v0, 0
	v_mov_b32_e32 v1, v19
.LBB29_176:                             ; =>This Inner Loop Header: Depth=1
	s_load_dwordx8 s[8:15], s[50:51], 0x4
	s_load_dwordx4 s[28:31], s[50:51], 0x24
	s_load_dwordx8 s[0:7], s[52:53], 0x0
	s_add_u32 s50, s50, 48
	s_addc_u32 s51, s51, 0
	s_waitcnt lgkmcnt(0)
	v_mul_hi_u32 v3, s9, v1
	s_add_i32 s60, s60, 4
	s_add_u32 s52, s52, 32
	s_addc_u32 s53, s53, 0
	v_add_u32_e32 v3, v1, v3
	v_lshrrev_b32_e32 v3, s10, v3
	v_mul_lo_u32 v5, v3, s8
	v_mul_hi_u32 v6, s12, v3
	s_cmp_eq_u32 s58, s60
	v_sub_u32_e32 v1, v1, v5
	v_add_u32_e32 v5, v3, v6
	v_mul_lo_u32 v6, v1, s0
	v_mul_lo_u32 v7, v1, s1
	v_lshrrev_b32_e32 v1, s13, v5
	v_mul_lo_u32 v5, v1, s11
	v_mul_hi_u32 v8, s15, v1
	v_sub_u32_e32 v3, v3, v5
	v_add_u32_e32 v5, v1, v8
	v_lshrrev_b32_e32 v5, s28, v5
	v_mul_hi_u32 v9, s30, v5
	v_mul_lo_u32 v10, v5, s14
	v_mul_lo_u32 v8, v3, s2
	;; [unrolled: 1-line block ×3, first 2 shown]
	v_sub_u32_e32 v10, v1, v10
	v_add_u32_e32 v1, v5, v9
	v_lshrrev_b32_e32 v1, s31, v1
	v_mul_lo_u32 v9, v1, s29
	v_mul_lo_u32 v11, v10, s4
	;; [unrolled: 1-line block ×3, first 2 shown]
	v_add3_u32 v0, v6, v0, v8
	v_sub_u32_e32 v5, v5, v9
	v_mul_lo_u32 v9, v5, s6
	v_mul_lo_u32 v5, v5, s7
	v_add3_u32 v2, v7, v2, v3
	v_add3_u32 v0, v11, v0, v9
	;; [unrolled: 1-line block ×3, first 2 shown]
	s_cbranch_scc0 .LBB29_176
	s_branch .LBB29_196
.LBB29_177:
                                        ; implicit-def: $vgpr0
                                        ; implicit-def: $vgpr2
	s_branch .LBB29_200
.LBB29_178:
	v_mov_b32_e32 v0, 0
	v_mov_b32_e32 v2, 0
	s_branch .LBB29_199
.LBB29_179:
	s_mov_b32 s58, 0
	v_mov_b32_e32 v0, 0
	v_mov_b32_e32 v2, 0
	;; [unrolled: 1-line block ×3, first 2 shown]
.LBB29_180:
	s_and_b32 s4, s59, 3
	s_cmp_eq_u32 s4, 0
	s_cbranch_scc1 .LBB29_183
; %bb.181:
	s_lshl_b32 s0, s58, 3
	s_add_u32 s0, s34, s0
	s_addc_u32 s1, s35, 0
	s_add_u32 s0, s0, 0xc4
	s_addc_u32 s1, s1, 0
	s_mul_i32 s2, s58, 12
	s_add_u32 s2, s34, s2
	s_addc_u32 s3, s35, 0
.LBB29_182:                             ; =>This Inner Loop Header: Depth=1
	s_load_dwordx2 s[6:7], s[2:3], 0x4
	s_load_dword s5, s[2:3], 0xc
	s_load_dwordx2 s[8:9], s[0:1], 0x0
	s_add_u32 s2, s2, 12
	s_addc_u32 s3, s3, 0
	s_waitcnt lgkmcnt(0)
	v_mul_hi_u32 v3, s7, v1
	s_add_u32 s0, s0, 8
	s_addc_u32 s1, s1, 0
	s_add_i32 s4, s4, -1
	v_add_u32_e32 v3, v1, v3
	v_lshrrev_b32_e32 v5, s5, v3
	v_mul_lo_u32 v3, v5, s6
	s_cmp_lg_u32 s4, 0
	v_sub_u32_e32 v3, v1, v3
	v_mad_u64_u32 v[0:1], s[6:7], v3, s8, v[0:1]
	v_mad_u64_u32 v[2:3], s[6:7], v3, s9, v[2:3]
	v_mov_b32_e32 v1, v5
	s_cbranch_scc1 .LBB29_182
.LBB29_183:
	s_cbranch_execnz .LBB29_186
.LBB29_184:
	v_mul_hi_u32 v0, s21, v19
	s_andn2_b64 vcc, exec, s[42:43]
	v_add_u32_e32 v0, v19, v0
	v_lshrrev_b32_e32 v1, s22, v0
	v_mul_lo_u32 v0, v1, s20
	v_sub_u32_e32 v2, v19, v0
	s_waitcnt lgkmcnt(0)
	v_mul_lo_u32 v0, v2, s24
	v_mul_lo_u32 v2, v2, s25
	s_cbranch_vccnz .LBB29_186
; %bb.185:
	v_mul_hi_u32 v3, s40, v1
	v_add_u32_e32 v3, v1, v3
	v_lshrrev_b32_e32 v3, s41, v3
	v_mul_lo_u32 v3, v3, s23
	v_sub_u32_e32 v3, v1, v3
	v_mad_u64_u32 v[0:1], s[0:1], v3, s26, v[0:1]
	v_mad_u64_u32 v[2:3], s[0:1], v3, s27, v[2:3]
.LBB29_186:
	s_waitcnt lgkmcnt(0)
	global_load_ushort v1, v2, s[18:19]
	v_add_u32_e32 v19, 0x80, v19
	s_waitcnt vmcnt(0)
	v_lshlrev_b32_e32 v2, 16, v1
	v_cmp_nle_f32_e32 vcc, v4, v2
	v_cmp_nge_f32_e64 s[0:1], s55, v2
	s_or_b64 vcc, s[0:1], vcc
	v_cndmask_b32_e32 v1, 0, v1, vcc
	global_store_short v0, v1, s[16:17]
	s_or_b64 exec, exec, s[48:49]
	v_cmp_gt_i32_e32 vcc, s56, v19
	s_and_saveexec_b64 s[48:49], vcc
	s_cbranch_execnz .LBB29_172
.LBB29_187:
	s_or_b64 exec, exec, s[48:49]
	v_cmp_gt_i32_e32 vcc, s56, v19
	s_and_saveexec_b64 s[48:49], vcc
	s_cbranch_execz .LBB29_203
.LBB29_188:
	s_andn2_b64 vcc, exec, s[36:37]
	s_cbranch_vccnz .LBB29_193
; %bb.189:
	s_andn2_b64 vcc, exec, s[46:47]
	s_cbranch_vccnz .LBB29_194
; %bb.190:
	s_add_i32 s59, s57, 1
	s_cmp_eq_u32 s54, 2
	s_cbranch_scc1 .LBB29_211
; %bb.191:
	s_and_b32 s58, s59, 28
	v_mov_b32_e32 v2, 0
	s_mov_b32 s60, 0
	s_mov_b64 s[50:51], s[34:35]
	s_mov_b64 s[52:53], s[44:45]
	v_mov_b32_e32 v0, 0
	v_mov_b32_e32 v1, v19
.LBB29_192:                             ; =>This Inner Loop Header: Depth=1
	s_load_dwordx8 s[8:15], s[50:51], 0x4
	s_load_dwordx4 s[28:31], s[50:51], 0x24
	s_load_dwordx8 s[0:7], s[52:53], 0x0
	s_add_u32 s50, s50, 48
	s_addc_u32 s51, s51, 0
	s_waitcnt lgkmcnt(0)
	v_mul_hi_u32 v3, s9, v1
	s_add_i32 s60, s60, 4
	s_add_u32 s52, s52, 32
	s_addc_u32 s53, s53, 0
	v_add_u32_e32 v3, v1, v3
	v_lshrrev_b32_e32 v3, s10, v3
	v_mul_lo_u32 v5, v3, s8
	v_mul_hi_u32 v6, s12, v3
	s_cmp_eq_u32 s58, s60
	v_sub_u32_e32 v1, v1, v5
	v_add_u32_e32 v5, v3, v6
	v_mul_lo_u32 v6, v1, s0
	v_mul_lo_u32 v7, v1, s1
	v_lshrrev_b32_e32 v1, s13, v5
	v_mul_lo_u32 v5, v1, s11
	v_mul_hi_u32 v8, s15, v1
	v_sub_u32_e32 v3, v3, v5
	v_add_u32_e32 v5, v1, v8
	v_lshrrev_b32_e32 v5, s28, v5
	v_mul_hi_u32 v9, s30, v5
	v_mul_lo_u32 v10, v5, s14
	v_mul_lo_u32 v8, v3, s2
	v_mul_lo_u32 v3, v3, s3
	v_sub_u32_e32 v10, v1, v10
	v_add_u32_e32 v1, v5, v9
	v_lshrrev_b32_e32 v1, s31, v1
	v_mul_lo_u32 v9, v1, s29
	v_mul_lo_u32 v11, v10, s4
	;; [unrolled: 1-line block ×3, first 2 shown]
	v_add3_u32 v0, v6, v0, v8
	v_sub_u32_e32 v5, v5, v9
	v_mul_lo_u32 v9, v5, s6
	v_mul_lo_u32 v5, v5, s7
	v_add3_u32 v2, v7, v2, v3
	v_add3_u32 v0, v11, v0, v9
	;; [unrolled: 1-line block ×3, first 2 shown]
	s_cbranch_scc0 .LBB29_192
	s_branch .LBB29_212
.LBB29_193:
                                        ; implicit-def: $vgpr0
                                        ; implicit-def: $vgpr2
	s_branch .LBB29_216
.LBB29_194:
	v_mov_b32_e32 v0, 0
	v_mov_b32_e32 v2, 0
	s_branch .LBB29_215
.LBB29_195:
	s_mov_b32 s58, 0
	v_mov_b32_e32 v0, 0
	v_mov_b32_e32 v2, 0
	;; [unrolled: 1-line block ×3, first 2 shown]
.LBB29_196:
	s_and_b32 s4, s59, 3
	s_cmp_eq_u32 s4, 0
	s_cbranch_scc1 .LBB29_199
; %bb.197:
	s_lshl_b32 s0, s58, 3
	s_add_u32 s0, s34, s0
	s_addc_u32 s1, s35, 0
	s_add_u32 s0, s0, 0xc4
	s_addc_u32 s1, s1, 0
	s_mul_i32 s2, s58, 12
	s_add_u32 s2, s34, s2
	s_addc_u32 s3, s35, 0
.LBB29_198:                             ; =>This Inner Loop Header: Depth=1
	s_load_dwordx2 s[6:7], s[2:3], 0x4
	s_load_dword s5, s[2:3], 0xc
	s_load_dwordx2 s[8:9], s[0:1], 0x0
	s_add_u32 s2, s2, 12
	s_addc_u32 s3, s3, 0
	s_waitcnt lgkmcnt(0)
	v_mul_hi_u32 v3, s7, v1
	s_add_u32 s0, s0, 8
	s_addc_u32 s1, s1, 0
	s_add_i32 s4, s4, -1
	v_add_u32_e32 v3, v1, v3
	v_lshrrev_b32_e32 v5, s5, v3
	v_mul_lo_u32 v3, v5, s6
	s_cmp_lg_u32 s4, 0
	v_sub_u32_e32 v3, v1, v3
	v_mad_u64_u32 v[0:1], s[6:7], v3, s8, v[0:1]
	v_mad_u64_u32 v[2:3], s[6:7], v3, s9, v[2:3]
	v_mov_b32_e32 v1, v5
	s_cbranch_scc1 .LBB29_198
.LBB29_199:
	s_cbranch_execnz .LBB29_202
.LBB29_200:
	v_mul_hi_u32 v0, s21, v19
	s_andn2_b64 vcc, exec, s[42:43]
	v_add_u32_e32 v0, v19, v0
	v_lshrrev_b32_e32 v1, s22, v0
	v_mul_lo_u32 v0, v1, s20
	v_sub_u32_e32 v2, v19, v0
	s_waitcnt lgkmcnt(0)
	v_mul_lo_u32 v0, v2, s24
	v_mul_lo_u32 v2, v2, s25
	s_cbranch_vccnz .LBB29_202
; %bb.201:
	v_mul_hi_u32 v3, s40, v1
	v_add_u32_e32 v3, v1, v3
	v_lshrrev_b32_e32 v3, s41, v3
	v_mul_lo_u32 v3, v3, s23
	v_sub_u32_e32 v3, v1, v3
	v_mad_u64_u32 v[0:1], s[0:1], v3, s26, v[0:1]
	v_mad_u64_u32 v[2:3], s[0:1], v3, s27, v[2:3]
.LBB29_202:
	s_waitcnt lgkmcnt(0)
	global_load_ushort v1, v2, s[18:19]
	v_add_u32_e32 v19, 0x80, v19
	s_waitcnt vmcnt(0)
	v_lshlrev_b32_e32 v2, 16, v1
	v_cmp_nle_f32_e32 vcc, v4, v2
	v_cmp_nge_f32_e64 s[0:1], s55, v2
	s_or_b64 vcc, s[0:1], vcc
	v_cndmask_b32_e32 v1, 0, v1, vcc
	global_store_short v0, v1, s[16:17]
	s_or_b64 exec, exec, s[48:49]
	v_cmp_gt_i32_e32 vcc, s56, v19
	s_and_saveexec_b64 s[48:49], vcc
	s_cbranch_execnz .LBB29_188
.LBB29_203:
	s_or_b64 exec, exec, s[48:49]
	v_cmp_gt_i32_e32 vcc, s56, v19
	s_and_saveexec_b64 s[48:49], vcc
	s_cbranch_execz .LBB29_219
.LBB29_204:
	s_andn2_b64 vcc, exec, s[36:37]
	s_cbranch_vccnz .LBB29_209
; %bb.205:
	s_andn2_b64 vcc, exec, s[46:47]
	s_cbranch_vccnz .LBB29_210
; %bb.206:
	s_add_i32 s59, s57, 1
	s_cmp_eq_u32 s54, 2
	s_cbranch_scc1 .LBB29_222
; %bb.207:
	s_and_b32 s58, s59, 28
	v_mov_b32_e32 v2, 0
	s_mov_b32 s60, 0
	s_mov_b64 s[50:51], s[34:35]
	s_mov_b64 s[52:53], s[44:45]
	v_mov_b32_e32 v0, 0
	v_mov_b32_e32 v1, v19
.LBB29_208:                             ; =>This Inner Loop Header: Depth=1
	s_load_dwordx8 s[8:15], s[50:51], 0x4
	s_load_dwordx4 s[28:31], s[50:51], 0x24
	s_load_dwordx8 s[0:7], s[52:53], 0x0
	s_add_u32 s50, s50, 48
	s_addc_u32 s51, s51, 0
	s_waitcnt lgkmcnt(0)
	v_mul_hi_u32 v3, s9, v1
	s_add_i32 s60, s60, 4
	s_add_u32 s52, s52, 32
	s_addc_u32 s53, s53, 0
	v_add_u32_e32 v3, v1, v3
	v_lshrrev_b32_e32 v3, s10, v3
	v_mul_lo_u32 v5, v3, s8
	v_mul_hi_u32 v6, s12, v3
	s_cmp_eq_u32 s58, s60
	v_sub_u32_e32 v1, v1, v5
	v_add_u32_e32 v5, v3, v6
	v_mul_lo_u32 v6, v1, s0
	v_mul_lo_u32 v7, v1, s1
	v_lshrrev_b32_e32 v1, s13, v5
	v_mul_lo_u32 v5, v1, s11
	v_mul_hi_u32 v8, s15, v1
	v_sub_u32_e32 v3, v3, v5
	v_add_u32_e32 v5, v1, v8
	v_lshrrev_b32_e32 v5, s28, v5
	v_mul_hi_u32 v9, s30, v5
	v_mul_lo_u32 v10, v5, s14
	v_mul_lo_u32 v8, v3, s2
	;; [unrolled: 1-line block ×3, first 2 shown]
	v_sub_u32_e32 v10, v1, v10
	v_add_u32_e32 v1, v5, v9
	v_lshrrev_b32_e32 v1, s31, v1
	v_mul_lo_u32 v9, v1, s29
	v_mul_lo_u32 v11, v10, s4
	;; [unrolled: 1-line block ×3, first 2 shown]
	v_add3_u32 v0, v6, v0, v8
	v_sub_u32_e32 v5, v5, v9
	v_mul_lo_u32 v9, v5, s6
	v_mul_lo_u32 v5, v5, s7
	v_add3_u32 v2, v7, v2, v3
	v_add3_u32 v0, v11, v0, v9
	;; [unrolled: 1-line block ×3, first 2 shown]
	s_cbranch_scc0 .LBB29_208
	s_branch .LBB29_223
.LBB29_209:
                                        ; implicit-def: $vgpr0
                                        ; implicit-def: $vgpr2
	s_branch .LBB29_227
.LBB29_210:
	v_mov_b32_e32 v0, 0
	v_mov_b32_e32 v2, 0
	s_branch .LBB29_226
.LBB29_211:
	s_mov_b32 s58, 0
	v_mov_b32_e32 v0, 0
	v_mov_b32_e32 v2, 0
	;; [unrolled: 1-line block ×3, first 2 shown]
.LBB29_212:
	s_and_b32 s4, s59, 3
	s_cmp_eq_u32 s4, 0
	s_cbranch_scc1 .LBB29_215
; %bb.213:
	s_lshl_b32 s0, s58, 3
	s_add_u32 s0, s34, s0
	s_addc_u32 s1, s35, 0
	s_add_u32 s0, s0, 0xc4
	s_addc_u32 s1, s1, 0
	s_mul_i32 s2, s58, 12
	s_add_u32 s2, s34, s2
	s_addc_u32 s3, s35, 0
.LBB29_214:                             ; =>This Inner Loop Header: Depth=1
	s_load_dwordx2 s[6:7], s[2:3], 0x4
	s_load_dword s5, s[2:3], 0xc
	s_load_dwordx2 s[8:9], s[0:1], 0x0
	s_add_u32 s2, s2, 12
	s_addc_u32 s3, s3, 0
	s_waitcnt lgkmcnt(0)
	v_mul_hi_u32 v3, s7, v1
	s_add_u32 s0, s0, 8
	s_addc_u32 s1, s1, 0
	s_add_i32 s4, s4, -1
	v_add_u32_e32 v3, v1, v3
	v_lshrrev_b32_e32 v5, s5, v3
	v_mul_lo_u32 v3, v5, s6
	s_cmp_lg_u32 s4, 0
	v_sub_u32_e32 v3, v1, v3
	v_mad_u64_u32 v[0:1], s[6:7], v3, s8, v[0:1]
	v_mad_u64_u32 v[2:3], s[6:7], v3, s9, v[2:3]
	v_mov_b32_e32 v1, v5
	s_cbranch_scc1 .LBB29_214
.LBB29_215:
	s_cbranch_execnz .LBB29_218
.LBB29_216:
	v_mul_hi_u32 v0, s21, v19
	s_andn2_b64 vcc, exec, s[42:43]
	v_add_u32_e32 v0, v19, v0
	v_lshrrev_b32_e32 v1, s22, v0
	v_mul_lo_u32 v0, v1, s20
	v_sub_u32_e32 v2, v19, v0
	s_waitcnt lgkmcnt(0)
	v_mul_lo_u32 v0, v2, s24
	v_mul_lo_u32 v2, v2, s25
	s_cbranch_vccnz .LBB29_218
; %bb.217:
	v_mul_hi_u32 v3, s40, v1
	v_add_u32_e32 v3, v1, v3
	v_lshrrev_b32_e32 v3, s41, v3
	v_mul_lo_u32 v3, v3, s23
	v_sub_u32_e32 v3, v1, v3
	v_mad_u64_u32 v[0:1], s[0:1], v3, s26, v[0:1]
	v_mad_u64_u32 v[2:3], s[0:1], v3, s27, v[2:3]
.LBB29_218:
	s_waitcnt lgkmcnt(0)
	global_load_ushort v1, v2, s[18:19]
	v_add_u32_e32 v19, 0x80, v19
	s_waitcnt vmcnt(0)
	v_lshlrev_b32_e32 v2, 16, v1
	v_cmp_nle_f32_e32 vcc, v4, v2
	v_cmp_nge_f32_e64 s[0:1], s55, v2
	s_or_b64 vcc, s[0:1], vcc
	v_cndmask_b32_e32 v1, 0, v1, vcc
	global_store_short v0, v1, s[16:17]
	s_or_b64 exec, exec, s[48:49]
	v_cmp_gt_i32_e32 vcc, s56, v19
	s_and_saveexec_b64 s[48:49], vcc
	s_cbranch_execnz .LBB29_204
.LBB29_219:
	s_or_b64 exec, exec, s[48:49]
	v_cmp_gt_i32_e32 vcc, s56, v19
	s_and_saveexec_b64 s[48:49], vcc
	s_cbranch_execnz .LBB29_230
.LBB29_220:
	s_or_b64 exec, exec, s[48:49]
                                        ; implicit-def: $vgpr25
                                        ; implicit-def: $vgpr19
	s_andn2_saveexec_b64 s[0:1], s[38:39]
	s_cbranch_execnz .LBB29_8
.LBB29_221:
	s_endpgm
.LBB29_222:
	s_mov_b32 s58, 0
	v_mov_b32_e32 v0, 0
	v_mov_b32_e32 v2, 0
	;; [unrolled: 1-line block ×3, first 2 shown]
.LBB29_223:
	s_and_b32 s4, s59, 3
	s_cmp_eq_u32 s4, 0
	s_cbranch_scc1 .LBB29_226
; %bb.224:
	s_lshl_b32 s0, s58, 3
	s_add_u32 s0, s34, s0
	s_addc_u32 s1, s35, 0
	s_add_u32 s0, s0, 0xc4
	s_addc_u32 s1, s1, 0
	s_mul_i32 s2, s58, 12
	s_add_u32 s2, s34, s2
	s_addc_u32 s3, s35, 0
.LBB29_225:                             ; =>This Inner Loop Header: Depth=1
	s_load_dwordx2 s[6:7], s[2:3], 0x4
	s_load_dword s5, s[2:3], 0xc
	s_load_dwordx2 s[8:9], s[0:1], 0x0
	s_add_u32 s2, s2, 12
	s_addc_u32 s3, s3, 0
	s_waitcnt lgkmcnt(0)
	v_mul_hi_u32 v3, s7, v1
	s_add_u32 s0, s0, 8
	s_addc_u32 s1, s1, 0
	s_add_i32 s4, s4, -1
	v_add_u32_e32 v3, v1, v3
	v_lshrrev_b32_e32 v5, s5, v3
	v_mul_lo_u32 v3, v5, s6
	s_cmp_lg_u32 s4, 0
	v_sub_u32_e32 v3, v1, v3
	v_mad_u64_u32 v[0:1], s[6:7], v3, s8, v[0:1]
	v_mad_u64_u32 v[2:3], s[6:7], v3, s9, v[2:3]
	v_mov_b32_e32 v1, v5
	s_cbranch_scc1 .LBB29_225
.LBB29_226:
	s_cbranch_execnz .LBB29_229
.LBB29_227:
	v_mul_hi_u32 v0, s21, v19
	s_andn2_b64 vcc, exec, s[42:43]
	v_add_u32_e32 v0, v19, v0
	v_lshrrev_b32_e32 v1, s22, v0
	v_mul_lo_u32 v0, v1, s20
	v_sub_u32_e32 v2, v19, v0
	s_waitcnt lgkmcnt(0)
	v_mul_lo_u32 v0, v2, s24
	v_mul_lo_u32 v2, v2, s25
	s_cbranch_vccnz .LBB29_229
; %bb.228:
	v_mul_hi_u32 v3, s40, v1
	v_add_u32_e32 v3, v1, v3
	v_lshrrev_b32_e32 v3, s41, v3
	v_mul_lo_u32 v3, v3, s23
	v_sub_u32_e32 v3, v1, v3
	v_mad_u64_u32 v[0:1], s[0:1], v3, s26, v[0:1]
	v_mad_u64_u32 v[2:3], s[0:1], v3, s27, v[2:3]
.LBB29_229:
	s_waitcnt lgkmcnt(0)
	global_load_ushort v1, v2, s[18:19]
	v_add_u32_e32 v19, 0x80, v19
	s_waitcnt vmcnt(0)
	v_lshlrev_b32_e32 v2, 16, v1
	v_cmp_nle_f32_e32 vcc, v4, v2
	v_cmp_nge_f32_e64 s[0:1], s55, v2
	s_or_b64 vcc, s[0:1], vcc
	v_cndmask_b32_e32 v1, 0, v1, vcc
	global_store_short v0, v1, s[16:17]
	s_or_b64 exec, exec, s[48:49]
	v_cmp_gt_i32_e32 vcc, s56, v19
	s_and_saveexec_b64 s[48:49], vcc
	s_cbranch_execz .LBB29_220
.LBB29_230:
	s_andn2_b64 vcc, exec, s[36:37]
	s_cbranch_vccnz .LBB29_235
; %bb.231:
	s_andn2_b64 vcc, exec, s[46:47]
	s_cbranch_vccnz .LBB29_236
; %bb.232:
	s_add_i32 s57, s57, 1
	s_cmp_eq_u32 s54, 2
	s_cbranch_scc1 .LBB29_237
; %bb.233:
	s_and_b32 s50, s57, 28
	v_mov_b32_e32 v2, 0
	s_mov_b32 s51, 0
	s_mov_b64 s[46:47], s[34:35]
	v_mov_b32_e32 v0, 0
	v_mov_b32_e32 v1, v19
.LBB29_234:                             ; =>This Inner Loop Header: Depth=1
	s_load_dwordx8 s[8:15], s[46:47], 0x4
	s_load_dwordx4 s[28:31], s[46:47], 0x24
	s_load_dwordx8 s[0:7], s[44:45], 0x0
	s_add_u32 s46, s46, 48
	s_addc_u32 s47, s47, 0
	s_waitcnt lgkmcnt(0)
	v_mul_hi_u32 v3, s9, v1
	s_add_i32 s51, s51, 4
	s_add_u32 s44, s44, 32
	s_addc_u32 s45, s45, 0
	v_add_u32_e32 v3, v1, v3
	v_lshrrev_b32_e32 v3, s10, v3
	v_mul_lo_u32 v5, v3, s8
	v_mul_hi_u32 v6, s12, v3
	s_cmp_eq_u32 s50, s51
	v_sub_u32_e32 v1, v1, v5
	v_add_u32_e32 v5, v3, v6
	v_mul_lo_u32 v6, v1, s0
	v_mul_lo_u32 v7, v1, s1
	v_lshrrev_b32_e32 v1, s13, v5
	v_mul_lo_u32 v5, v1, s11
	v_mul_hi_u32 v8, s15, v1
	v_sub_u32_e32 v3, v3, v5
	v_add_u32_e32 v5, v1, v8
	v_lshrrev_b32_e32 v5, s28, v5
	v_mul_hi_u32 v9, s30, v5
	v_mul_lo_u32 v10, v5, s14
	v_mul_lo_u32 v8, v3, s2
	v_mul_lo_u32 v3, v3, s3
	v_sub_u32_e32 v10, v1, v10
	v_add_u32_e32 v1, v5, v9
	v_lshrrev_b32_e32 v1, s31, v1
	v_mul_lo_u32 v9, v1, s29
	v_mul_lo_u32 v11, v10, s4
	;; [unrolled: 1-line block ×3, first 2 shown]
	v_add3_u32 v0, v6, v0, v8
	v_sub_u32_e32 v5, v5, v9
	v_mul_lo_u32 v9, v5, s6
	v_mul_lo_u32 v5, v5, s7
	v_add3_u32 v2, v7, v2, v3
	v_add3_u32 v0, v11, v0, v9
	;; [unrolled: 1-line block ×3, first 2 shown]
	s_cbranch_scc0 .LBB29_234
	s_branch .LBB29_238
.LBB29_235:
                                        ; implicit-def: $vgpr0
                                        ; implicit-def: $vgpr2
	s_branch .LBB29_242
.LBB29_236:
	v_mov_b32_e32 v0, 0
	v_mov_b32_e32 v2, 0
	s_branch .LBB29_241
.LBB29_237:
	s_mov_b32 s50, 0
	v_mov_b32_e32 v0, 0
	v_mov_b32_e32 v2, 0
	;; [unrolled: 1-line block ×3, first 2 shown]
.LBB29_238:
	s_and_b32 s4, s57, 3
	s_cmp_eq_u32 s4, 0
	s_cbranch_scc1 .LBB29_241
; %bb.239:
	s_lshl_b32 s0, s50, 3
	s_add_u32 s0, s34, s0
	s_addc_u32 s1, s35, 0
	s_add_u32 s0, s0, 0xc4
	s_addc_u32 s1, s1, 0
	s_mul_i32 s2, s50, 12
	s_add_u32 s2, s34, s2
	s_addc_u32 s3, s35, 0
.LBB29_240:                             ; =>This Inner Loop Header: Depth=1
	s_load_dwordx2 s[6:7], s[2:3], 0x4
	s_load_dword s5, s[2:3], 0xc
	s_load_dwordx2 s[8:9], s[0:1], 0x0
	s_add_u32 s2, s2, 12
	s_addc_u32 s3, s3, 0
	s_waitcnt lgkmcnt(0)
	v_mul_hi_u32 v3, s7, v1
	s_add_u32 s0, s0, 8
	s_addc_u32 s1, s1, 0
	s_add_i32 s4, s4, -1
	v_add_u32_e32 v3, v1, v3
	v_lshrrev_b32_e32 v5, s5, v3
	v_mul_lo_u32 v3, v5, s6
	s_cmp_lg_u32 s4, 0
	v_sub_u32_e32 v3, v1, v3
	v_mad_u64_u32 v[0:1], s[6:7], v3, s8, v[0:1]
	v_mad_u64_u32 v[2:3], s[6:7], v3, s9, v[2:3]
	v_mov_b32_e32 v1, v5
	s_cbranch_scc1 .LBB29_240
.LBB29_241:
	s_cbranch_execnz .LBB29_244
.LBB29_242:
	v_mul_hi_u32 v0, s21, v19
	s_andn2_b64 vcc, exec, s[42:43]
	v_add_u32_e32 v0, v19, v0
	v_lshrrev_b32_e32 v1, s22, v0
	v_mul_lo_u32 v0, v1, s20
	v_sub_u32_e32 v2, v19, v0
	s_waitcnt lgkmcnt(0)
	v_mul_lo_u32 v0, v2, s24
	v_mul_lo_u32 v2, v2, s25
	s_cbranch_vccnz .LBB29_244
; %bb.243:
	v_mul_hi_u32 v3, s40, v1
	v_add_u32_e32 v3, v1, v3
	v_lshrrev_b32_e32 v3, s41, v3
	v_mul_lo_u32 v3, v3, s23
	v_sub_u32_e32 v3, v1, v3
	v_mad_u64_u32 v[0:1], s[0:1], v3, s26, v[0:1]
	v_mad_u64_u32 v[2:3], s[0:1], v3, s27, v[2:3]
.LBB29_244:
	s_waitcnt lgkmcnt(0)
	global_load_ushort v1, v2, s[18:19]
	s_waitcnt vmcnt(0)
	v_lshlrev_b32_e32 v2, 16, v1
	v_cmp_nle_f32_e32 vcc, v4, v2
	v_cmp_nge_f32_e64 s[0:1], s55, v2
	s_or_b64 vcc, s[0:1], vcc
	v_cndmask_b32_e32 v1, 0, v1, vcc
	global_store_short v0, v1, s[16:17]
	s_or_b64 exec, exec, s[48:49]
                                        ; implicit-def: $vgpr25
                                        ; implicit-def: $vgpr19
	s_andn2_saveexec_b64 s[0:1], s[38:39]
	s_cbranch_execz .LBB29_221
	s_branch .LBB29_8
	.section	.rodata,"a",@progbits
	.p2align	6, 0x0
	.amdhsa_kernel _ZN2at6native32elementwise_kernel_manual_unrollILi128ELi8EZNS0_22gpu_kernel_impl_nocastIZZZNS0_12_GLOBAL__N_117hardshrink_kernelERNS_18TensorIteratorBaseERKN3c106ScalarEENKUlvE_clEvENKUlvE2_clEvEUlNS6_8BFloat16EE_EEvS5_RKT_EUlibE_EEviT1_
		.amdhsa_group_segment_fixed_size 0
		.amdhsa_private_segment_fixed_size 0
		.amdhsa_kernarg_size 360
		.amdhsa_user_sgpr_count 6
		.amdhsa_user_sgpr_private_segment_buffer 1
		.amdhsa_user_sgpr_dispatch_ptr 0
		.amdhsa_user_sgpr_queue_ptr 0
		.amdhsa_user_sgpr_kernarg_segment_ptr 1
		.amdhsa_user_sgpr_dispatch_id 0
		.amdhsa_user_sgpr_flat_scratch_init 0
		.amdhsa_user_sgpr_private_segment_size 0
		.amdhsa_uses_dynamic_stack 0
		.amdhsa_system_sgpr_private_segment_wavefront_offset 0
		.amdhsa_system_sgpr_workgroup_id_x 1
		.amdhsa_system_sgpr_workgroup_id_y 0
		.amdhsa_system_sgpr_workgroup_id_z 0
		.amdhsa_system_sgpr_workgroup_info 0
		.amdhsa_system_vgpr_workitem_id 0
		.amdhsa_next_free_vgpr 26
		.amdhsa_next_free_sgpr 61
		.amdhsa_reserve_vcc 1
		.amdhsa_reserve_flat_scratch 0
		.amdhsa_float_round_mode_32 0
		.amdhsa_float_round_mode_16_64 0
		.amdhsa_float_denorm_mode_32 3
		.amdhsa_float_denorm_mode_16_64 3
		.amdhsa_dx10_clamp 1
		.amdhsa_ieee_mode 1
		.amdhsa_fp16_overflow 0
		.amdhsa_exception_fp_ieee_invalid_op 0
		.amdhsa_exception_fp_denorm_src 0
		.amdhsa_exception_fp_ieee_div_zero 0
		.amdhsa_exception_fp_ieee_overflow 0
		.amdhsa_exception_fp_ieee_underflow 0
		.amdhsa_exception_fp_ieee_inexact 0
		.amdhsa_exception_int_div_zero 0
	.end_amdhsa_kernel
	.section	.text._ZN2at6native32elementwise_kernel_manual_unrollILi128ELi8EZNS0_22gpu_kernel_impl_nocastIZZZNS0_12_GLOBAL__N_117hardshrink_kernelERNS_18TensorIteratorBaseERKN3c106ScalarEENKUlvE_clEvENKUlvE2_clEvEUlNS6_8BFloat16EE_EEvS5_RKT_EUlibE_EEviT1_,"axG",@progbits,_ZN2at6native32elementwise_kernel_manual_unrollILi128ELi8EZNS0_22gpu_kernel_impl_nocastIZZZNS0_12_GLOBAL__N_117hardshrink_kernelERNS_18TensorIteratorBaseERKN3c106ScalarEENKUlvE_clEvENKUlvE2_clEvEUlNS6_8BFloat16EE_EEvS5_RKT_EUlibE_EEviT1_,comdat
.Lfunc_end29:
	.size	_ZN2at6native32elementwise_kernel_manual_unrollILi128ELi8EZNS0_22gpu_kernel_impl_nocastIZZZNS0_12_GLOBAL__N_117hardshrink_kernelERNS_18TensorIteratorBaseERKN3c106ScalarEENKUlvE_clEvENKUlvE2_clEvEUlNS6_8BFloat16EE_EEvS5_RKT_EUlibE_EEviT1_, .Lfunc_end29-_ZN2at6native32elementwise_kernel_manual_unrollILi128ELi8EZNS0_22gpu_kernel_impl_nocastIZZZNS0_12_GLOBAL__N_117hardshrink_kernelERNS_18TensorIteratorBaseERKN3c106ScalarEENKUlvE_clEvENKUlvE2_clEvEUlNS6_8BFloat16EE_EEvS5_RKT_EUlibE_EEviT1_
                                        ; -- End function
	.set _ZN2at6native32elementwise_kernel_manual_unrollILi128ELi8EZNS0_22gpu_kernel_impl_nocastIZZZNS0_12_GLOBAL__N_117hardshrink_kernelERNS_18TensorIteratorBaseERKN3c106ScalarEENKUlvE_clEvENKUlvE2_clEvEUlNS6_8BFloat16EE_EEvS5_RKT_EUlibE_EEviT1_.num_vgpr, 26
	.set _ZN2at6native32elementwise_kernel_manual_unrollILi128ELi8EZNS0_22gpu_kernel_impl_nocastIZZZNS0_12_GLOBAL__N_117hardshrink_kernelERNS_18TensorIteratorBaseERKN3c106ScalarEENKUlvE_clEvENKUlvE2_clEvEUlNS6_8BFloat16EE_EEvS5_RKT_EUlibE_EEviT1_.num_agpr, 0
	.set _ZN2at6native32elementwise_kernel_manual_unrollILi128ELi8EZNS0_22gpu_kernel_impl_nocastIZZZNS0_12_GLOBAL__N_117hardshrink_kernelERNS_18TensorIteratorBaseERKN3c106ScalarEENKUlvE_clEvENKUlvE2_clEvEUlNS6_8BFloat16EE_EEvS5_RKT_EUlibE_EEviT1_.numbered_sgpr, 61
	.set _ZN2at6native32elementwise_kernel_manual_unrollILi128ELi8EZNS0_22gpu_kernel_impl_nocastIZZZNS0_12_GLOBAL__N_117hardshrink_kernelERNS_18TensorIteratorBaseERKN3c106ScalarEENKUlvE_clEvENKUlvE2_clEvEUlNS6_8BFloat16EE_EEvS5_RKT_EUlibE_EEviT1_.num_named_barrier, 0
	.set _ZN2at6native32elementwise_kernel_manual_unrollILi128ELi8EZNS0_22gpu_kernel_impl_nocastIZZZNS0_12_GLOBAL__N_117hardshrink_kernelERNS_18TensorIteratorBaseERKN3c106ScalarEENKUlvE_clEvENKUlvE2_clEvEUlNS6_8BFloat16EE_EEvS5_RKT_EUlibE_EEviT1_.private_seg_size, 0
	.set _ZN2at6native32elementwise_kernel_manual_unrollILi128ELi8EZNS0_22gpu_kernel_impl_nocastIZZZNS0_12_GLOBAL__N_117hardshrink_kernelERNS_18TensorIteratorBaseERKN3c106ScalarEENKUlvE_clEvENKUlvE2_clEvEUlNS6_8BFloat16EE_EEvS5_RKT_EUlibE_EEviT1_.uses_vcc, 1
	.set _ZN2at6native32elementwise_kernel_manual_unrollILi128ELi8EZNS0_22gpu_kernel_impl_nocastIZZZNS0_12_GLOBAL__N_117hardshrink_kernelERNS_18TensorIteratorBaseERKN3c106ScalarEENKUlvE_clEvENKUlvE2_clEvEUlNS6_8BFloat16EE_EEvS5_RKT_EUlibE_EEviT1_.uses_flat_scratch, 0
	.set _ZN2at6native32elementwise_kernel_manual_unrollILi128ELi8EZNS0_22gpu_kernel_impl_nocastIZZZNS0_12_GLOBAL__N_117hardshrink_kernelERNS_18TensorIteratorBaseERKN3c106ScalarEENKUlvE_clEvENKUlvE2_clEvEUlNS6_8BFloat16EE_EEvS5_RKT_EUlibE_EEviT1_.has_dyn_sized_stack, 0
	.set _ZN2at6native32elementwise_kernel_manual_unrollILi128ELi8EZNS0_22gpu_kernel_impl_nocastIZZZNS0_12_GLOBAL__N_117hardshrink_kernelERNS_18TensorIteratorBaseERKN3c106ScalarEENKUlvE_clEvENKUlvE2_clEvEUlNS6_8BFloat16EE_EEvS5_RKT_EUlibE_EEviT1_.has_recursion, 0
	.set _ZN2at6native32elementwise_kernel_manual_unrollILi128ELi8EZNS0_22gpu_kernel_impl_nocastIZZZNS0_12_GLOBAL__N_117hardshrink_kernelERNS_18TensorIteratorBaseERKN3c106ScalarEENKUlvE_clEvENKUlvE2_clEvEUlNS6_8BFloat16EE_EEvS5_RKT_EUlibE_EEviT1_.has_indirect_call, 0
	.section	.AMDGPU.csdata,"",@progbits
; Kernel info:
; codeLenInByte = 11752
; TotalNumSgprs: 65
; NumVgprs: 26
; ScratchSize: 0
; MemoryBound: 0
; FloatMode: 240
; IeeeMode: 1
; LDSByteSize: 0 bytes/workgroup (compile time only)
; SGPRBlocks: 8
; VGPRBlocks: 6
; NumSGPRsForWavesPerEU: 65
; NumVGPRsForWavesPerEU: 26
; Occupancy: 9
; WaveLimiterHint : 1
; COMPUTE_PGM_RSRC2:SCRATCH_EN: 0
; COMPUTE_PGM_RSRC2:USER_SGPR: 6
; COMPUTE_PGM_RSRC2:TRAP_HANDLER: 0
; COMPUTE_PGM_RSRC2:TGID_X_EN: 1
; COMPUTE_PGM_RSRC2:TGID_Y_EN: 0
; COMPUTE_PGM_RSRC2:TGID_Z_EN: 0
; COMPUTE_PGM_RSRC2:TIDIG_COMP_CNT: 0
	.section	.text._ZN2at6native32elementwise_kernel_manual_unrollILi128ELi4EZNS0_15gpu_kernel_implIZZZNS0_12_GLOBAL__N_117hardshrink_kernelERNS_18TensorIteratorBaseERKN3c106ScalarEENKUlvE_clEvENKUlvE2_clEvEUlNS6_8BFloat16EE_EEvS5_RKT_EUlibE_EEviT1_,"axG",@progbits,_ZN2at6native32elementwise_kernel_manual_unrollILi128ELi4EZNS0_15gpu_kernel_implIZZZNS0_12_GLOBAL__N_117hardshrink_kernelERNS_18TensorIteratorBaseERKN3c106ScalarEENKUlvE_clEvENKUlvE2_clEvEUlNS6_8BFloat16EE_EEvS5_RKT_EUlibE_EEviT1_,comdat
	.globl	_ZN2at6native32elementwise_kernel_manual_unrollILi128ELi4EZNS0_15gpu_kernel_implIZZZNS0_12_GLOBAL__N_117hardshrink_kernelERNS_18TensorIteratorBaseERKN3c106ScalarEENKUlvE_clEvENKUlvE2_clEvEUlNS6_8BFloat16EE_EEvS5_RKT_EUlibE_EEviT1_ ; -- Begin function _ZN2at6native32elementwise_kernel_manual_unrollILi128ELi4EZNS0_15gpu_kernel_implIZZZNS0_12_GLOBAL__N_117hardshrink_kernelERNS_18TensorIteratorBaseERKN3c106ScalarEENKUlvE_clEvENKUlvE2_clEvEUlNS6_8BFloat16EE_EEvS5_RKT_EUlibE_EEviT1_
	.p2align	8
	.type	_ZN2at6native32elementwise_kernel_manual_unrollILi128ELi4EZNS0_15gpu_kernel_implIZZZNS0_12_GLOBAL__N_117hardshrink_kernelERNS_18TensorIteratorBaseERKN3c106ScalarEENKUlvE_clEvENKUlvE2_clEvEUlNS6_8BFloat16EE_EEvS5_RKT_EUlibE_EEviT1_,@function
_ZN2at6native32elementwise_kernel_manual_unrollILi128ELi4EZNS0_15gpu_kernel_implIZZZNS0_12_GLOBAL__N_117hardshrink_kernelERNS_18TensorIteratorBaseERKN3c106ScalarEENKUlvE_clEvENKUlvE2_clEvEUlNS6_8BFloat16EE_EEvS5_RKT_EUlibE_EEviT1_: ; @_ZN2at6native32elementwise_kernel_manual_unrollILi128ELi4EZNS0_15gpu_kernel_implIZZZNS0_12_GLOBAL__N_117hardshrink_kernelERNS_18TensorIteratorBaseERKN3c106ScalarEENKUlvE_clEvENKUlvE2_clEvEUlNS6_8BFloat16EE_EEvS5_RKT_EUlibE_EEviT1_
; %bb.0:
	s_load_dword s0, s[4:5], 0x20
	s_load_dwordx2 s[2:3], s[4:5], 0x18
	s_load_dword s38, s[4:5], 0x0
	s_load_dwordx4 s[8:11], s[4:5], 0x8
	v_lshl_or_b32 v2, s6, 9, v0
	v_or_b32_e32 v0, 0x180, v2
	s_waitcnt lgkmcnt(0)
	s_and_b32 s42, s0, 0xffff
	s_lshr_b32 s33, s0, 16
	s_lshr_b32 s43, s0, 24
	v_cmp_le_i32_e32 vcc, s38, v0
	s_mov_b64 s[4:5], 0
	s_mov_b64 s[12:13], 0
	s_and_saveexec_b64 s[0:1], vcc
	s_xor_b64 s[6:7], exec, s[0:1]
	s_cbranch_execz .LBB30_1029
; %bb.1:
	s_lshl_b32 s44, s42, 16
	s_xor_b32 s0, s44, 0x80000000
	s_bfe_u32 s1, s0, 0x10010
	s_add_i32 s0, s0, s1
	s_addk_i32 s0, 0x7fff
	s_and_b32 s0, s0, 0xffff0000
	v_mov_b32_e32 v0, 0x7fc00000
	v_mov_b32_e32 v1, s0
	v_cmp_o_f32_e64 vcc, s44, s44
	v_cndmask_b32_e32 v3, v0, v1, vcc
	v_cmp_gt_i32_e32 vcc, s38, v2
	s_mov_b64 s[18:19], -1
	s_mov_b64 s[20:21], 0
	s_mov_b64 s[14:15], 0
	s_and_saveexec_b64 s[16:17], vcc
	s_cbranch_execz .LBB30_252
; %bb.2:
	v_mul_lo_u32 v0, v2, s3
	v_mov_b32_e32 v1, s11
	s_and_b32 s22, 0xffff, s43
	s_cmp_lt_i32 s22, 11
	v_ashrrev_i32_e32 v4, 31, v0
	v_add_co_u32_e32 v0, vcc, s10, v0
	v_addc_co_u32_e32 v1, vcc, v1, v4, vcc
	s_cbranch_scc1 .LBB30_9
; %bb.3:
	s_cmp_gt_i32 s22, 25
	s_cbranch_scc0 .LBB30_18
; %bb.4:
	s_cmp_gt_i32 s22, 28
	s_cbranch_scc0 .LBB30_22
	;; [unrolled: 3-line block ×4, first 2 shown]
; %bb.7:
	s_cmp_eq_u32 s22, 46
	s_cbranch_scc0 .LBB30_28
; %bb.8:
	global_load_dword v4, v[0:1], off
	s_mov_b64 s[0:1], -1
	s_branch .LBB30_30
.LBB30_9:
                                        ; implicit-def: $vgpr4
	s_mov_b64 s[0:1], 0
	s_cbranch_execnz .LBB30_203
.LBB30_10:
	s_andn2_b64 vcc, exec, s[0:1]
	s_cbranch_vccnz .LBB30_250
.LBB30_11:
	v_mul_lo_u32 v1, v2, s2
	s_waitcnt vmcnt(0)
	v_lshlrev_b32_e32 v0, 16, v4
	v_cmp_nle_f32_e32 vcc, v3, v0
	v_cmp_nge_f32_e64 s[0:1], s44, v0
	s_or_b64 vcc, s[0:1], vcc
	v_cndmask_b32_e32 v4, 0, v4, vcc
	v_ashrrev_i32_e32 v5, 31, v1
	v_mov_b32_e32 v6, s9
	s_and_b32 s24, s33, 0xff
	v_add_co_u32_e32 v0, vcc, s8, v1
	s_cmp_lt_i32 s24, 11
	v_addc_co_u32_e32 v1, vcc, v6, v5, vcc
	s_cbranch_scc1 .LBB30_19
; %bb.12:
	s_and_b32 s25, 0xffff, s24
	s_cmp_gt_i32 s25, 25
	s_cbranch_scc0 .LBB30_23
; %bb.13:
	s_cmp_gt_i32 s25, 28
	s_cbranch_scc0 .LBB30_25
; %bb.14:
	;; [unrolled: 3-line block ×4, first 2 shown]
	s_mov_b64 s[18:19], 0
	s_mov_b64 s[0:1], -1
	s_cmp_eq_u32 s25, 46
	s_mov_b64 s[12:13], 0
	s_cbranch_scc0 .LBB30_34
; %bb.17:
	v_and_b32_e32 v5, 0xffff, v4
	global_store_dword v[0:1], v5, off
	s_mov_b64 s[12:13], -1
	s_mov_b64 s[0:1], 0
	s_branch .LBB30_34
.LBB30_18:
	s_mov_b64 s[0:1], 0
                                        ; implicit-def: $vgpr4
	s_cbranch_execnz .LBB30_168
	s_branch .LBB30_202
.LBB30_19:
	s_mov_b64 s[0:1], 0
	s_mov_b64 s[12:13], 0
	s_cbranch_execnz .LBB30_103
.LBB30_20:
	s_andn2_b64 vcc, exec, s[12:13]
	s_cbranch_vccnz .LBB30_141
.LBB30_21:
	v_add_u32_e32 v2, 0x80, v2
	s_mov_b64 s[18:19], -1
	s_branch .LBB30_251
.LBB30_22:
	s_mov_b64 s[12:13], -1
	s_mov_b64 s[0:1], 0
                                        ; implicit-def: $vgpr4
	s_branch .LBB30_149
.LBB30_23:
	s_mov_b64 s[18:19], -1
	s_mov_b64 s[0:1], 0
	s_mov_b64 s[12:13], 0
	s_branch .LBB30_61
.LBB30_24:
	s_mov_b64 s[12:13], -1
	s_mov_b64 s[0:1], 0
                                        ; implicit-def: $vgpr4
	s_branch .LBB30_144
.LBB30_25:
	s_mov_b64 s[18:19], -1
	s_mov_b64 s[0:1], 0
	s_mov_b64 s[12:13], 0
	s_branch .LBB30_44
.LBB30_26:
	s_mov_b64 s[12:13], -1
	s_branch .LBB30_29
.LBB30_27:
	s_mov_b64 s[18:19], -1
	s_mov_b64 s[0:1], 0
	s_mov_b64 s[12:13], 0
	s_branch .LBB30_40
.LBB30_28:
	s_mov_b64 s[14:15], -1
.LBB30_29:
	s_mov_b64 s[0:1], 0
                                        ; implicit-def: $vgpr4
.LBB30_30:
	s_and_b64 vcc, exec, s[12:13]
	s_cbranch_vccz .LBB30_143
; %bb.31:
	s_cmp_eq_u32 s22, 44
	s_cbranch_scc0 .LBB30_142
; %bb.32:
	global_load_ubyte v4, v[0:1], off
	s_movk_i32 s12, 0xff
	v_mov_b32_e32 v5, 0x7f800001
	v_mov_b32_e32 v6, 0x400000
	;; [unrolled: 1-line block ×3, first 2 shown]
	s_mov_b64 s[0:1], -1
	s_mov_b64 s[14:15], 0
	s_waitcnt vmcnt(0)
	v_lshlrev_b32_e32 v8, 23, v4
	v_cmp_ne_u32_e32 vcc, s12, v4
	v_cndmask_b32_e32 v5, v5, v8, vcc
	v_cmp_ne_u32_e32 vcc, 0, v4
	v_cndmask_b32_e32 v4, v6, v5, vcc
	v_add_u32_e32 v5, 0x7fff, v4
	v_cmp_o_f32_e32 vcc, v4, v4
	v_cndmask_b32_sdwa v4, v7, v5, vcc dst_sel:DWORD dst_unused:UNUSED_PAD src0_sel:DWORD src1_sel:WORD_1
	s_branch .LBB30_143
.LBB30_33:
	s_mov_b64 s[18:19], -1
	s_mov_b64 s[0:1], 0
	s_mov_b64 s[12:13], 0
.LBB30_34:
	s_and_b64 vcc, exec, s[18:19]
	s_cbranch_vccz .LBB30_39
; %bb.35:
	s_cmp_eq_u32 s25, 44
	s_mov_b64 s[0:1], -1
	s_cbranch_scc0 .LBB30_39
; %bb.36:
	v_and_b32_e32 v6, 0xffff, v4
	v_bfe_u32 v5, v6, 7, 8
	s_movk_i32 s0, 0xff
	v_cmp_ne_u32_e32 vcc, s0, v5
	v_mov_b32_e32 v7, 0xff
	s_and_saveexec_b64 s[12:13], vcc
	s_cbranch_execz .LBB30_38
; %bb.37:
	v_lshlrev_b32_e32 v8, 16, v6
	s_mov_b32 s0, 0x3f0000
	v_lshrrev_b32_e32 v7, 7, v6
	v_and_b32_e32 v6, 64, v6
	v_and_or_b32 v5, v8, s0, v5
	v_cmp_ne_u32_e32 vcc, 0, v6
	v_cmp_ne_u32_e64 s[0:1], 0, v5
	s_and_b64 s[0:1], vcc, s[0:1]
	v_cndmask_b32_e64 v5, 0, 1, s[0:1]
	v_add_u32_e32 v7, v7, v5
.LBB30_38:
	s_or_b64 exec, exec, s[12:13]
	s_mov_b64 s[12:13], -1
	s_mov_b64 s[0:1], 0
	global_store_byte v[0:1], v7, off
.LBB30_39:
	s_mov_b64 s[18:19], 0
.LBB30_40:
	s_and_b64 vcc, exec, s[18:19]
	s_cbranch_vccz .LBB30_43
; %bb.41:
	s_cmp_eq_u32 s25, 29
	s_mov_b64 s[0:1], -1
	s_cbranch_scc0 .LBB30_43
; %bb.42:
	v_lshlrev_b32_e32 v5, 16, v4
	v_trunc_f32_e32 v5, v5
	v_mul_f32_e32 v6, 0x2f800000, v5
	v_floor_f32_e32 v7, v6
	v_fmac_f32_e32 v5, 0xcf800000, v7
	v_cvt_u32_f32_e32 v6, v7
	v_cvt_u32_f32_e32 v5, v5
	s_mov_b64 s[12:13], -1
	s_mov_b64 s[0:1], 0
	s_mov_b64 s[18:19], 0
	global_store_dwordx2 v[0:1], v[5:6], off
	s_branch .LBB30_44
.LBB30_43:
	s_mov_b64 s[18:19], 0
.LBB30_44:
	s_and_b64 vcc, exec, s[18:19]
	s_cbranch_vccz .LBB30_60
; %bb.45:
	s_cmp_lt_i32 s25, 27
	s_mov_b64 s[12:13], -1
	s_cbranch_scc1 .LBB30_51
; %bb.46:
	s_cmp_gt_i32 s25, 27
	s_cbranch_scc0 .LBB30_48
; %bb.47:
	v_lshlrev_b32_e32 v5, 16, v4
	v_cvt_u32_f32_e32 v5, v5
	s_mov_b64 s[12:13], 0
	global_store_dword v[0:1], v5, off
.LBB30_48:
	s_andn2_b64 vcc, exec, s[12:13]
	s_cbranch_vccnz .LBB30_50
; %bb.49:
	v_lshlrev_b32_e32 v5, 16, v4
	v_cvt_u32_f32_e32 v5, v5
	global_store_short v[0:1], v5, off
.LBB30_50:
	s_mov_b64 s[12:13], 0
.LBB30_51:
	s_andn2_b64 vcc, exec, s[12:13]
	s_cbranch_vccnz .LBB30_59
; %bb.52:
	v_lshlrev_b32_e32 v7, 16, v4
	v_and_b32_e32 v6, 0x7fffffff, v7
	s_mov_b32 s12, 0x43800000
	v_cmp_gt_u32_e32 vcc, s12, v6
	v_mov_b32_e32 v8, 0x80
	s_and_saveexec_b64 s[12:13], vcc
	s_cbranch_execz .LBB30_58
; %bb.53:
	s_mov_b32 s18, 0x3bffffff
	v_and_b32_e32 v5, 0xffff, v4
	v_cmp_lt_u32_e32 vcc, s18, v6
	s_mov_b64 s[18:19], 0
                                        ; implicit-def: $vgpr6
	s_and_saveexec_b64 s[22:23], vcc
	s_xor_b64 s[22:23], exec, s[22:23]
	s_cbranch_execz .LBB30_279
; %bb.54:
	v_bfe_u32 v6, v5, 4, 1
	s_mov_b32 s26, 0x487ffff
	v_add3_u32 v6, v7, v6, s26
	s_mov_b64 s[18:19], exec
	v_lshrrev_b32_e32 v6, 20, v6
                                        ; implicit-def: $vgpr7
	s_andn2_saveexec_b64 s[22:23], s[22:23]
	s_cbranch_execnz .LBB30_280
.LBB30_55:
	s_or_b64 exec, exec, s[22:23]
	v_mov_b32_e32 v8, 0
	s_and_saveexec_b64 s[22:23], s[18:19]
.LBB30_56:
	v_lshrrev_b32_e32 v5, 8, v5
	s_movk_i32 s18, 0x80
	v_and_or_b32 v8, v5, s18, v6
.LBB30_57:
	s_or_b64 exec, exec, s[22:23]
.LBB30_58:
	s_or_b64 exec, exec, s[12:13]
	global_store_byte v[0:1], v8, off
.LBB30_59:
	s_mov_b64 s[12:13], -1
.LBB30_60:
	s_mov_b64 s[18:19], 0
.LBB30_61:
	s_and_b64 vcc, exec, s[18:19]
	s_cbranch_vccz .LBB30_102
; %bb.62:
	s_cmp_gt_i32 s25, 22
	s_mov_b64 s[18:19], -1
	s_cbranch_scc0 .LBB30_94
; %bb.63:
	s_cmp_lt_i32 s25, 24
	s_mov_b64 s[12:13], -1
	s_cbranch_scc1 .LBB30_83
; %bb.64:
	s_cmp_gt_i32 s25, 24
	s_cbranch_scc0 .LBB30_72
; %bb.65:
	v_lshlrev_b32_e32 v7, 16, v4
	v_and_b32_e32 v6, 0x7fffffff, v7
	s_mov_b32 s12, 0x47800000
	v_cmp_gt_u32_e32 vcc, s12, v6
	v_mov_b32_e32 v8, 0x80
	s_and_saveexec_b64 s[12:13], vcc
	s_cbranch_execz .LBB30_71
; %bb.66:
	s_mov_b32 s18, 0x37ffffff
	v_and_b32_e32 v5, 0xffff, v4
	v_cmp_lt_u32_e32 vcc, s18, v6
	s_mov_b64 s[18:19], 0
                                        ; implicit-def: $vgpr6
	s_and_saveexec_b64 s[22:23], vcc
	s_xor_b64 s[22:23], exec, s[22:23]
	s_cbranch_execz .LBB30_283
; %bb.67:
	v_bfe_u32 v6, v5, 5, 1
	s_mov_b32 s26, 0x88fffff
	v_add3_u32 v6, v7, v6, s26
	s_mov_b64 s[18:19], exec
	v_lshrrev_b32_e32 v6, 21, v6
                                        ; implicit-def: $vgpr7
	s_andn2_saveexec_b64 s[22:23], s[22:23]
	s_cbranch_execnz .LBB30_284
.LBB30_68:
	s_or_b64 exec, exec, s[22:23]
	v_mov_b32_e32 v8, 0
	s_and_saveexec_b64 s[22:23], s[18:19]
.LBB30_69:
	v_lshrrev_b32_e32 v5, 8, v5
	s_movk_i32 s18, 0x80
	v_and_or_b32 v8, v5, s18, v6
.LBB30_70:
	s_or_b64 exec, exec, s[22:23]
.LBB30_71:
	s_or_b64 exec, exec, s[12:13]
	s_mov_b64 s[12:13], 0
	global_store_byte v[0:1], v8, off
.LBB30_72:
	s_and_b64 vcc, exec, s[12:13]
	s_cbranch_vccz .LBB30_82
; %bb.73:
	v_lshlrev_b32_e32 v7, 16, v4
	v_and_b32_e32 v8, 0x7fffffff, v7
	s_mov_b32 s12, 0x43f00000
	v_and_b32_e32 v5, 0xffff, v4
	v_cmp_gt_u32_e32 vcc, s12, v8
                                        ; implicit-def: $vgpr6
	s_and_saveexec_b64 s[12:13], vcc
	s_xor_b64 s[12:13], exec, s[12:13]
	s_cbranch_execz .LBB30_79
; %bb.74:
	s_mov_b32 s18, 0x3c7fffff
	v_cmp_lt_u32_e32 vcc, s18, v8
                                        ; implicit-def: $vgpr6
	s_and_saveexec_b64 s[18:19], vcc
	s_xor_b64 s[18:19], exec, s[18:19]
; %bb.75:
	v_bfe_u32 v6, v5, 4, 1
	s_mov_b32 s22, 0x407ffff
	v_add3_u32 v6, v7, v6, s22
	v_lshrrev_b32_e32 v7, 20, v6
	v_and_b32_e32 v6, 0xff00000, v6
	s_mov_b32 s22, 0x7f00000
	v_mov_b32_e32 v8, 0x7e
	v_cmp_ne_u32_e32 vcc, s22, v6
	v_cndmask_b32_e32 v6, v8, v7, vcc
                                        ; implicit-def: $vgpr7
; %bb.76:
	s_andn2_saveexec_b64 s[18:19], s[18:19]
; %bb.77:
	s_mov_b32 s22, 0x46800000
	v_add_f32_e64 v6, |v7|, s22
; %bb.78:
	s_or_b64 exec, exec, s[18:19]
                                        ; implicit-def: $vgpr8
.LBB30_79:
	s_andn2_saveexec_b64 s[12:13], s[12:13]
; %bb.80:
	s_mov_b32 s18, 0x7f800000
	v_mov_b32_e32 v6, 0x7e
	v_mov_b32_e32 v7, 0x7f
	v_cmp_lt_u32_e32 vcc, s18, v8
	v_cndmask_b32_e32 v6, v6, v7, vcc
; %bb.81:
	s_or_b64 exec, exec, s[12:13]
	v_lshrrev_b32_e32 v5, 8, v5
	s_movk_i32 s12, 0x80
	v_and_or_b32 v5, v5, s12, v6
	global_store_byte v[0:1], v5, off
.LBB30_82:
	s_mov_b64 s[12:13], 0
.LBB30_83:
	s_andn2_b64 vcc, exec, s[12:13]
	s_cbranch_vccnz .LBB30_93
; %bb.84:
	v_lshlrev_b32_e32 v7, 16, v4
	v_and_b32_e32 v8, 0x7fffffff, v7
	s_mov_b32 s12, 0x47800000
	v_and_b32_e32 v5, 0xffff, v4
	v_cmp_gt_u32_e32 vcc, s12, v8
                                        ; implicit-def: $vgpr6
	s_and_saveexec_b64 s[12:13], vcc
	s_xor_b64 s[12:13], exec, s[12:13]
	s_cbranch_execz .LBB30_90
; %bb.85:
	s_mov_b32 s18, 0x387fffff
	v_cmp_lt_u32_e32 vcc, s18, v8
                                        ; implicit-def: $vgpr6
	s_and_saveexec_b64 s[18:19], vcc
	s_xor_b64 s[18:19], exec, s[18:19]
; %bb.86:
	v_bfe_u32 v6, v5, 5, 1
	s_mov_b32 s22, 0x80fffff
	v_add3_u32 v6, v7, v6, s22
	v_lshrrev_b32_e32 v6, 21, v6
                                        ; implicit-def: $vgpr7
; %bb.87:
	s_andn2_saveexec_b64 s[18:19], s[18:19]
; %bb.88:
	s_mov_b32 s22, 0x43000000
	v_add_f32_e64 v6, |v7|, s22
; %bb.89:
	s_or_b64 exec, exec, s[18:19]
                                        ; implicit-def: $vgpr8
.LBB30_90:
	s_andn2_saveexec_b64 s[12:13], s[12:13]
; %bb.91:
	s_mov_b32 s18, 0x7f800000
	v_mov_b32_e32 v6, 0x7c
	v_mov_b32_e32 v7, 0x7f
	v_cmp_lt_u32_e32 vcc, s18, v8
	v_cndmask_b32_e32 v6, v6, v7, vcc
; %bb.92:
	s_or_b64 exec, exec, s[12:13]
	v_lshrrev_b32_e32 v5, 8, v5
	s_movk_i32 s12, 0x80
	v_and_or_b32 v5, v5, s12, v6
	global_store_byte v[0:1], v5, off
.LBB30_93:
	s_mov_b64 s[18:19], 0
	s_mov_b64 s[12:13], -1
.LBB30_94:
	s_andn2_b64 vcc, exec, s[18:19]
	s_cbranch_vccnz .LBB30_102
; %bb.95:
	s_cmp_gt_i32 s25, 14
	s_mov_b64 s[18:19], -1
	s_cbranch_scc0 .LBB30_99
; %bb.96:
	s_cmp_eq_u32 s25, 15
	s_mov_b64 s[0:1], -1
	s_cbranch_scc0 .LBB30_98
; %bb.97:
	global_store_short v[0:1], v4, off
	s_mov_b64 s[12:13], -1
	s_mov_b64 s[0:1], 0
.LBB30_98:
	s_mov_b64 s[18:19], 0
.LBB30_99:
	s_and_b64 vcc, exec, s[18:19]
	s_cbranch_vccz .LBB30_102
; %bb.100:
	s_cmp_eq_u32 s25, 11
	s_mov_b64 s[0:1], -1
	s_cbranch_scc0 .LBB30_102
; %bb.101:
	v_and_b32_e32 v5, 0x7fff, v4
	v_cmp_ne_u16_e32 vcc, 0, v5
	v_cndmask_b32_e64 v5, 0, 1, vcc
	s_mov_b64 s[12:13], -1
	s_mov_b64 s[0:1], 0
	global_store_byte v[0:1], v5, off
.LBB30_102:
	s_branch .LBB30_20
.LBB30_103:
	s_and_b32 s18, 0xffff, s24
	s_cmp_lt_i32 s18, 5
	s_mov_b64 s[12:13], -1
	s_cbranch_scc1 .LBB30_124
; %bb.104:
	s_cmp_lt_i32 s18, 8
	s_cbranch_scc1 .LBB30_114
; %bb.105:
	s_cmp_lt_i32 s18, 9
	s_cbranch_scc1 .LBB30_111
; %bb.106:
	s_cmp_gt_i32 s18, 9
	s_cbranch_scc0 .LBB30_108
; %bb.107:
	v_lshlrev_b32_e32 v5, 16, v4
	v_cvt_f64_f32_e32 v[5:6], v5
	v_mov_b32_e32 v7, 0
	v_mov_b32_e32 v8, v7
	s_mov_b64 s[12:13], 0
	global_store_dwordx4 v[0:1], v[5:8], off
.LBB30_108:
	s_andn2_b64 vcc, exec, s[12:13]
	s_cbranch_vccnz .LBB30_110
; %bb.109:
	v_lshlrev_b32_e32 v5, 16, v4
	v_mov_b32_e32 v6, 0
	global_store_dwordx2 v[0:1], v[5:6], off
.LBB30_110:
	s_mov_b64 s[12:13], 0
.LBB30_111:
	s_andn2_b64 vcc, exec, s[12:13]
	s_cbranch_vccnz .LBB30_113
; %bb.112:
	v_lshlrev_b32_e32 v5, 16, v4
	v_cvt_f16_f32_e32 v5, v5
	global_store_dword v[0:1], v5, off
.LBB30_113:
	s_mov_b64 s[12:13], 0
.LBB30_114:
	s_andn2_b64 vcc, exec, s[12:13]
	s_cbranch_vccnz .LBB30_123
; %bb.115:
	s_cmp_lt_i32 s18, 6
	s_mov_b64 s[12:13], -1
	s_cbranch_scc1 .LBB30_121
; %bb.116:
	s_cmp_gt_i32 s18, 6
	s_cbranch_scc0 .LBB30_118
; %bb.117:
	v_lshlrev_b32_e32 v5, 16, v4
	v_cvt_f64_f32_e32 v[5:6], v5
	s_mov_b64 s[12:13], 0
	global_store_dwordx2 v[0:1], v[5:6], off
.LBB30_118:
	s_andn2_b64 vcc, exec, s[12:13]
	s_cbranch_vccnz .LBB30_120
; %bb.119:
	v_lshlrev_b32_e32 v5, 16, v4
	global_store_dword v[0:1], v5, off
.LBB30_120:
	s_mov_b64 s[12:13], 0
.LBB30_121:
	s_andn2_b64 vcc, exec, s[12:13]
	s_cbranch_vccnz .LBB30_123
; %bb.122:
	v_lshlrev_b32_e32 v5, 16, v4
	v_cvt_f16_f32_e32 v5, v5
	global_store_short v[0:1], v5, off
.LBB30_123:
	s_mov_b64 s[12:13], 0
.LBB30_124:
	s_andn2_b64 vcc, exec, s[12:13]
	s_cbranch_vccnz .LBB30_140
; %bb.125:
	s_cmp_lt_i32 s18, 2
	s_mov_b64 s[12:13], -1
	s_cbranch_scc1 .LBB30_135
; %bb.126:
	s_cmp_lt_i32 s18, 3
	s_cbranch_scc1 .LBB30_132
; %bb.127:
	s_cmp_gt_i32 s18, 3
	s_cbranch_scc0 .LBB30_129
; %bb.128:
	v_lshlrev_b32_e32 v5, 16, v4
	v_trunc_f32_e32 v5, v5
	s_mov_b32 s12, 0x2f800000
	v_mul_f32_e64 v6, |v5|, s12
	v_floor_f32_e32 v6, v6
	s_mov_b32 s12, 0xcf800000
	v_cvt_u32_f32_e32 v7, v6
	v_fma_f32 v6, v6, s12, |v5|
	v_cvt_u32_f32_e32 v6, v6
	v_ashrrev_i32_e32 v8, 31, v5
	v_xor_b32_e32 v7, v7, v8
	s_mov_b64 s[12:13], 0
	v_xor_b32_e32 v5, v6, v8
	v_sub_co_u32_e32 v5, vcc, v5, v8
	v_subb_co_u32_e32 v6, vcc, v7, v8, vcc
	global_store_dwordx2 v[0:1], v[5:6], off
.LBB30_129:
	s_andn2_b64 vcc, exec, s[12:13]
	s_cbranch_vccnz .LBB30_131
; %bb.130:
	v_lshlrev_b32_e32 v5, 16, v4
	v_cvt_i32_f32_e32 v5, v5
	global_store_dword v[0:1], v5, off
.LBB30_131:
	s_mov_b64 s[12:13], 0
.LBB30_132:
	s_andn2_b64 vcc, exec, s[12:13]
	s_cbranch_vccnz .LBB30_134
; %bb.133:
	v_lshlrev_b32_e32 v5, 16, v4
	v_cvt_i32_f32_e32 v5, v5
	global_store_short v[0:1], v5, off
.LBB30_134:
	s_mov_b64 s[12:13], 0
.LBB30_135:
	s_andn2_b64 vcc, exec, s[12:13]
	s_cbranch_vccnz .LBB30_140
; %bb.136:
	s_mov_b64 s[12:13], -1
	s_cmp_gt_i32 s18, 0
	v_lshlrev_b32_e32 v4, 16, v4
	s_cbranch_scc0 .LBB30_138
; %bb.137:
	v_cvt_i32_f32_e32 v5, v4
	s_mov_b64 s[12:13], 0
	global_store_byte v[0:1], v5, off
.LBB30_138:
	s_andn2_b64 vcc, exec, s[12:13]
	s_cbranch_vccnz .LBB30_140
; %bb.139:
	v_trunc_f32_e32 v4, v4
	s_mov_b32 s12, 0x2f800000
	v_mul_f32_e64 v5, |v4|, s12
	v_floor_f32_e32 v5, v5
	s_mov_b32 s12, 0xcf800000
	v_fma_f32 v5, v5, s12, |v4|
	v_cvt_u32_f32_e32 v5, v5
	v_ashrrev_i32_e32 v4, 31, v4
	v_xor_b32_e32 v5, v5, v4
	v_sub_u32_e32 v4, v5, v4
	global_store_byte v[0:1], v4, off
.LBB30_140:
	s_branch .LBB30_21
.LBB30_141:
	s_mov_b64 s[18:19], 0
                                        ; implicit-def: $vgpr2
	s_branch .LBB30_251
.LBB30_142:
	s_mov_b64 s[14:15], -1
                                        ; implicit-def: $vgpr4
.LBB30_143:
	s_mov_b64 s[12:13], 0
.LBB30_144:
	s_and_b64 vcc, exec, s[12:13]
	s_cbranch_vccz .LBB30_148
; %bb.145:
	s_cmp_eq_u32 s22, 29
	s_cbranch_scc0 .LBB30_147
; %bb.146:
	global_load_dwordx2 v[4:5], v[0:1], off
	s_movk_i32 s12, 0x7fff
	s_mov_b64 s[0:1], -1
	s_mov_b64 s[14:15], 0
	s_waitcnt vmcnt(0)
	v_ffbh_u32_e32 v6, v5
	v_min_u32_e32 v6, 32, v6
	v_lshlrev_b64 v[4:5], v6, v[4:5]
	v_min_u32_e32 v4, 1, v4
	v_or_b32_e32 v4, v5, v4
	v_cvt_f32_u32_e32 v4, v4
	v_sub_u32_e32 v5, 32, v6
	v_ldexp_f32 v4, v4, v5
	v_bfe_u32 v5, v4, 16, 1
	v_add3_u32 v4, v4, v5, s12
	v_lshrrev_b32_e32 v4, 16, v4
	s_branch .LBB30_148
.LBB30_147:
	s_mov_b64 s[14:15], -1
                                        ; implicit-def: $vgpr4
.LBB30_148:
	s_mov_b64 s[12:13], 0
.LBB30_149:
	s_and_b64 vcc, exec, s[12:13]
	s_cbranch_vccz .LBB30_167
; %bb.150:
	s_cmp_lt_i32 s22, 27
	s_cbranch_scc1 .LBB30_153
; %bb.151:
	s_cmp_gt_i32 s22, 27
	s_cbranch_scc0 .LBB30_154
; %bb.152:
	global_load_dword v4, v[0:1], off
	s_movk_i32 s0, 0x7fff
	s_waitcnt vmcnt(0)
	v_cvt_f32_u32_e32 v4, v4
	v_bfe_u32 v5, v4, 16, 1
	v_add3_u32 v4, v4, v5, s0
	v_lshrrev_b32_e32 v4, 16, v4
	s_mov_b64 s[0:1], 0
	s_branch .LBB30_155
.LBB30_153:
	s_mov_b64 s[0:1], -1
                                        ; implicit-def: $vgpr4
	s_branch .LBB30_158
.LBB30_154:
	s_mov_b64 s[0:1], -1
                                        ; implicit-def: $vgpr4
.LBB30_155:
	s_andn2_b64 vcc, exec, s[0:1]
	s_cbranch_vccnz .LBB30_157
; %bb.156:
	global_load_ushort v4, v[0:1], off
	s_movk_i32 s0, 0x7fff
	s_waitcnt vmcnt(0)
	v_cvt_f32_u32_e32 v4, v4
	v_bfe_u32 v5, v4, 16, 1
	v_add3_u32 v4, v4, v5, s0
	v_lshrrev_b32_e32 v4, 16, v4
.LBB30_157:
	s_mov_b64 s[0:1], 0
.LBB30_158:
	s_andn2_b64 vcc, exec, s[0:1]
	s_cbranch_vccnz .LBB30_166
; %bb.159:
	global_load_ubyte v4, v[0:1], off
	s_movk_i32 s0, 0x7f
	s_waitcnt vmcnt(0)
	v_cmp_lt_i16_e32 vcc, s0, v4
	s_mov_b64 s[0:1], 0
	s_and_saveexec_b64 s[12:13], vcc
	s_xor_b64 s[12:13], exec, s[12:13]
	s_cbranch_execz .LBB30_179
; %bb.160:
	s_movk_i32 s0, 0x80
	v_cmp_eq_u16_e32 vcc, s0, v4
	s_mov_b64 s[0:1], -1
	s_and_saveexec_b64 s[18:19], vcc
; %bb.161:
	s_xor_b64 s[0:1], exec, -1
; %bb.162:
	s_or_b64 exec, exec, s[18:19]
	s_and_b64 s[0:1], s[0:1], exec
	s_or_saveexec_b64 s[12:13], s[12:13]
	v_mov_b32_e32 v5, 0x7f800001
	s_xor_b64 exec, exec, s[12:13]
	s_cbranch_execnz .LBB30_180
.LBB30_163:
	s_or_b64 exec, exec, s[12:13]
	s_and_saveexec_b64 s[12:13], s[0:1]
	s_cbranch_execz .LBB30_165
.LBB30_164:
	v_lshlrev_b32_e32 v5, 24, v4
	v_and_b32_e32 v4, 0xffff, v4
	v_and_b32_e32 v6, 7, v4
	v_ffbh_u32_e32 v8, v6
	v_min_u32_e32 v8, 32, v8
	v_subrev_u32_e32 v9, 28, v8
	v_bfe_u32 v7, v4, 3, 4
	v_lshlrev_b32_e32 v4, v9, v4
	v_sub_u32_e32 v8, 29, v8
	v_and_b32_e32 v4, 7, v4
	v_cmp_eq_u32_e32 vcc, 0, v7
	v_cndmask_b32_e32 v7, v7, v8, vcc
	v_cndmask_b32_e32 v4, v6, v4, vcc
	v_mov_b32_e32 v6, 0x3b800000
	v_lshlrev_b32_e32 v4, 20, v4
	v_and_b32_e32 v5, 0x80000000, v5
	v_lshl_add_u32 v6, v7, 23, v6
	v_or3_b32 v5, v5, v6, v4
.LBB30_165:
	s_or_b64 exec, exec, s[12:13]
	v_bfe_u32 v4, v5, 16, 1
	s_movk_i32 s0, 0x7fff
	v_add3_u32 v4, v5, v4, s0
	v_cmp_o_f32_e32 vcc, v5, v5
	v_mov_b32_e32 v5, 0x7fc0
	v_cndmask_b32_sdwa v4, v5, v4, vcc dst_sel:DWORD dst_unused:UNUSED_PAD src0_sel:DWORD src1_sel:WORD_1
.LBB30_166:
	s_mov_b64 s[0:1], -1
.LBB30_167:
	s_branch .LBB30_202
.LBB30_168:
	s_cmp_gt_i32 s22, 22
	s_cbranch_scc0 .LBB30_178
; %bb.169:
	s_cmp_lt_i32 s22, 24
	s_cbranch_scc1 .LBB30_181
; %bb.170:
	s_cmp_gt_i32 s22, 24
	s_cbranch_scc0 .LBB30_182
; %bb.171:
	global_load_ubyte v4, v[0:1], off
	s_movk_i32 s0, 0x7f
	s_waitcnt vmcnt(0)
	v_cmp_lt_i16_e32 vcc, s0, v4
	s_mov_b64 s[0:1], 0
	s_and_saveexec_b64 s[12:13], vcc
	s_xor_b64 s[12:13], exec, s[12:13]
	s_cbranch_execz .LBB30_194
; %bb.172:
	s_movk_i32 s0, 0x80
	v_cmp_eq_u16_e32 vcc, s0, v4
	s_mov_b64 s[0:1], -1
	s_and_saveexec_b64 s[18:19], vcc
; %bb.173:
	s_xor_b64 s[0:1], exec, -1
; %bb.174:
	s_or_b64 exec, exec, s[18:19]
	s_and_b64 s[0:1], s[0:1], exec
	s_or_saveexec_b64 s[12:13], s[12:13]
	v_mov_b32_e32 v5, 0x7f800001
	s_xor_b64 exec, exec, s[12:13]
	s_cbranch_execnz .LBB30_195
.LBB30_175:
	s_or_b64 exec, exec, s[12:13]
	s_and_saveexec_b64 s[12:13], s[0:1]
	s_cbranch_execz .LBB30_177
.LBB30_176:
	v_lshlrev_b32_e32 v5, 24, v4
	v_and_b32_e32 v4, 0xffff, v4
	v_and_b32_e32 v6, 3, v4
	v_ffbh_u32_e32 v8, v6
	v_min_u32_e32 v8, 32, v8
	v_subrev_u32_e32 v9, 29, v8
	v_bfe_u32 v7, v4, 2, 5
	v_lshlrev_b32_e32 v4, v9, v4
	v_sub_u32_e32 v8, 30, v8
	v_and_b32_e32 v4, 3, v4
	v_cmp_eq_u32_e32 vcc, 0, v7
	v_cndmask_b32_e32 v7, v7, v8, vcc
	v_cndmask_b32_e32 v4, v6, v4, vcc
	v_mov_b32_e32 v6, 0x37800000
	v_lshlrev_b32_e32 v4, 21, v4
	v_and_b32_e32 v5, 0x80000000, v5
	v_lshl_add_u32 v6, v7, 23, v6
	v_or3_b32 v5, v5, v6, v4
.LBB30_177:
	s_or_b64 exec, exec, s[12:13]
	v_bfe_u32 v4, v5, 16, 1
	s_movk_i32 s0, 0x7fff
	v_add3_u32 v4, v5, v4, s0
	v_cmp_o_f32_e32 vcc, v5, v5
	v_mov_b32_e32 v5, 0x7fc0
	v_cndmask_b32_sdwa v4, v5, v4, vcc dst_sel:DWORD dst_unused:UNUSED_PAD src0_sel:DWORD src1_sel:WORD_1
	s_mov_b64 s[0:1], 0
	s_branch .LBB30_183
.LBB30_178:
	s_mov_b64 s[12:13], -1
                                        ; implicit-def: $vgpr4
	s_branch .LBB30_189
.LBB30_179:
	s_or_saveexec_b64 s[12:13], s[12:13]
	v_mov_b32_e32 v5, 0x7f800001
	s_xor_b64 exec, exec, s[12:13]
	s_cbranch_execz .LBB30_163
.LBB30_180:
	v_cmp_ne_u16_e32 vcc, 0, v4
	s_andn2_b64 s[0:1], s[0:1], exec
	s_and_b64 s[18:19], vcc, exec
	v_mov_b32_e32 v5, 0
	s_or_b64 s[0:1], s[0:1], s[18:19]
	s_or_b64 exec, exec, s[12:13]
	s_and_saveexec_b64 s[12:13], s[0:1]
	s_cbranch_execnz .LBB30_164
	s_branch .LBB30_165
.LBB30_181:
	s_mov_b64 s[0:1], -1
                                        ; implicit-def: $vgpr4
	s_branch .LBB30_186
.LBB30_182:
	s_mov_b64 s[0:1], -1
                                        ; implicit-def: $vgpr4
.LBB30_183:
	s_and_b64 vcc, exec, s[0:1]
	s_cbranch_vccz .LBB30_185
; %bb.184:
	global_load_ubyte v4, v[0:1], off
	s_mov_b32 s0, 0x7f800000
	s_brev_b32 s1, 1
	s_movk_i32 s12, 0x7fff
	s_waitcnt vmcnt(0)
	v_lshlrev_b32_e32 v4, 24, v4
	v_and_b32_e32 v5, 0x7f000000, v4
	v_ffbh_u32_e32 v6, v5
	v_min_u32_e32 v6, 32, v6
	v_sub_u32_e64 v6, v6, 4 clamp
	v_lshlrev_b32_e32 v8, v6, v5
	v_lshlrev_b32_e32 v6, 23, v6
	v_lshrrev_b32_e32 v8, 4, v8
	v_add_u32_e32 v7, 0x1000000, v5
	v_sub_u32_e32 v6, v8, v6
	v_ashrrev_i32_e32 v7, 8, v7
	v_add_u32_e32 v6, 0x3c000000, v6
	v_and_or_b32 v6, v7, s0, v6
	v_cmp_ne_u32_e32 vcc, 0, v5
	v_cndmask_b32_e32 v5, 0, v6, vcc
	v_and_or_b32 v4, v4, s1, v5
	v_bfe_u32 v5, v5, 16, 1
	v_add3_u32 v5, v4, v5, s12
	v_cmp_o_f32_e32 vcc, v4, v4
	v_mov_b32_e32 v4, 0x7fc0
	v_cndmask_b32_sdwa v4, v4, v5, vcc dst_sel:DWORD dst_unused:UNUSED_PAD src0_sel:DWORD src1_sel:WORD_1
.LBB30_185:
	s_mov_b64 s[0:1], 0
.LBB30_186:
	s_andn2_b64 vcc, exec, s[0:1]
	s_cbranch_vccnz .LBB30_188
; %bb.187:
	global_load_ubyte v4, v[0:1], off
	s_movk_i32 s0, 0x7f00
	s_brev_b32 s1, 16
	s_brev_b32 s12, 1
	s_movk_i32 s13, 0x7fff
	s_waitcnt vmcnt(0)
	v_lshlrev_b16_e32 v5, 8, v4
	v_lshlrev_b32_e32 v4, 25, v4
	v_lshrrev_b32_e32 v6, 4, v4
	v_and_or_b32 v7, v5, s0, 0.5
	v_or_b32_e32 v6, 0x70000000, v6
	v_add_f32_e32 v7, -0.5, v7
	v_mul_f32_e32 v6, 0x7800000, v6
	v_cmp_gt_u32_e32 vcc, s1, v4
	v_bfe_i32 v5, v5, 0, 16
	v_cndmask_b32_e32 v4, v6, v7, vcc
	v_and_or_b32 v5, v5, s12, v4
	v_bfe_u32 v4, v4, 16, 1
	v_add3_u32 v4, v5, v4, s13
	v_cmp_o_f32_e32 vcc, v5, v5
	v_mov_b32_e32 v5, 0x7fc0
	v_cndmask_b32_sdwa v4, v5, v4, vcc dst_sel:DWORD dst_unused:UNUSED_PAD src0_sel:DWORD src1_sel:WORD_1
.LBB30_188:
	s_mov_b64 s[12:13], 0
	s_mov_b64 s[0:1], -1
.LBB30_189:
	s_andn2_b64 vcc, exec, s[12:13]
	s_cbranch_vccnz .LBB30_202
; %bb.190:
	s_cmp_gt_i32 s22, 14
	s_cbranch_scc0 .LBB30_193
; %bb.191:
	s_cmp_eq_u32 s22, 15
	s_cbranch_scc0 .LBB30_196
; %bb.192:
	global_load_ushort v4, v[0:1], off
	s_mov_b64 s[0:1], -1
	s_mov_b64 s[14:15], 0
	s_branch .LBB30_197
.LBB30_193:
	s_mov_b64 s[12:13], -1
                                        ; implicit-def: $vgpr4
	s_branch .LBB30_198
.LBB30_194:
	s_or_saveexec_b64 s[12:13], s[12:13]
	v_mov_b32_e32 v5, 0x7f800001
	s_xor_b64 exec, exec, s[12:13]
	s_cbranch_execz .LBB30_175
.LBB30_195:
	v_cmp_ne_u16_e32 vcc, 0, v4
	s_andn2_b64 s[0:1], s[0:1], exec
	s_and_b64 s[18:19], vcc, exec
	v_mov_b32_e32 v5, 0
	s_or_b64 s[0:1], s[0:1], s[18:19]
	s_or_b64 exec, exec, s[12:13]
	s_and_saveexec_b64 s[12:13], s[0:1]
	s_cbranch_execnz .LBB30_176
	s_branch .LBB30_177
.LBB30_196:
	s_mov_b64 s[14:15], -1
                                        ; implicit-def: $vgpr4
.LBB30_197:
	s_mov_b64 s[12:13], 0
.LBB30_198:
	s_and_b64 vcc, exec, s[12:13]
	s_cbranch_vccz .LBB30_202
; %bb.199:
	s_cmp_eq_u32 s22, 11
	s_cbranch_scc0 .LBB30_201
; %bb.200:
	global_load_ubyte v4, v[0:1], off
	s_mov_b64 s[0:1], -1
	s_mov_b64 s[14:15], 0
	s_waitcnt vmcnt(0)
	v_cmp_ne_u16_e32 vcc, 0, v4
	v_cndmask_b32_e64 v4, 0, 1.0, vcc
	v_lshrrev_b32_e32 v4, 16, v4
	s_branch .LBB30_202
.LBB30_201:
	s_mov_b64 s[14:15], -1
                                        ; implicit-def: $vgpr4
.LBB30_202:
	s_branch .LBB30_10
.LBB30_203:
	s_cmp_lt_i32 s22, 5
	s_cbranch_scc1 .LBB30_208
; %bb.204:
	s_cmp_lt_i32 s22, 8
	s_cbranch_scc1 .LBB30_209
; %bb.205:
	;; [unrolled: 3-line block ×3, first 2 shown]
	s_cmp_gt_i32 s22, 9
	s_cbranch_scc0 .LBB30_211
; %bb.207:
	global_load_dwordx2 v[4:5], v[0:1], off
	s_movk_i32 s0, 0x7fff
	s_waitcnt vmcnt(0)
	v_cvt_f32_f64_e32 v4, v[4:5]
	v_mov_b32_e32 v5, 0x7fc0
	v_bfe_u32 v6, v4, 16, 1
	v_cmp_o_f32_e32 vcc, v4, v4
	v_add3_u32 v4, v4, v6, s0
	v_cndmask_b32_sdwa v4, v5, v4, vcc dst_sel:DWORD dst_unused:UNUSED_PAD src0_sel:DWORD src1_sel:WORD_1
	s_mov_b64 s[0:1], 0
	s_branch .LBB30_212
.LBB30_208:
                                        ; implicit-def: $vgpr4
	s_branch .LBB30_230
.LBB30_209:
	s_mov_b64 s[0:1], -1
                                        ; implicit-def: $vgpr4
	s_branch .LBB30_218
.LBB30_210:
	s_mov_b64 s[0:1], -1
                                        ; implicit-def: $vgpr4
	s_branch .LBB30_215
.LBB30_211:
	s_mov_b64 s[0:1], -1
                                        ; implicit-def: $vgpr4
.LBB30_212:
	s_andn2_b64 vcc, exec, s[0:1]
	s_cbranch_vccnz .LBB30_214
; %bb.213:
	global_load_dword v4, v[0:1], off
	s_movk_i32 s0, 0x7fff
	v_mov_b32_e32 v5, 0x7fc0
	s_waitcnt vmcnt(0)
	v_bfe_u32 v6, v4, 16, 1
	v_cmp_o_f32_e32 vcc, v4, v4
	v_add3_u32 v4, v4, v6, s0
	v_cndmask_b32_sdwa v4, v5, v4, vcc dst_sel:DWORD dst_unused:UNUSED_PAD src0_sel:DWORD src1_sel:WORD_1
.LBB30_214:
	s_mov_b64 s[0:1], 0
.LBB30_215:
	s_andn2_b64 vcc, exec, s[0:1]
	s_cbranch_vccnz .LBB30_217
; %bb.216:
	global_load_dword v4, v[0:1], off
	s_movk_i32 s0, 0x7fff
	v_mov_b32_e32 v6, 0x7fc0
	s_waitcnt vmcnt(0)
	v_cvt_f32_f16_e32 v5, v4
	v_cmp_o_f16_e32 vcc, v4, v4
	v_bfe_u32 v4, v5, 16, 1
	v_add3_u32 v4, v5, v4, s0
	v_cndmask_b32_sdwa v4, v6, v4, vcc dst_sel:DWORD dst_unused:UNUSED_PAD src0_sel:DWORD src1_sel:WORD_1
.LBB30_217:
	s_mov_b64 s[0:1], 0
.LBB30_218:
	s_andn2_b64 vcc, exec, s[0:1]
	s_cbranch_vccnz .LBB30_229
; %bb.219:
	s_cmp_lt_i32 s22, 6
	s_cbranch_scc1 .LBB30_222
; %bb.220:
	s_cmp_gt_i32 s22, 6
	s_cbranch_scc0 .LBB30_223
; %bb.221:
	global_load_dwordx2 v[4:5], v[0:1], off
	s_movk_i32 s0, 0x7fff
	s_waitcnt vmcnt(0)
	v_cvt_f32_f64_e32 v4, v[4:5]
	v_mov_b32_e32 v5, 0x7fc0
	v_bfe_u32 v6, v4, 16, 1
	v_cmp_o_f32_e32 vcc, v4, v4
	v_add3_u32 v4, v4, v6, s0
	v_cndmask_b32_sdwa v4, v5, v4, vcc dst_sel:DWORD dst_unused:UNUSED_PAD src0_sel:DWORD src1_sel:WORD_1
	s_mov_b64 s[0:1], 0
	s_branch .LBB30_224
.LBB30_222:
	s_mov_b64 s[0:1], -1
                                        ; implicit-def: $vgpr4
	s_branch .LBB30_227
.LBB30_223:
	s_mov_b64 s[0:1], -1
                                        ; implicit-def: $vgpr4
.LBB30_224:
	s_andn2_b64 vcc, exec, s[0:1]
	s_cbranch_vccnz .LBB30_226
; %bb.225:
	global_load_dword v4, v[0:1], off
	s_movk_i32 s0, 0x7fff
	v_mov_b32_e32 v5, 0x7fc0
	s_waitcnt vmcnt(0)
	v_bfe_u32 v6, v4, 16, 1
	v_cmp_o_f32_e32 vcc, v4, v4
	v_add3_u32 v4, v4, v6, s0
	v_cndmask_b32_sdwa v4, v5, v4, vcc dst_sel:DWORD dst_unused:UNUSED_PAD src0_sel:DWORD src1_sel:WORD_1
.LBB30_226:
	s_mov_b64 s[0:1], 0
.LBB30_227:
	s_andn2_b64 vcc, exec, s[0:1]
	s_cbranch_vccnz .LBB30_229
; %bb.228:
	global_load_ushort v4, v[0:1], off
	s_movk_i32 s0, 0x7fff
	v_mov_b32_e32 v6, 0x7fc0
	s_waitcnt vmcnt(0)
	v_cvt_f32_f16_e32 v5, v4
	v_cmp_o_f16_e32 vcc, v4, v4
	v_bfe_u32 v4, v5, 16, 1
	v_add3_u32 v4, v5, v4, s0
	v_cndmask_b32_sdwa v4, v6, v4, vcc dst_sel:DWORD dst_unused:UNUSED_PAD src0_sel:DWORD src1_sel:WORD_1
.LBB30_229:
	s_cbranch_execnz .LBB30_249
.LBB30_230:
	s_cmp_lt_i32 s22, 2
	s_cbranch_scc1 .LBB30_234
; %bb.231:
	s_cmp_lt_i32 s22, 3
	s_cbranch_scc1 .LBB30_235
; %bb.232:
	s_cmp_gt_i32 s22, 3
	s_cbranch_scc0 .LBB30_236
; %bb.233:
	global_load_dwordx2 v[4:5], v[0:1], off
	s_movk_i32 s0, 0x7fff
	s_waitcnt vmcnt(0)
	v_xor_b32_e32 v7, v4, v5
	v_ffbh_i32_e32 v6, v5
	v_ashrrev_i32_e32 v7, 31, v7
	v_add_u32_e32 v6, -1, v6
	v_add_u32_e32 v7, 32, v7
	v_min_u32_e32 v6, v6, v7
	v_lshlrev_b64 v[4:5], v6, v[4:5]
	v_min_u32_e32 v4, 1, v4
	v_or_b32_e32 v4, v5, v4
	v_cvt_f32_i32_e32 v4, v4
	v_sub_u32_e32 v5, 32, v6
	v_ldexp_f32 v4, v4, v5
	v_bfe_u32 v5, v4, 16, 1
	v_add3_u32 v4, v4, v5, s0
	v_lshrrev_b32_e32 v4, 16, v4
	s_mov_b64 s[0:1], 0
	s_branch .LBB30_237
.LBB30_234:
	s_mov_b64 s[0:1], -1
                                        ; implicit-def: $vgpr4
	s_branch .LBB30_243
.LBB30_235:
	s_mov_b64 s[0:1], -1
                                        ; implicit-def: $vgpr4
	s_branch .LBB30_240
.LBB30_236:
	s_mov_b64 s[0:1], -1
                                        ; implicit-def: $vgpr4
.LBB30_237:
	s_andn2_b64 vcc, exec, s[0:1]
	s_cbranch_vccnz .LBB30_239
; %bb.238:
	global_load_dword v4, v[0:1], off
	s_movk_i32 s0, 0x7fff
	s_waitcnt vmcnt(0)
	v_cvt_f32_i32_e32 v4, v4
	v_bfe_u32 v5, v4, 16, 1
	v_add3_u32 v4, v4, v5, s0
	v_lshrrev_b32_e32 v4, 16, v4
.LBB30_239:
	s_mov_b64 s[0:1], 0
.LBB30_240:
	s_andn2_b64 vcc, exec, s[0:1]
	s_cbranch_vccnz .LBB30_242
; %bb.241:
	global_load_sshort v4, v[0:1], off
	s_movk_i32 s0, 0x7fff
	s_waitcnt vmcnt(0)
	v_cvt_f32_i32_e32 v4, v4
	v_bfe_u32 v5, v4, 16, 1
	v_add3_u32 v4, v4, v5, s0
	v_lshrrev_b32_e32 v4, 16, v4
.LBB30_242:
	s_mov_b64 s[0:1], 0
.LBB30_243:
	s_andn2_b64 vcc, exec, s[0:1]
	s_cbranch_vccnz .LBB30_249
; %bb.244:
	s_cmp_gt_i32 s22, 0
	s_cbranch_scc0 .LBB30_246
; %bb.245:
	global_load_sbyte v4, v[0:1], off
	s_movk_i32 s0, 0x7fff
	s_waitcnt vmcnt(0)
	v_cvt_f32_i32_e32 v4, v4
	v_bfe_u32 v5, v4, 16, 1
	v_add3_u32 v4, v4, v5, s0
	v_lshrrev_b32_e32 v4, 16, v4
	s_mov_b64 s[0:1], 0
	s_branch .LBB30_247
.LBB30_246:
	s_mov_b64 s[0:1], -1
                                        ; implicit-def: $vgpr4
.LBB30_247:
	s_andn2_b64 vcc, exec, s[0:1]
	s_cbranch_vccnz .LBB30_249
; %bb.248:
	global_load_ubyte v0, v[0:1], off
	s_movk_i32 s0, 0x7fff
	s_waitcnt vmcnt(0)
	v_cvt_f32_ubyte0_e32 v0, v0
	v_bfe_u32 v1, v0, 16, 1
	v_add3_u32 v0, v0, v1, s0
	v_lshrrev_b32_e32 v4, 16, v0
.LBB30_249:
	s_branch .LBB30_11
.LBB30_250:
	s_mov_b64 s[0:1], 0
                                        ; implicit-def: $vgpr2
	s_mov_b64 s[18:19], 0
.LBB30_251:
	s_and_b64 s[12:13], s[0:1], exec
	s_and_b64 s[14:15], s[14:15], exec
	s_orn2_b64 s[18:19], s[18:19], exec
.LBB30_252:
	s_or_b64 exec, exec, s[16:17]
	s_mov_b64 s[22:23], 0
	s_mov_b64 s[0:1], 0
                                        ; implicit-def: $vgpr0_vgpr1
                                        ; implicit-def: $vgpr5
	s_and_saveexec_b64 s[16:17], s[18:19]
	s_cbranch_execz .LBB30_261
; %bb.253:
	v_cmp_gt_i32_e32 vcc, s38, v2
	s_mov_b64 s[0:1], -1
	s_mov_b64 s[18:19], s[14:15]
	s_mov_b64 s[20:21], s[12:13]
	s_and_saveexec_b64 s[22:23], vcc
	s_cbranch_execz .LBB30_514
; %bb.254:
	v_mul_lo_u32 v0, v2, s3
	v_mov_b32_e32 v1, s11
	s_and_b32 s26, 0xffff, s43
	s_cmp_lt_i32 s26, 11
	s_waitcnt vmcnt(0)
	v_ashrrev_i32_e32 v4, 31, v0
	v_add_co_u32_e32 v0, vcc, s10, v0
	v_addc_co_u32_e32 v1, vcc, v1, v4, vcc
	s_cbranch_scc1 .LBB30_264
; %bb.255:
	s_cmp_gt_i32 s26, 25
	s_cbranch_scc0 .LBB30_273
; %bb.256:
	s_cmp_gt_i32 s26, 28
	s_cbranch_scc0 .LBB30_275
	;; [unrolled: 3-line block ×4, first 2 shown]
; %bb.259:
	s_cmp_eq_u32 s26, 46
	s_mov_b64 s[20:21], 0
	s_cbranch_scc0 .LBB30_285
; %bb.260:
	global_load_dword v4, v[0:1], off
	s_mov_b64 s[18:19], 0
	s_branch .LBB30_286
.LBB30_261:
	s_or_b64 exec, exec, s[16:17]
	s_mov_b64 s[16:17], 0
	s_and_saveexec_b64 s[18:19], s[14:15]
	s_cbranch_execnz .LBB30_861
.LBB30_262:
	s_or_b64 exec, exec, s[18:19]
	s_and_saveexec_b64 s[14:15], s[20:21]
	s_xor_b64 s[14:15], exec, s[14:15]
	s_cbranch_execz .LBB30_862
.LBB30_263:
	global_load_ubyte v4, v[0:1], off
	s_or_b64 s[0:1], s[0:1], exec
	s_waitcnt vmcnt(0)
	v_cmp_ne_u16_e32 vcc, 0, v4
	v_cndmask_b32_e64 v4, 0, 1.0, vcc
	v_lshrrev_b32_e32 v5, 16, v4
	s_or_b64 exec, exec, s[14:15]
	s_and_saveexec_b64 s[14:15], s[22:23]
	s_cbranch_execz .LBB30_908
	s_branch .LBB30_863
.LBB30_264:
	s_mov_b64 s[0:1], 0
                                        ; implicit-def: $vgpr4
	s_mov_b64 s[18:19], s[14:15]
	s_cbranch_execnz .LBB30_463
.LBB30_265:
	s_andn2_b64 vcc, exec, s[0:1]
	s_cbranch_vccnz .LBB30_511
.LBB30_266:
	v_mul_lo_u32 v1, v2, s2
	s_waitcnt vmcnt(0)
	v_lshlrev_b32_e32 v0, 16, v4
	v_cmp_nle_f32_e32 vcc, v3, v0
	v_cmp_nge_f32_e64 s[0:1], s44, v0
	s_or_b64 vcc, s[0:1], vcc
	v_cndmask_b32_e32 v4, 0, v4, vcc
	v_ashrrev_i32_e32 v5, 31, v1
	v_mov_b32_e32 v6, s9
	s_and_b32 s28, s33, 0xff
	v_add_co_u32_e32 v0, vcc, s8, v1
	s_cmp_lt_i32 s28, 11
	v_addc_co_u32_e32 v1, vcc, v6, v5, vcc
	s_cbranch_scc1 .LBB30_274
; %bb.267:
	s_and_b32 s29, 0xffff, s28
	s_cmp_gt_i32 s29, 25
	s_cbranch_scc0 .LBB30_276
; %bb.268:
	s_cmp_gt_i32 s29, 28
	s_cbranch_scc0 .LBB30_278
; %bb.269:
	;; [unrolled: 3-line block ×4, first 2 shown]
	s_mov_b64 s[24:25], 0
	s_mov_b64 s[0:1], -1
	s_cmp_eq_u32 s29, 46
	s_mov_b64 s[20:21], 0
	s_cbranch_scc0 .LBB30_290
; %bb.272:
	v_and_b32_e32 v5, 0xffff, v4
	global_store_dword v[0:1], v5, off
	s_mov_b64 s[20:21], -1
	s_mov_b64 s[0:1], 0
	s_branch .LBB30_290
.LBB30_273:
	s_mov_b64 s[20:21], -1
	s_mov_b64 s[0:1], 0
	s_mov_b64 s[18:19], s[14:15]
                                        ; implicit-def: $vgpr4
	s_branch .LBB30_427
.LBB30_274:
	s_mov_b64 s[24:25], -1
	s_mov_b64 s[20:21], 0
	s_mov_b64 s[0:1], s[12:13]
	s_branch .LBB30_359
.LBB30_275:
	s_mov_b64 s[20:21], -1
	s_mov_b64 s[0:1], 0
	s_mov_b64 s[18:19], s[14:15]
                                        ; implicit-def: $vgpr4
	s_branch .LBB30_408
.LBB30_276:
	s_mov_b64 s[24:25], -1
	s_mov_b64 s[20:21], 0
	s_mov_b64 s[0:1], s[12:13]
	s_branch .LBB30_317
.LBB30_277:
	s_mov_b64 s[20:21], -1
	s_mov_b64 s[0:1], 0
	s_mov_b64 s[18:19], s[14:15]
                                        ; implicit-def: $vgpr4
	s_branch .LBB30_403
.LBB30_278:
	s_mov_b64 s[24:25], -1
	s_mov_b64 s[20:21], 0
	s_mov_b64 s[0:1], s[12:13]
	s_branch .LBB30_300
.LBB30_279:
	s_andn2_saveexec_b64 s[22:23], s[22:23]
	s_cbranch_execz .LBB30_55
.LBB30_280:
	s_mov_b32 s26, 0x46000000
	v_add_f32_e64 v6, |v7|, s26
	v_and_b32_e32 v6, 0xff, v6
	v_cmp_ne_u32_e32 vcc, 0, v6
	s_andn2_b64 s[18:19], s[18:19], exec
	s_and_b64 s[26:27], vcc, exec
	s_or_b64 s[18:19], s[18:19], s[26:27]
	s_or_b64 exec, exec, s[22:23]
	v_mov_b32_e32 v8, 0
	s_and_saveexec_b64 s[22:23], s[18:19]
	s_cbranch_execnz .LBB30_56
	s_branch .LBB30_57
.LBB30_281:
	s_mov_b64 s[20:21], -1
	s_mov_b64 s[0:1], 0
	s_mov_b64 s[18:19], s[14:15]
                                        ; implicit-def: $vgpr4
	s_branch .LBB30_286
.LBB30_282:
	s_mov_b64 s[24:25], -1
	s_mov_b64 s[20:21], 0
	s_mov_b64 s[0:1], s[12:13]
	s_branch .LBB30_296
.LBB30_283:
	s_andn2_saveexec_b64 s[22:23], s[22:23]
	s_cbranch_execz .LBB30_68
.LBB30_284:
	s_mov_b32 s26, 0x42800000
	v_add_f32_e64 v6, |v7|, s26
	v_and_b32_e32 v6, 0xff, v6
	v_cmp_ne_u32_e32 vcc, 0, v6
	s_andn2_b64 s[18:19], s[18:19], exec
	s_and_b64 s[26:27], vcc, exec
	s_or_b64 s[18:19], s[18:19], s[26:27]
	s_or_b64 exec, exec, s[22:23]
	v_mov_b32_e32 v8, 0
	s_and_saveexec_b64 s[22:23], s[18:19]
	s_cbranch_execnz .LBB30_69
	s_branch .LBB30_70
.LBB30_285:
	s_mov_b64 s[18:19], -1
                                        ; implicit-def: $vgpr4
	s_mov_b64 s[0:1], 0
.LBB30_286:
	s_and_b64 vcc, exec, s[20:21]
	s_cbranch_vccz .LBB30_402
; %bb.287:
	s_cmp_eq_u32 s26, 44
	s_cbranch_scc0 .LBB30_401
; %bb.288:
	global_load_ubyte v4, v[0:1], off
	s_movk_i32 s18, 0xff
	v_mov_b32_e32 v5, 0x7f800001
	v_mov_b32_e32 v6, 0x400000
	;; [unrolled: 1-line block ×3, first 2 shown]
	s_mov_b64 s[0:1], -1
	s_waitcnt vmcnt(0)
	v_lshlrev_b32_e32 v8, 23, v4
	v_cmp_ne_u32_e32 vcc, s18, v4
	v_cndmask_b32_e32 v5, v5, v8, vcc
	v_cmp_ne_u32_e32 vcc, 0, v4
	v_cndmask_b32_e32 v4, v6, v5, vcc
	v_add_u32_e32 v5, 0x7fff, v4
	v_cmp_o_f32_e32 vcc, v4, v4
	v_cndmask_b32_sdwa v4, v7, v5, vcc dst_sel:DWORD dst_unused:UNUSED_PAD src0_sel:DWORD src1_sel:WORD_1
	s_mov_b64 s[18:19], 0
	s_branch .LBB30_402
.LBB30_289:
	s_mov_b64 s[24:25], -1
	s_mov_b64 s[20:21], 0
	s_mov_b64 s[0:1], s[12:13]
.LBB30_290:
	s_and_b64 vcc, exec, s[24:25]
	s_cbranch_vccz .LBB30_295
; %bb.291:
	s_cmp_eq_u32 s29, 44
	s_mov_b64 s[0:1], -1
	s_cbranch_scc0 .LBB30_295
; %bb.292:
	v_and_b32_e32 v6, 0xffff, v4
	v_bfe_u32 v5, v6, 7, 8
	s_movk_i32 s0, 0xff
	v_cmp_ne_u32_e32 vcc, s0, v5
	v_mov_b32_e32 v7, 0xff
	s_and_saveexec_b64 s[20:21], vcc
	s_cbranch_execz .LBB30_294
; %bb.293:
	v_lshlrev_b32_e32 v8, 16, v6
	s_mov_b32 s0, 0x3f0000
	v_lshrrev_b32_e32 v7, 7, v6
	v_and_b32_e32 v6, 64, v6
	v_and_or_b32 v5, v8, s0, v5
	v_cmp_ne_u32_e32 vcc, 0, v6
	v_cmp_ne_u32_e64 s[0:1], 0, v5
	s_and_b64 s[0:1], vcc, s[0:1]
	v_cndmask_b32_e64 v5, 0, 1, s[0:1]
	v_add_u32_e32 v7, v7, v5
.LBB30_294:
	s_or_b64 exec, exec, s[20:21]
	s_mov_b64 s[20:21], -1
	s_mov_b64 s[0:1], 0
	global_store_byte v[0:1], v7, off
.LBB30_295:
	s_mov_b64 s[24:25], 0
.LBB30_296:
	s_and_b64 vcc, exec, s[24:25]
	s_cbranch_vccz .LBB30_299
; %bb.297:
	s_cmp_eq_u32 s29, 29
	s_mov_b64 s[0:1], -1
	s_cbranch_scc0 .LBB30_299
; %bb.298:
	v_lshlrev_b32_e32 v5, 16, v4
	v_trunc_f32_e32 v5, v5
	v_mul_f32_e32 v6, 0x2f800000, v5
	v_floor_f32_e32 v7, v6
	v_fmac_f32_e32 v5, 0xcf800000, v7
	v_cvt_u32_f32_e32 v6, v7
	v_cvt_u32_f32_e32 v5, v5
	s_mov_b64 s[20:21], -1
	s_mov_b64 s[0:1], 0
	s_mov_b64 s[24:25], 0
	global_store_dwordx2 v[0:1], v[5:6], off
	s_branch .LBB30_300
.LBB30_299:
	s_mov_b64 s[24:25], 0
.LBB30_300:
	s_and_b64 vcc, exec, s[24:25]
	s_cbranch_vccz .LBB30_316
; %bb.301:
	s_cmp_lt_i32 s29, 27
	s_mov_b64 s[20:21], -1
	s_cbranch_scc1 .LBB30_307
; %bb.302:
	s_cmp_gt_i32 s29, 27
	s_cbranch_scc0 .LBB30_304
; %bb.303:
	v_lshlrev_b32_e32 v5, 16, v4
	v_cvt_u32_f32_e32 v5, v5
	s_mov_b64 s[20:21], 0
	global_store_dword v[0:1], v5, off
.LBB30_304:
	s_andn2_b64 vcc, exec, s[20:21]
	s_cbranch_vccnz .LBB30_306
; %bb.305:
	v_lshlrev_b32_e32 v5, 16, v4
	v_cvt_u32_f32_e32 v5, v5
	global_store_short v[0:1], v5, off
.LBB30_306:
	s_mov_b64 s[20:21], 0
.LBB30_307:
	s_andn2_b64 vcc, exec, s[20:21]
	s_cbranch_vccnz .LBB30_315
; %bb.308:
	v_lshlrev_b32_e32 v7, 16, v4
	v_and_b32_e32 v6, 0x7fffffff, v7
	s_mov_b32 s20, 0x43800000
	v_cmp_gt_u32_e32 vcc, s20, v6
	v_mov_b32_e32 v8, 0x80
	s_and_saveexec_b64 s[20:21], vcc
	s_cbranch_execz .LBB30_314
; %bb.309:
	s_mov_b32 s24, 0x3bffffff
	v_and_b32_e32 v5, 0xffff, v4
	v_cmp_lt_u32_e32 vcc, s24, v6
	s_mov_b64 s[24:25], 0
                                        ; implicit-def: $vgpr6
	s_and_saveexec_b64 s[26:27], vcc
	s_xor_b64 s[26:27], exec, s[26:27]
	s_cbranch_execz .LBB30_527
; %bb.310:
	v_bfe_u32 v6, v5, 4, 1
	s_mov_b32 s30, 0x487ffff
	v_add3_u32 v6, v7, v6, s30
	s_mov_b64 s[24:25], exec
	v_lshrrev_b32_e32 v6, 20, v6
                                        ; implicit-def: $vgpr7
	s_andn2_saveexec_b64 s[26:27], s[26:27]
	s_cbranch_execnz .LBB30_528
.LBB30_311:
	s_or_b64 exec, exec, s[26:27]
	v_mov_b32_e32 v8, 0
	s_and_saveexec_b64 s[26:27], s[24:25]
.LBB30_312:
	v_lshrrev_b32_e32 v5, 8, v5
	s_movk_i32 s24, 0x80
	v_and_or_b32 v8, v5, s24, v6
.LBB30_313:
	s_or_b64 exec, exec, s[26:27]
.LBB30_314:
	s_or_b64 exec, exec, s[20:21]
	global_store_byte v[0:1], v8, off
.LBB30_315:
	s_mov_b64 s[20:21], -1
.LBB30_316:
	s_mov_b64 s[24:25], 0
.LBB30_317:
	s_and_b64 vcc, exec, s[24:25]
	s_cbranch_vccz .LBB30_358
; %bb.318:
	s_cmp_gt_i32 s29, 22
	s_mov_b64 s[24:25], -1
	s_cbranch_scc0 .LBB30_350
; %bb.319:
	s_cmp_lt_i32 s29, 24
	s_mov_b64 s[20:21], -1
	s_cbranch_scc1 .LBB30_339
; %bb.320:
	s_cmp_gt_i32 s29, 24
	s_cbranch_scc0 .LBB30_328
; %bb.321:
	v_lshlrev_b32_e32 v7, 16, v4
	v_and_b32_e32 v6, 0x7fffffff, v7
	s_mov_b32 s20, 0x47800000
	v_cmp_gt_u32_e32 vcc, s20, v6
	v_mov_b32_e32 v8, 0x80
	s_and_saveexec_b64 s[20:21], vcc
	s_cbranch_execz .LBB30_327
; %bb.322:
	s_mov_b32 s24, 0x37ffffff
	v_and_b32_e32 v5, 0xffff, v4
	v_cmp_lt_u32_e32 vcc, s24, v6
	s_mov_b64 s[24:25], 0
                                        ; implicit-def: $vgpr6
	s_and_saveexec_b64 s[26:27], vcc
	s_xor_b64 s[26:27], exec, s[26:27]
	s_cbranch_execz .LBB30_530
; %bb.323:
	v_bfe_u32 v6, v5, 5, 1
	s_mov_b32 s30, 0x88fffff
	v_add3_u32 v6, v7, v6, s30
	s_mov_b64 s[24:25], exec
	v_lshrrev_b32_e32 v6, 21, v6
                                        ; implicit-def: $vgpr7
	s_andn2_saveexec_b64 s[26:27], s[26:27]
	s_cbranch_execnz .LBB30_531
.LBB30_324:
	s_or_b64 exec, exec, s[26:27]
	v_mov_b32_e32 v8, 0
	s_and_saveexec_b64 s[26:27], s[24:25]
.LBB30_325:
	v_lshrrev_b32_e32 v5, 8, v5
	s_movk_i32 s24, 0x80
	v_and_or_b32 v8, v5, s24, v6
.LBB30_326:
	s_or_b64 exec, exec, s[26:27]
.LBB30_327:
	s_or_b64 exec, exec, s[20:21]
	s_mov_b64 s[20:21], 0
	global_store_byte v[0:1], v8, off
.LBB30_328:
	s_and_b64 vcc, exec, s[20:21]
	s_cbranch_vccz .LBB30_338
; %bb.329:
	v_lshlrev_b32_e32 v7, 16, v4
	v_and_b32_e32 v8, 0x7fffffff, v7
	s_mov_b32 s20, 0x43f00000
	v_and_b32_e32 v5, 0xffff, v4
	v_cmp_gt_u32_e32 vcc, s20, v8
                                        ; implicit-def: $vgpr6
	s_and_saveexec_b64 s[20:21], vcc
	s_xor_b64 s[20:21], exec, s[20:21]
	s_cbranch_execz .LBB30_335
; %bb.330:
	s_mov_b32 s24, 0x3c7fffff
	v_cmp_lt_u32_e32 vcc, s24, v8
                                        ; implicit-def: $vgpr6
	s_and_saveexec_b64 s[24:25], vcc
	s_xor_b64 s[24:25], exec, s[24:25]
; %bb.331:
	v_bfe_u32 v6, v5, 4, 1
	s_mov_b32 s26, 0x407ffff
	v_add3_u32 v6, v7, v6, s26
	v_lshrrev_b32_e32 v7, 20, v6
	v_and_b32_e32 v6, 0xff00000, v6
	s_mov_b32 s26, 0x7f00000
	v_mov_b32_e32 v8, 0x7e
	v_cmp_ne_u32_e32 vcc, s26, v6
	v_cndmask_b32_e32 v6, v8, v7, vcc
                                        ; implicit-def: $vgpr7
; %bb.332:
	s_andn2_saveexec_b64 s[24:25], s[24:25]
; %bb.333:
	s_mov_b32 s26, 0x46800000
	v_add_f32_e64 v6, |v7|, s26
; %bb.334:
	s_or_b64 exec, exec, s[24:25]
                                        ; implicit-def: $vgpr8
.LBB30_335:
	s_andn2_saveexec_b64 s[20:21], s[20:21]
; %bb.336:
	s_mov_b32 s24, 0x7f800000
	v_mov_b32_e32 v6, 0x7e
	v_mov_b32_e32 v7, 0x7f
	v_cmp_lt_u32_e32 vcc, s24, v8
	v_cndmask_b32_e32 v6, v6, v7, vcc
; %bb.337:
	s_or_b64 exec, exec, s[20:21]
	v_lshrrev_b32_e32 v5, 8, v5
	s_movk_i32 s20, 0x80
	v_and_or_b32 v5, v5, s20, v6
	global_store_byte v[0:1], v5, off
.LBB30_338:
	s_mov_b64 s[20:21], 0
.LBB30_339:
	s_andn2_b64 vcc, exec, s[20:21]
	s_cbranch_vccnz .LBB30_349
; %bb.340:
	v_lshlrev_b32_e32 v7, 16, v4
	v_and_b32_e32 v8, 0x7fffffff, v7
	s_mov_b32 s20, 0x47800000
	v_and_b32_e32 v5, 0xffff, v4
	v_cmp_gt_u32_e32 vcc, s20, v8
                                        ; implicit-def: $vgpr6
	s_and_saveexec_b64 s[20:21], vcc
	s_xor_b64 s[20:21], exec, s[20:21]
	s_cbranch_execz .LBB30_346
; %bb.341:
	s_mov_b32 s24, 0x387fffff
	v_cmp_lt_u32_e32 vcc, s24, v8
                                        ; implicit-def: $vgpr6
	s_and_saveexec_b64 s[24:25], vcc
	s_xor_b64 s[24:25], exec, s[24:25]
; %bb.342:
	v_bfe_u32 v6, v5, 5, 1
	s_mov_b32 s26, 0x80fffff
	v_add3_u32 v6, v7, v6, s26
	v_lshrrev_b32_e32 v6, 21, v6
                                        ; implicit-def: $vgpr7
; %bb.343:
	s_andn2_saveexec_b64 s[24:25], s[24:25]
; %bb.344:
	s_mov_b32 s26, 0x43000000
	v_add_f32_e64 v6, |v7|, s26
; %bb.345:
	s_or_b64 exec, exec, s[24:25]
                                        ; implicit-def: $vgpr8
.LBB30_346:
	s_andn2_saveexec_b64 s[20:21], s[20:21]
; %bb.347:
	s_mov_b32 s24, 0x7f800000
	v_mov_b32_e32 v6, 0x7c
	v_mov_b32_e32 v7, 0x7f
	v_cmp_lt_u32_e32 vcc, s24, v8
	v_cndmask_b32_e32 v6, v6, v7, vcc
; %bb.348:
	s_or_b64 exec, exec, s[20:21]
	v_lshrrev_b32_e32 v5, 8, v5
	s_movk_i32 s20, 0x80
	v_and_or_b32 v5, v5, s20, v6
	global_store_byte v[0:1], v5, off
.LBB30_349:
	s_mov_b64 s[24:25], 0
	s_mov_b64 s[20:21], -1
.LBB30_350:
	s_andn2_b64 vcc, exec, s[24:25]
	s_cbranch_vccnz .LBB30_358
; %bb.351:
	s_cmp_gt_i32 s29, 14
	s_mov_b64 s[24:25], -1
	s_cbranch_scc0 .LBB30_355
; %bb.352:
	s_cmp_eq_u32 s29, 15
	s_mov_b64 s[0:1], -1
	s_cbranch_scc0 .LBB30_354
; %bb.353:
	global_store_short v[0:1], v4, off
	s_mov_b64 s[20:21], -1
	s_mov_b64 s[0:1], 0
.LBB30_354:
	s_mov_b64 s[24:25], 0
.LBB30_355:
	s_and_b64 vcc, exec, s[24:25]
	s_cbranch_vccz .LBB30_358
; %bb.356:
	s_cmp_eq_u32 s29, 11
	s_mov_b64 s[0:1], -1
	s_cbranch_scc0 .LBB30_358
; %bb.357:
	v_and_b32_e32 v5, 0x7fff, v4
	v_cmp_ne_u16_e32 vcc, 0, v5
	v_cndmask_b32_e64 v5, 0, 1, vcc
	s_mov_b64 s[20:21], -1
	s_mov_b64 s[0:1], 0
	global_store_byte v[0:1], v5, off
.LBB30_358:
	s_mov_b64 s[24:25], 0
.LBB30_359:
	s_and_b64 vcc, exec, s[24:25]
	s_cbranch_vccz .LBB30_398
; %bb.360:
	s_and_b32 s24, 0xffff, s28
	s_cmp_lt_i32 s24, 5
	s_mov_b64 s[20:21], -1
	s_cbranch_scc1 .LBB30_381
; %bb.361:
	s_cmp_lt_i32 s24, 8
	s_cbranch_scc1 .LBB30_371
; %bb.362:
	s_cmp_lt_i32 s24, 9
	s_cbranch_scc1 .LBB30_368
; %bb.363:
	s_cmp_gt_i32 s24, 9
	s_cbranch_scc0 .LBB30_365
; %bb.364:
	v_lshlrev_b32_e32 v5, 16, v4
	v_cvt_f64_f32_e32 v[5:6], v5
	v_mov_b32_e32 v7, 0
	v_mov_b32_e32 v8, v7
	s_mov_b64 s[20:21], 0
	global_store_dwordx4 v[0:1], v[5:8], off
.LBB30_365:
	s_andn2_b64 vcc, exec, s[20:21]
	s_cbranch_vccnz .LBB30_367
; %bb.366:
	v_lshlrev_b32_e32 v5, 16, v4
	v_mov_b32_e32 v6, 0
	global_store_dwordx2 v[0:1], v[5:6], off
.LBB30_367:
	s_mov_b64 s[20:21], 0
.LBB30_368:
	s_andn2_b64 vcc, exec, s[20:21]
	s_cbranch_vccnz .LBB30_370
; %bb.369:
	v_lshlrev_b32_e32 v5, 16, v4
	v_cvt_f16_f32_e32 v5, v5
	global_store_dword v[0:1], v5, off
.LBB30_370:
	s_mov_b64 s[20:21], 0
.LBB30_371:
	s_andn2_b64 vcc, exec, s[20:21]
	s_cbranch_vccnz .LBB30_380
; %bb.372:
	s_cmp_lt_i32 s24, 6
	s_mov_b64 s[20:21], -1
	s_cbranch_scc1 .LBB30_378
; %bb.373:
	s_cmp_gt_i32 s24, 6
	s_cbranch_scc0 .LBB30_375
; %bb.374:
	v_lshlrev_b32_e32 v5, 16, v4
	v_cvt_f64_f32_e32 v[5:6], v5
	s_mov_b64 s[20:21], 0
	global_store_dwordx2 v[0:1], v[5:6], off
.LBB30_375:
	s_andn2_b64 vcc, exec, s[20:21]
	s_cbranch_vccnz .LBB30_377
; %bb.376:
	v_lshlrev_b32_e32 v5, 16, v4
	global_store_dword v[0:1], v5, off
.LBB30_377:
	s_mov_b64 s[20:21], 0
.LBB30_378:
	s_andn2_b64 vcc, exec, s[20:21]
	s_cbranch_vccnz .LBB30_380
; %bb.379:
	v_lshlrev_b32_e32 v5, 16, v4
	v_cvt_f16_f32_e32 v5, v5
	global_store_short v[0:1], v5, off
.LBB30_380:
	s_mov_b64 s[20:21], 0
.LBB30_381:
	s_andn2_b64 vcc, exec, s[20:21]
	s_cbranch_vccnz .LBB30_397
; %bb.382:
	s_cmp_lt_i32 s24, 2
	s_mov_b64 s[20:21], -1
	s_cbranch_scc1 .LBB30_392
; %bb.383:
	s_cmp_lt_i32 s24, 3
	s_cbranch_scc1 .LBB30_389
; %bb.384:
	s_cmp_gt_i32 s24, 3
	s_cbranch_scc0 .LBB30_386
; %bb.385:
	v_lshlrev_b32_e32 v5, 16, v4
	v_trunc_f32_e32 v5, v5
	s_mov_b32 s20, 0x2f800000
	v_mul_f32_e64 v6, |v5|, s20
	v_floor_f32_e32 v6, v6
	s_mov_b32 s20, 0xcf800000
	v_cvt_u32_f32_e32 v7, v6
	v_fma_f32 v6, v6, s20, |v5|
	v_cvt_u32_f32_e32 v6, v6
	v_ashrrev_i32_e32 v8, 31, v5
	v_xor_b32_e32 v7, v7, v8
	s_mov_b64 s[20:21], 0
	v_xor_b32_e32 v5, v6, v8
	v_sub_co_u32_e32 v5, vcc, v5, v8
	v_subb_co_u32_e32 v6, vcc, v7, v8, vcc
	global_store_dwordx2 v[0:1], v[5:6], off
.LBB30_386:
	s_andn2_b64 vcc, exec, s[20:21]
	s_cbranch_vccnz .LBB30_388
; %bb.387:
	v_lshlrev_b32_e32 v5, 16, v4
	v_cvt_i32_f32_e32 v5, v5
	global_store_dword v[0:1], v5, off
.LBB30_388:
	s_mov_b64 s[20:21], 0
.LBB30_389:
	s_andn2_b64 vcc, exec, s[20:21]
	s_cbranch_vccnz .LBB30_391
; %bb.390:
	v_lshlrev_b32_e32 v5, 16, v4
	v_cvt_i32_f32_e32 v5, v5
	global_store_short v[0:1], v5, off
.LBB30_391:
	s_mov_b64 s[20:21], 0
.LBB30_392:
	s_andn2_b64 vcc, exec, s[20:21]
	s_cbranch_vccnz .LBB30_397
; %bb.393:
	s_mov_b64 s[20:21], -1
	s_cmp_gt_i32 s24, 0
	v_lshlrev_b32_e32 v4, 16, v4
	s_cbranch_scc0 .LBB30_395
; %bb.394:
	v_cvt_i32_f32_e32 v5, v4
	s_mov_b64 s[20:21], 0
	global_store_byte v[0:1], v5, off
.LBB30_395:
	s_andn2_b64 vcc, exec, s[20:21]
	s_cbranch_vccnz .LBB30_397
; %bb.396:
	v_trunc_f32_e32 v4, v4
	s_mov_b32 s20, 0x2f800000
	v_mul_f32_e64 v5, |v4|, s20
	v_floor_f32_e32 v5, v5
	s_mov_b32 s20, 0xcf800000
	v_fma_f32 v5, v5, s20, |v4|
	v_cvt_u32_f32_e32 v5, v5
	v_ashrrev_i32_e32 v4, 31, v4
	v_xor_b32_e32 v5, v5, v4
	v_sub_u32_e32 v4, v5, v4
	global_store_byte v[0:1], v4, off
.LBB30_397:
	s_mov_b64 s[20:21], -1
.LBB30_398:
	s_andn2_b64 vcc, exec, s[20:21]
	s_cbranch_vccnz .LBB30_400
; %bb.399:
	v_add_u32_e32 v2, 0x80, v2
	s_mov_b64 s[24:25], -1
	s_branch .LBB30_513
.LBB30_400:
	s_mov_b64 s[24:25], 0
	s_branch .LBB30_512
.LBB30_401:
	s_mov_b64 s[18:19], -1
                                        ; implicit-def: $vgpr4
.LBB30_402:
	s_mov_b64 s[20:21], 0
.LBB30_403:
	s_and_b64 vcc, exec, s[20:21]
	s_cbranch_vccz .LBB30_407
; %bb.404:
	s_cmp_eq_u32 s26, 29
	s_cbranch_scc0 .LBB30_406
; %bb.405:
	global_load_dwordx2 v[4:5], v[0:1], off
	s_movk_i32 s18, 0x7fff
	s_mov_b64 s[0:1], -1
	s_mov_b64 s[20:21], 0
	s_waitcnt vmcnt(0)
	v_ffbh_u32_e32 v6, v5
	v_min_u32_e32 v6, 32, v6
	v_lshlrev_b64 v[4:5], v6, v[4:5]
	v_min_u32_e32 v4, 1, v4
	v_or_b32_e32 v4, v5, v4
	v_cvt_f32_u32_e32 v4, v4
	v_sub_u32_e32 v5, 32, v6
	v_ldexp_f32 v4, v4, v5
	v_bfe_u32 v5, v4, 16, 1
	v_add3_u32 v4, v4, v5, s18
	v_lshrrev_b32_e32 v4, 16, v4
	s_mov_b64 s[18:19], 0
	s_branch .LBB30_408
.LBB30_406:
	s_mov_b64 s[18:19], -1
                                        ; implicit-def: $vgpr4
.LBB30_407:
	s_mov_b64 s[20:21], 0
.LBB30_408:
	s_and_b64 vcc, exec, s[20:21]
	s_cbranch_vccz .LBB30_426
; %bb.409:
	s_cmp_lt_i32 s26, 27
	s_cbranch_scc1 .LBB30_412
; %bb.410:
	s_cmp_gt_i32 s26, 27
	s_cbranch_scc0 .LBB30_413
; %bb.411:
	global_load_dword v4, v[0:1], off
	s_movk_i32 s0, 0x7fff
	s_waitcnt vmcnt(0)
	v_cvt_f32_u32_e32 v4, v4
	v_bfe_u32 v5, v4, 16, 1
	v_add3_u32 v4, v4, v5, s0
	v_lshrrev_b32_e32 v4, 16, v4
	s_mov_b64 s[0:1], 0
	s_branch .LBB30_414
.LBB30_412:
	s_mov_b64 s[0:1], -1
                                        ; implicit-def: $vgpr4
	s_branch .LBB30_417
.LBB30_413:
	s_mov_b64 s[0:1], -1
                                        ; implicit-def: $vgpr4
.LBB30_414:
	s_andn2_b64 vcc, exec, s[0:1]
	s_cbranch_vccnz .LBB30_416
; %bb.415:
	global_load_ushort v4, v[0:1], off
	s_movk_i32 s0, 0x7fff
	s_waitcnt vmcnt(0)
	v_cvt_f32_u32_e32 v4, v4
	v_bfe_u32 v5, v4, 16, 1
	v_add3_u32 v4, v4, v5, s0
	v_lshrrev_b32_e32 v4, 16, v4
.LBB30_416:
	s_mov_b64 s[0:1], 0
.LBB30_417:
	s_andn2_b64 vcc, exec, s[0:1]
	s_cbranch_vccnz .LBB30_425
; %bb.418:
	global_load_ubyte v4, v[0:1], off
	s_movk_i32 s0, 0x7f
	s_waitcnt vmcnt(0)
	v_cmp_lt_i16_e32 vcc, s0, v4
	s_mov_b64 s[0:1], 0
	s_and_saveexec_b64 s[20:21], vcc
	s_xor_b64 s[20:21], exec, s[20:21]
	s_cbranch_execz .LBB30_439
; %bb.419:
	s_movk_i32 s0, 0x80
	v_cmp_eq_u16_e32 vcc, s0, v4
	s_mov_b64 s[0:1], -1
	s_and_saveexec_b64 s[24:25], vcc
; %bb.420:
	s_xor_b64 s[0:1], exec, -1
; %bb.421:
	s_or_b64 exec, exec, s[24:25]
	s_and_b64 s[0:1], s[0:1], exec
	s_or_saveexec_b64 s[20:21], s[20:21]
	v_mov_b32_e32 v5, 0x7f800001
	s_xor_b64 exec, exec, s[20:21]
	s_cbranch_execnz .LBB30_440
.LBB30_422:
	s_or_b64 exec, exec, s[20:21]
	s_and_saveexec_b64 s[20:21], s[0:1]
	s_cbranch_execz .LBB30_424
.LBB30_423:
	v_lshlrev_b32_e32 v5, 24, v4
	v_and_b32_e32 v4, 0xffff, v4
	v_and_b32_e32 v6, 7, v4
	v_ffbh_u32_e32 v8, v6
	v_min_u32_e32 v8, 32, v8
	v_subrev_u32_e32 v9, 28, v8
	v_bfe_u32 v7, v4, 3, 4
	v_lshlrev_b32_e32 v4, v9, v4
	v_sub_u32_e32 v8, 29, v8
	v_and_b32_e32 v4, 7, v4
	v_cmp_eq_u32_e32 vcc, 0, v7
	v_cndmask_b32_e32 v7, v7, v8, vcc
	v_cndmask_b32_e32 v4, v6, v4, vcc
	v_mov_b32_e32 v6, 0x3b800000
	v_lshlrev_b32_e32 v4, 20, v4
	v_and_b32_e32 v5, 0x80000000, v5
	v_lshl_add_u32 v6, v7, 23, v6
	v_or3_b32 v5, v5, v6, v4
.LBB30_424:
	s_or_b64 exec, exec, s[20:21]
	v_bfe_u32 v4, v5, 16, 1
	s_movk_i32 s0, 0x7fff
	v_add3_u32 v4, v5, v4, s0
	v_cmp_o_f32_e32 vcc, v5, v5
	v_mov_b32_e32 v5, 0x7fc0
	v_cndmask_b32_sdwa v4, v5, v4, vcc dst_sel:DWORD dst_unused:UNUSED_PAD src0_sel:DWORD src1_sel:WORD_1
.LBB30_425:
	s_mov_b64 s[0:1], -1
.LBB30_426:
	s_mov_b64 s[20:21], 0
.LBB30_427:
	s_and_b64 vcc, exec, s[20:21]
	s_cbranch_vccz .LBB30_462
; %bb.428:
	s_cmp_gt_i32 s26, 22
	s_cbranch_scc0 .LBB30_438
; %bb.429:
	s_cmp_lt_i32 s26, 24
	s_cbranch_scc1 .LBB30_441
; %bb.430:
	s_cmp_gt_i32 s26, 24
	s_cbranch_scc0 .LBB30_442
; %bb.431:
	global_load_ubyte v4, v[0:1], off
	s_movk_i32 s0, 0x7f
	s_waitcnt vmcnt(0)
	v_cmp_lt_i16_e32 vcc, s0, v4
	s_mov_b64 s[0:1], 0
	s_and_saveexec_b64 s[20:21], vcc
	s_xor_b64 s[20:21], exec, s[20:21]
	s_cbranch_execz .LBB30_454
; %bb.432:
	s_movk_i32 s0, 0x80
	v_cmp_eq_u16_e32 vcc, s0, v4
	s_mov_b64 s[0:1], -1
	s_and_saveexec_b64 s[24:25], vcc
; %bb.433:
	s_xor_b64 s[0:1], exec, -1
; %bb.434:
	s_or_b64 exec, exec, s[24:25]
	s_and_b64 s[0:1], s[0:1], exec
	s_or_saveexec_b64 s[20:21], s[20:21]
	v_mov_b32_e32 v5, 0x7f800001
	s_xor_b64 exec, exec, s[20:21]
	s_cbranch_execnz .LBB30_455
.LBB30_435:
	s_or_b64 exec, exec, s[20:21]
	s_and_saveexec_b64 s[20:21], s[0:1]
	s_cbranch_execz .LBB30_437
.LBB30_436:
	v_lshlrev_b32_e32 v5, 24, v4
	v_and_b32_e32 v4, 0xffff, v4
	v_and_b32_e32 v6, 3, v4
	v_ffbh_u32_e32 v8, v6
	v_min_u32_e32 v8, 32, v8
	v_subrev_u32_e32 v9, 29, v8
	v_bfe_u32 v7, v4, 2, 5
	v_lshlrev_b32_e32 v4, v9, v4
	v_sub_u32_e32 v8, 30, v8
	v_and_b32_e32 v4, 3, v4
	v_cmp_eq_u32_e32 vcc, 0, v7
	v_cndmask_b32_e32 v7, v7, v8, vcc
	v_cndmask_b32_e32 v4, v6, v4, vcc
	v_mov_b32_e32 v6, 0x37800000
	v_lshlrev_b32_e32 v4, 21, v4
	v_and_b32_e32 v5, 0x80000000, v5
	v_lshl_add_u32 v6, v7, 23, v6
	v_or3_b32 v5, v5, v6, v4
.LBB30_437:
	s_or_b64 exec, exec, s[20:21]
	v_bfe_u32 v4, v5, 16, 1
	s_movk_i32 s0, 0x7fff
	v_add3_u32 v4, v5, v4, s0
	v_cmp_o_f32_e32 vcc, v5, v5
	v_mov_b32_e32 v5, 0x7fc0
	v_cndmask_b32_sdwa v4, v5, v4, vcc dst_sel:DWORD dst_unused:UNUSED_PAD src0_sel:DWORD src1_sel:WORD_1
	s_mov_b64 s[0:1], 0
	s_branch .LBB30_443
.LBB30_438:
	s_mov_b64 s[20:21], -1
                                        ; implicit-def: $vgpr4
	s_branch .LBB30_449
.LBB30_439:
	s_or_saveexec_b64 s[20:21], s[20:21]
	v_mov_b32_e32 v5, 0x7f800001
	s_xor_b64 exec, exec, s[20:21]
	s_cbranch_execz .LBB30_422
.LBB30_440:
	v_cmp_ne_u16_e32 vcc, 0, v4
	s_andn2_b64 s[0:1], s[0:1], exec
	s_and_b64 s[24:25], vcc, exec
	v_mov_b32_e32 v5, 0
	s_or_b64 s[0:1], s[0:1], s[24:25]
	s_or_b64 exec, exec, s[20:21]
	s_and_saveexec_b64 s[20:21], s[0:1]
	s_cbranch_execnz .LBB30_423
	s_branch .LBB30_424
.LBB30_441:
	s_mov_b64 s[0:1], -1
                                        ; implicit-def: $vgpr4
	s_branch .LBB30_446
.LBB30_442:
	s_mov_b64 s[0:1], -1
                                        ; implicit-def: $vgpr4
.LBB30_443:
	s_and_b64 vcc, exec, s[0:1]
	s_cbranch_vccz .LBB30_445
; %bb.444:
	global_load_ubyte v4, v[0:1], off
	s_mov_b32 s0, 0x7f800000
	s_brev_b32 s1, 1
	s_movk_i32 s20, 0x7fff
	s_waitcnt vmcnt(0)
	v_lshlrev_b32_e32 v4, 24, v4
	v_and_b32_e32 v5, 0x7f000000, v4
	v_ffbh_u32_e32 v6, v5
	v_min_u32_e32 v6, 32, v6
	v_sub_u32_e64 v6, v6, 4 clamp
	v_lshlrev_b32_e32 v8, v6, v5
	v_lshlrev_b32_e32 v6, 23, v6
	v_lshrrev_b32_e32 v8, 4, v8
	v_add_u32_e32 v7, 0x1000000, v5
	v_sub_u32_e32 v6, v8, v6
	v_ashrrev_i32_e32 v7, 8, v7
	v_add_u32_e32 v6, 0x3c000000, v6
	v_and_or_b32 v6, v7, s0, v6
	v_cmp_ne_u32_e32 vcc, 0, v5
	v_cndmask_b32_e32 v5, 0, v6, vcc
	v_and_or_b32 v4, v4, s1, v5
	v_bfe_u32 v5, v5, 16, 1
	v_add3_u32 v5, v4, v5, s20
	v_cmp_o_f32_e32 vcc, v4, v4
	v_mov_b32_e32 v4, 0x7fc0
	v_cndmask_b32_sdwa v4, v4, v5, vcc dst_sel:DWORD dst_unused:UNUSED_PAD src0_sel:DWORD src1_sel:WORD_1
.LBB30_445:
	s_mov_b64 s[0:1], 0
.LBB30_446:
	s_andn2_b64 vcc, exec, s[0:1]
	s_cbranch_vccnz .LBB30_448
; %bb.447:
	global_load_ubyte v4, v[0:1], off
	s_movk_i32 s0, 0x7f00
	s_brev_b32 s1, 16
	s_brev_b32 s20, 1
	s_movk_i32 s21, 0x7fff
	s_waitcnt vmcnt(0)
	v_lshlrev_b16_e32 v5, 8, v4
	v_lshlrev_b32_e32 v4, 25, v4
	v_lshrrev_b32_e32 v6, 4, v4
	v_and_or_b32 v7, v5, s0, 0.5
	v_or_b32_e32 v6, 0x70000000, v6
	v_add_f32_e32 v7, -0.5, v7
	v_mul_f32_e32 v6, 0x7800000, v6
	v_cmp_gt_u32_e32 vcc, s1, v4
	v_bfe_i32 v5, v5, 0, 16
	v_cndmask_b32_e32 v4, v6, v7, vcc
	v_and_or_b32 v5, v5, s20, v4
	v_bfe_u32 v4, v4, 16, 1
	v_add3_u32 v4, v5, v4, s21
	v_cmp_o_f32_e32 vcc, v5, v5
	v_mov_b32_e32 v5, 0x7fc0
	v_cndmask_b32_sdwa v4, v5, v4, vcc dst_sel:DWORD dst_unused:UNUSED_PAD src0_sel:DWORD src1_sel:WORD_1
.LBB30_448:
	s_mov_b64 s[20:21], 0
	s_mov_b64 s[0:1], -1
.LBB30_449:
	s_andn2_b64 vcc, exec, s[20:21]
	s_cbranch_vccnz .LBB30_462
; %bb.450:
	s_cmp_gt_i32 s26, 14
	s_cbranch_scc0 .LBB30_453
; %bb.451:
	s_cmp_eq_u32 s26, 15
	s_cbranch_scc0 .LBB30_456
; %bb.452:
	global_load_ushort v4, v[0:1], off
	s_mov_b64 s[0:1], -1
	s_mov_b64 s[18:19], 0
	s_branch .LBB30_457
.LBB30_453:
	s_mov_b64 s[20:21], -1
                                        ; implicit-def: $vgpr4
	s_branch .LBB30_458
.LBB30_454:
	s_or_saveexec_b64 s[20:21], s[20:21]
	v_mov_b32_e32 v5, 0x7f800001
	s_xor_b64 exec, exec, s[20:21]
	s_cbranch_execz .LBB30_435
.LBB30_455:
	v_cmp_ne_u16_e32 vcc, 0, v4
	s_andn2_b64 s[0:1], s[0:1], exec
	s_and_b64 s[24:25], vcc, exec
	v_mov_b32_e32 v5, 0
	s_or_b64 s[0:1], s[0:1], s[24:25]
	s_or_b64 exec, exec, s[20:21]
	s_and_saveexec_b64 s[20:21], s[0:1]
	s_cbranch_execnz .LBB30_436
	s_branch .LBB30_437
.LBB30_456:
	s_mov_b64 s[18:19], -1
                                        ; implicit-def: $vgpr4
.LBB30_457:
	s_mov_b64 s[20:21], 0
.LBB30_458:
	s_and_b64 vcc, exec, s[20:21]
	s_cbranch_vccz .LBB30_462
; %bb.459:
	s_cmp_eq_u32 s26, 11
	s_cbranch_scc0 .LBB30_461
; %bb.460:
	global_load_ubyte v4, v[0:1], off
	s_mov_b64 s[0:1], -1
	s_mov_b64 s[18:19], 0
	s_waitcnt vmcnt(0)
	v_cmp_ne_u16_e32 vcc, 0, v4
	v_cndmask_b32_e64 v4, 0, 1.0, vcc
	v_lshrrev_b32_e32 v4, 16, v4
	s_branch .LBB30_462
.LBB30_461:
	s_mov_b64 s[18:19], -1
                                        ; implicit-def: $vgpr4
.LBB30_462:
	s_branch .LBB30_265
.LBB30_463:
	s_cmp_lt_i32 s26, 5
	s_cbranch_scc1 .LBB30_468
; %bb.464:
	s_cmp_lt_i32 s26, 8
	s_cbranch_scc1 .LBB30_469
; %bb.465:
	;; [unrolled: 3-line block ×3, first 2 shown]
	s_cmp_gt_i32 s26, 9
	s_cbranch_scc0 .LBB30_471
; %bb.467:
	global_load_dwordx2 v[4:5], v[0:1], off
	s_movk_i32 s0, 0x7fff
	s_waitcnt vmcnt(0)
	v_cvt_f32_f64_e32 v4, v[4:5]
	v_mov_b32_e32 v5, 0x7fc0
	v_bfe_u32 v6, v4, 16, 1
	v_cmp_o_f32_e32 vcc, v4, v4
	v_add3_u32 v4, v4, v6, s0
	v_cndmask_b32_sdwa v4, v5, v4, vcc dst_sel:DWORD dst_unused:UNUSED_PAD src0_sel:DWORD src1_sel:WORD_1
	s_mov_b64 s[0:1], 0
	s_branch .LBB30_472
.LBB30_468:
	s_mov_b64 s[0:1], -1
                                        ; implicit-def: $vgpr4
	s_branch .LBB30_490
.LBB30_469:
	s_mov_b64 s[0:1], -1
                                        ; implicit-def: $vgpr4
	s_branch .LBB30_478
.LBB30_470:
	s_mov_b64 s[0:1], -1
                                        ; implicit-def: $vgpr4
	s_branch .LBB30_475
.LBB30_471:
	s_mov_b64 s[0:1], -1
                                        ; implicit-def: $vgpr4
.LBB30_472:
	s_andn2_b64 vcc, exec, s[0:1]
	s_cbranch_vccnz .LBB30_474
; %bb.473:
	global_load_dword v4, v[0:1], off
	s_movk_i32 s0, 0x7fff
	v_mov_b32_e32 v5, 0x7fc0
	s_waitcnt vmcnt(0)
	v_bfe_u32 v6, v4, 16, 1
	v_cmp_o_f32_e32 vcc, v4, v4
	v_add3_u32 v4, v4, v6, s0
	v_cndmask_b32_sdwa v4, v5, v4, vcc dst_sel:DWORD dst_unused:UNUSED_PAD src0_sel:DWORD src1_sel:WORD_1
.LBB30_474:
	s_mov_b64 s[0:1], 0
.LBB30_475:
	s_andn2_b64 vcc, exec, s[0:1]
	s_cbranch_vccnz .LBB30_477
; %bb.476:
	global_load_dword v4, v[0:1], off
	s_movk_i32 s0, 0x7fff
	v_mov_b32_e32 v6, 0x7fc0
	s_waitcnt vmcnt(0)
	v_cvt_f32_f16_e32 v5, v4
	v_cmp_o_f16_e32 vcc, v4, v4
	v_bfe_u32 v4, v5, 16, 1
	v_add3_u32 v4, v5, v4, s0
	v_cndmask_b32_sdwa v4, v6, v4, vcc dst_sel:DWORD dst_unused:UNUSED_PAD src0_sel:DWORD src1_sel:WORD_1
.LBB30_477:
	s_mov_b64 s[0:1], 0
.LBB30_478:
	s_andn2_b64 vcc, exec, s[0:1]
	s_cbranch_vccnz .LBB30_489
; %bb.479:
	s_cmp_lt_i32 s26, 6
	s_cbranch_scc1 .LBB30_482
; %bb.480:
	s_cmp_gt_i32 s26, 6
	s_cbranch_scc0 .LBB30_483
; %bb.481:
	global_load_dwordx2 v[4:5], v[0:1], off
	s_movk_i32 s0, 0x7fff
	s_waitcnt vmcnt(0)
	v_cvt_f32_f64_e32 v4, v[4:5]
	v_mov_b32_e32 v5, 0x7fc0
	v_bfe_u32 v6, v4, 16, 1
	v_cmp_o_f32_e32 vcc, v4, v4
	v_add3_u32 v4, v4, v6, s0
	v_cndmask_b32_sdwa v4, v5, v4, vcc dst_sel:DWORD dst_unused:UNUSED_PAD src0_sel:DWORD src1_sel:WORD_1
	s_mov_b64 s[0:1], 0
	s_branch .LBB30_484
.LBB30_482:
	s_mov_b64 s[0:1], -1
                                        ; implicit-def: $vgpr4
	s_branch .LBB30_487
.LBB30_483:
	s_mov_b64 s[0:1], -1
                                        ; implicit-def: $vgpr4
.LBB30_484:
	s_andn2_b64 vcc, exec, s[0:1]
	s_cbranch_vccnz .LBB30_486
; %bb.485:
	global_load_dword v4, v[0:1], off
	s_movk_i32 s0, 0x7fff
	v_mov_b32_e32 v5, 0x7fc0
	s_waitcnt vmcnt(0)
	v_bfe_u32 v6, v4, 16, 1
	v_cmp_o_f32_e32 vcc, v4, v4
	v_add3_u32 v4, v4, v6, s0
	v_cndmask_b32_sdwa v4, v5, v4, vcc dst_sel:DWORD dst_unused:UNUSED_PAD src0_sel:DWORD src1_sel:WORD_1
.LBB30_486:
	s_mov_b64 s[0:1], 0
.LBB30_487:
	s_andn2_b64 vcc, exec, s[0:1]
	s_cbranch_vccnz .LBB30_489
; %bb.488:
	global_load_ushort v4, v[0:1], off
	s_movk_i32 s0, 0x7fff
	v_mov_b32_e32 v6, 0x7fc0
	s_waitcnt vmcnt(0)
	v_cvt_f32_f16_e32 v5, v4
	v_cmp_o_f16_e32 vcc, v4, v4
	v_bfe_u32 v4, v5, 16, 1
	v_add3_u32 v4, v5, v4, s0
	v_cndmask_b32_sdwa v4, v6, v4, vcc dst_sel:DWORD dst_unused:UNUSED_PAD src0_sel:DWORD src1_sel:WORD_1
.LBB30_489:
	s_mov_b64 s[0:1], 0
.LBB30_490:
	s_andn2_b64 vcc, exec, s[0:1]
	s_cbranch_vccnz .LBB30_510
; %bb.491:
	s_cmp_lt_i32 s26, 2
	s_cbranch_scc1 .LBB30_495
; %bb.492:
	s_cmp_lt_i32 s26, 3
	s_cbranch_scc1 .LBB30_496
; %bb.493:
	s_cmp_gt_i32 s26, 3
	s_cbranch_scc0 .LBB30_497
; %bb.494:
	global_load_dwordx2 v[4:5], v[0:1], off
	s_movk_i32 s0, 0x7fff
	s_waitcnt vmcnt(0)
	v_xor_b32_e32 v7, v4, v5
	v_ffbh_i32_e32 v6, v5
	v_ashrrev_i32_e32 v7, 31, v7
	v_add_u32_e32 v6, -1, v6
	v_add_u32_e32 v7, 32, v7
	v_min_u32_e32 v6, v6, v7
	v_lshlrev_b64 v[4:5], v6, v[4:5]
	v_min_u32_e32 v4, 1, v4
	v_or_b32_e32 v4, v5, v4
	v_cvt_f32_i32_e32 v4, v4
	v_sub_u32_e32 v5, 32, v6
	v_ldexp_f32 v4, v4, v5
	v_bfe_u32 v5, v4, 16, 1
	v_add3_u32 v4, v4, v5, s0
	v_lshrrev_b32_e32 v4, 16, v4
	s_mov_b64 s[0:1], 0
	s_branch .LBB30_498
.LBB30_495:
	s_mov_b64 s[0:1], -1
                                        ; implicit-def: $vgpr4
	s_branch .LBB30_504
.LBB30_496:
	s_mov_b64 s[0:1], -1
                                        ; implicit-def: $vgpr4
	s_branch .LBB30_501
.LBB30_497:
	s_mov_b64 s[0:1], -1
                                        ; implicit-def: $vgpr4
.LBB30_498:
	s_andn2_b64 vcc, exec, s[0:1]
	s_cbranch_vccnz .LBB30_500
; %bb.499:
	global_load_dword v4, v[0:1], off
	s_movk_i32 s0, 0x7fff
	s_waitcnt vmcnt(0)
	v_cvt_f32_i32_e32 v4, v4
	v_bfe_u32 v5, v4, 16, 1
	v_add3_u32 v4, v4, v5, s0
	v_lshrrev_b32_e32 v4, 16, v4
.LBB30_500:
	s_mov_b64 s[0:1], 0
.LBB30_501:
	s_andn2_b64 vcc, exec, s[0:1]
	s_cbranch_vccnz .LBB30_503
; %bb.502:
	global_load_sshort v4, v[0:1], off
	s_movk_i32 s0, 0x7fff
	s_waitcnt vmcnt(0)
	v_cvt_f32_i32_e32 v4, v4
	v_bfe_u32 v5, v4, 16, 1
	v_add3_u32 v4, v4, v5, s0
	v_lshrrev_b32_e32 v4, 16, v4
.LBB30_503:
	s_mov_b64 s[0:1], 0
.LBB30_504:
	s_andn2_b64 vcc, exec, s[0:1]
	s_cbranch_vccnz .LBB30_510
; %bb.505:
	s_cmp_gt_i32 s26, 0
	s_cbranch_scc0 .LBB30_507
; %bb.506:
	global_load_sbyte v4, v[0:1], off
	s_movk_i32 s0, 0x7fff
	s_waitcnt vmcnt(0)
	v_cvt_f32_i32_e32 v4, v4
	v_bfe_u32 v5, v4, 16, 1
	v_add3_u32 v4, v4, v5, s0
	v_lshrrev_b32_e32 v4, 16, v4
	s_mov_b64 s[0:1], 0
	s_branch .LBB30_508
.LBB30_507:
	s_mov_b64 s[0:1], -1
                                        ; implicit-def: $vgpr4
.LBB30_508:
	s_andn2_b64 vcc, exec, s[0:1]
	s_cbranch_vccnz .LBB30_510
; %bb.509:
	global_load_ubyte v0, v[0:1], off
	s_movk_i32 s0, 0x7fff
	s_waitcnt vmcnt(0)
	v_cvt_f32_ubyte0_e32 v0, v0
	v_bfe_u32 v1, v0, 16, 1
	v_add3_u32 v0, v0, v1, s0
	v_lshrrev_b32_e32 v4, 16, v0
.LBB30_510:
	s_branch .LBB30_266
.LBB30_511:
	s_mov_b64 s[24:25], 0
	s_mov_b64 s[0:1], s[12:13]
.LBB30_512:
                                        ; implicit-def: $vgpr2
.LBB30_513:
	s_andn2_b64 s[20:21], s[12:13], exec
	s_and_b64 s[0:1], s[0:1], exec
	s_or_b64 s[20:21], s[20:21], s[0:1]
	s_andn2_b64 s[0:1], s[14:15], exec
	s_and_b64 s[18:19], s[18:19], exec
	s_or_b64 s[18:19], s[0:1], s[18:19]
	s_orn2_b64 s[0:1], s[24:25], exec
.LBB30_514:
	s_or_b64 exec, exec, s[22:23]
	s_mov_b64 s[24:25], 0
	s_mov_b64 s[26:27], 0
	;; [unrolled: 1-line block ×3, first 2 shown]
                                        ; implicit-def: $vgpr0_vgpr1
                                        ; implicit-def: $vgpr5
	s_and_saveexec_b64 s[22:23], s[0:1]
	s_cbranch_execz .LBB30_860
; %bb.515:
	v_cmp_gt_i32_e32 vcc, s38, v2
	s_mov_b64 s[34:35], -1
	s_mov_b64 s[0:1], s[18:19]
	s_mov_b64 s[28:29], s[20:21]
	s_and_saveexec_b64 s[24:25], vcc
	s_cbranch_execz .LBB30_774
; %bb.516:
	v_mul_lo_u32 v0, v2, s3
	v_mov_b32_e32 v1, s11
	s_and_b32 s34, 0xffff, s43
	s_cmp_lt_i32 s34, 11
	s_waitcnt vmcnt(0)
	v_ashrrev_i32_e32 v4, 31, v0
	v_add_co_u32_e32 v0, vcc, s10, v0
	v_addc_co_u32_e32 v1, vcc, v1, v4, vcc
	s_cbranch_scc1 .LBB30_523
; %bb.517:
	s_cmp_gt_i32 s34, 25
	s_cbranch_scc0 .LBB30_524
; %bb.518:
	s_cmp_gt_i32 s34, 28
	s_cbranch_scc0 .LBB30_525
	;; [unrolled: 3-line block ×4, first 2 shown]
; %bb.521:
	s_cmp_eq_u32 s34, 46
	s_mov_b64 s[28:29], 0
	s_cbranch_scc0 .LBB30_532
; %bb.522:
	global_load_dword v4, v[0:1], off
	s_mov_b64 s[0:1], -1
	s_branch .LBB30_533
.LBB30_523:
	s_mov_b64 s[28:29], -1
	s_mov_b64 s[0:1], 0
                                        ; implicit-def: $vgpr4
	s_mov_b64 s[26:27], s[18:19]
	s_branch .LBB30_598
.LBB30_524:
	s_mov_b64 s[28:29], -1
	s_mov_b64 s[0:1], 0
	s_mov_b64 s[26:27], s[18:19]
                                        ; implicit-def: $vgpr4
	s_branch .LBB30_562
.LBB30_525:
	s_mov_b64 s[28:29], -1
	s_mov_b64 s[0:1], 0
	s_mov_b64 s[26:27], s[18:19]
                                        ; implicit-def: $vgpr4
	s_branch .LBB30_543
.LBB30_526:
	s_mov_b64 s[28:29], -1
	s_mov_b64 s[0:1], 0
	s_mov_b64 s[26:27], s[18:19]
                                        ; implicit-def: $vgpr4
	s_branch .LBB30_538
.LBB30_527:
	s_andn2_saveexec_b64 s[26:27], s[26:27]
	s_cbranch_execz .LBB30_311
.LBB30_528:
	s_mov_b32 s30, 0x46000000
	v_add_f32_e64 v6, |v7|, s30
	v_and_b32_e32 v6, 0xff, v6
	v_cmp_ne_u32_e32 vcc, 0, v6
	s_andn2_b64 s[24:25], s[24:25], exec
	s_and_b64 s[30:31], vcc, exec
	s_or_b64 s[24:25], s[24:25], s[30:31]
	s_or_b64 exec, exec, s[26:27]
	v_mov_b32_e32 v8, 0
	s_and_saveexec_b64 s[26:27], s[24:25]
	s_cbranch_execnz .LBB30_312
	s_branch .LBB30_313
.LBB30_529:
	s_mov_b64 s[28:29], -1
	s_mov_b64 s[0:1], 0
	s_mov_b64 s[26:27], s[18:19]
                                        ; implicit-def: $vgpr4
	s_branch .LBB30_533
.LBB30_530:
	s_andn2_saveexec_b64 s[26:27], s[26:27]
	s_cbranch_execz .LBB30_324
.LBB30_531:
	s_mov_b32 s30, 0x42800000
	v_add_f32_e64 v6, |v7|, s30
	v_and_b32_e32 v6, 0xff, v6
	v_cmp_ne_u32_e32 vcc, 0, v6
	s_andn2_b64 s[24:25], s[24:25], exec
	s_and_b64 s[30:31], vcc, exec
	s_or_b64 s[24:25], s[24:25], s[30:31]
	s_or_b64 exec, exec, s[26:27]
	v_mov_b32_e32 v8, 0
	s_and_saveexec_b64 s[26:27], s[24:25]
	s_cbranch_execnz .LBB30_325
	s_branch .LBB30_326
.LBB30_532:
	s_mov_b64 s[26:27], -1
                                        ; implicit-def: $vgpr4
	s_mov_b64 s[0:1], 0
.LBB30_533:
	s_and_b64 vcc, exec, s[28:29]
	s_cbranch_vccz .LBB30_537
; %bb.534:
	s_cmp_eq_u32 s34, 44
	s_cbranch_scc0 .LBB30_536
; %bb.535:
	global_load_ubyte v4, v[0:1], off
	s_movk_i32 s26, 0xff
	v_mov_b32_e32 v5, 0x7f800001
	v_mov_b32_e32 v6, 0x400000
	;; [unrolled: 1-line block ×3, first 2 shown]
	s_mov_b64 s[0:1], -1
	s_waitcnt vmcnt(0)
	v_lshlrev_b32_e32 v8, 23, v4
	v_cmp_ne_u32_e32 vcc, s26, v4
	v_cndmask_b32_e32 v5, v5, v8, vcc
	v_cmp_ne_u32_e32 vcc, 0, v4
	v_cndmask_b32_e32 v4, v6, v5, vcc
	v_add_u32_e32 v5, 0x7fff, v4
	v_cmp_o_f32_e32 vcc, v4, v4
	v_cndmask_b32_sdwa v4, v7, v5, vcc dst_sel:DWORD dst_unused:UNUSED_PAD src0_sel:DWORD src1_sel:WORD_1
	s_mov_b64 s[26:27], 0
	s_branch .LBB30_537
.LBB30_536:
	s_mov_b64 s[26:27], -1
                                        ; implicit-def: $vgpr4
.LBB30_537:
	s_mov_b64 s[28:29], 0
.LBB30_538:
	s_and_b64 vcc, exec, s[28:29]
	s_cbranch_vccz .LBB30_542
; %bb.539:
	s_cmp_eq_u32 s34, 29
	s_cbranch_scc0 .LBB30_541
; %bb.540:
	global_load_dwordx2 v[4:5], v[0:1], off
	s_movk_i32 s26, 0x7fff
	s_mov_b64 s[0:1], -1
	s_mov_b64 s[28:29], 0
	s_waitcnt vmcnt(0)
	v_ffbh_u32_e32 v6, v5
	v_min_u32_e32 v6, 32, v6
	v_lshlrev_b64 v[4:5], v6, v[4:5]
	v_min_u32_e32 v4, 1, v4
	v_or_b32_e32 v4, v5, v4
	v_cvt_f32_u32_e32 v4, v4
	v_sub_u32_e32 v5, 32, v6
	v_ldexp_f32 v4, v4, v5
	v_bfe_u32 v5, v4, 16, 1
	v_add3_u32 v4, v4, v5, s26
	v_lshrrev_b32_e32 v4, 16, v4
	s_mov_b64 s[26:27], 0
	s_branch .LBB30_543
.LBB30_541:
	s_mov_b64 s[26:27], -1
                                        ; implicit-def: $vgpr4
.LBB30_542:
	s_mov_b64 s[28:29], 0
.LBB30_543:
	s_and_b64 vcc, exec, s[28:29]
	s_cbranch_vccz .LBB30_561
; %bb.544:
	s_cmp_lt_i32 s34, 27
	s_cbranch_scc1 .LBB30_547
; %bb.545:
	s_cmp_gt_i32 s34, 27
	s_cbranch_scc0 .LBB30_548
; %bb.546:
	global_load_dword v4, v[0:1], off
	s_movk_i32 s0, 0x7fff
	s_waitcnt vmcnt(0)
	v_cvt_f32_u32_e32 v4, v4
	v_bfe_u32 v5, v4, 16, 1
	v_add3_u32 v4, v4, v5, s0
	v_lshrrev_b32_e32 v4, 16, v4
	s_mov_b64 s[0:1], 0
	s_branch .LBB30_549
.LBB30_547:
	s_mov_b64 s[0:1], -1
                                        ; implicit-def: $vgpr4
	s_branch .LBB30_552
.LBB30_548:
	s_mov_b64 s[0:1], -1
                                        ; implicit-def: $vgpr4
.LBB30_549:
	s_andn2_b64 vcc, exec, s[0:1]
	s_cbranch_vccnz .LBB30_551
; %bb.550:
	global_load_ushort v4, v[0:1], off
	s_movk_i32 s0, 0x7fff
	s_waitcnt vmcnt(0)
	v_cvt_f32_u32_e32 v4, v4
	v_bfe_u32 v5, v4, 16, 1
	v_add3_u32 v4, v4, v5, s0
	v_lshrrev_b32_e32 v4, 16, v4
.LBB30_551:
	s_mov_b64 s[0:1], 0
.LBB30_552:
	s_andn2_b64 vcc, exec, s[0:1]
	s_cbranch_vccnz .LBB30_560
; %bb.553:
	global_load_ubyte v4, v[0:1], off
	s_movk_i32 s0, 0x7f
	s_waitcnt vmcnt(0)
	v_cmp_lt_i16_e32 vcc, s0, v4
	s_mov_b64 s[0:1], 0
	s_and_saveexec_b64 s[28:29], vcc
	s_xor_b64 s[28:29], exec, s[28:29]
	s_cbranch_execz .LBB30_574
; %bb.554:
	s_movk_i32 s0, 0x80
	v_cmp_eq_u16_e32 vcc, s0, v4
	s_mov_b64 s[0:1], -1
	s_and_saveexec_b64 s[30:31], vcc
; %bb.555:
	s_xor_b64 s[0:1], exec, -1
; %bb.556:
	s_or_b64 exec, exec, s[30:31]
	s_and_b64 s[0:1], s[0:1], exec
	s_or_saveexec_b64 s[28:29], s[28:29]
	v_mov_b32_e32 v5, 0x7f800001
	s_xor_b64 exec, exec, s[28:29]
	s_cbranch_execnz .LBB30_575
.LBB30_557:
	s_or_b64 exec, exec, s[28:29]
	s_and_saveexec_b64 s[28:29], s[0:1]
	s_cbranch_execz .LBB30_559
.LBB30_558:
	v_lshlrev_b32_e32 v5, 24, v4
	v_and_b32_e32 v4, 0xffff, v4
	v_and_b32_e32 v6, 7, v4
	v_ffbh_u32_e32 v8, v6
	v_min_u32_e32 v8, 32, v8
	v_subrev_u32_e32 v9, 28, v8
	v_bfe_u32 v7, v4, 3, 4
	v_lshlrev_b32_e32 v4, v9, v4
	v_sub_u32_e32 v8, 29, v8
	v_and_b32_e32 v4, 7, v4
	v_cmp_eq_u32_e32 vcc, 0, v7
	v_cndmask_b32_e32 v7, v7, v8, vcc
	v_cndmask_b32_e32 v4, v6, v4, vcc
	v_mov_b32_e32 v6, 0x3b800000
	v_lshlrev_b32_e32 v4, 20, v4
	v_and_b32_e32 v5, 0x80000000, v5
	v_lshl_add_u32 v6, v7, 23, v6
	v_or3_b32 v5, v5, v6, v4
.LBB30_559:
	s_or_b64 exec, exec, s[28:29]
	v_bfe_u32 v4, v5, 16, 1
	s_movk_i32 s0, 0x7fff
	v_add3_u32 v4, v5, v4, s0
	v_cmp_o_f32_e32 vcc, v5, v5
	v_mov_b32_e32 v5, 0x7fc0
	v_cndmask_b32_sdwa v4, v5, v4, vcc dst_sel:DWORD dst_unused:UNUSED_PAD src0_sel:DWORD src1_sel:WORD_1
.LBB30_560:
	s_mov_b64 s[0:1], -1
.LBB30_561:
	s_mov_b64 s[28:29], 0
.LBB30_562:
	s_and_b64 vcc, exec, s[28:29]
	s_cbranch_vccz .LBB30_597
; %bb.563:
	s_cmp_gt_i32 s34, 22
	s_cbranch_scc0 .LBB30_573
; %bb.564:
	s_cmp_lt_i32 s34, 24
	s_cbranch_scc1 .LBB30_576
; %bb.565:
	s_cmp_gt_i32 s34, 24
	s_cbranch_scc0 .LBB30_577
; %bb.566:
	global_load_ubyte v4, v[0:1], off
	s_movk_i32 s0, 0x7f
	s_waitcnt vmcnt(0)
	v_cmp_lt_i16_e32 vcc, s0, v4
	s_mov_b64 s[0:1], 0
	s_and_saveexec_b64 s[28:29], vcc
	s_xor_b64 s[28:29], exec, s[28:29]
	s_cbranch_execz .LBB30_589
; %bb.567:
	s_movk_i32 s0, 0x80
	v_cmp_eq_u16_e32 vcc, s0, v4
	s_mov_b64 s[0:1], -1
	s_and_saveexec_b64 s[30:31], vcc
; %bb.568:
	s_xor_b64 s[0:1], exec, -1
; %bb.569:
	s_or_b64 exec, exec, s[30:31]
	s_and_b64 s[0:1], s[0:1], exec
	s_or_saveexec_b64 s[28:29], s[28:29]
	v_mov_b32_e32 v5, 0x7f800001
	s_xor_b64 exec, exec, s[28:29]
	s_cbranch_execnz .LBB30_590
.LBB30_570:
	s_or_b64 exec, exec, s[28:29]
	s_and_saveexec_b64 s[28:29], s[0:1]
	s_cbranch_execz .LBB30_572
.LBB30_571:
	v_lshlrev_b32_e32 v5, 24, v4
	v_and_b32_e32 v4, 0xffff, v4
	v_and_b32_e32 v6, 3, v4
	v_ffbh_u32_e32 v8, v6
	v_min_u32_e32 v8, 32, v8
	v_subrev_u32_e32 v9, 29, v8
	v_bfe_u32 v7, v4, 2, 5
	v_lshlrev_b32_e32 v4, v9, v4
	v_sub_u32_e32 v8, 30, v8
	v_and_b32_e32 v4, 3, v4
	v_cmp_eq_u32_e32 vcc, 0, v7
	v_cndmask_b32_e32 v7, v7, v8, vcc
	v_cndmask_b32_e32 v4, v6, v4, vcc
	v_mov_b32_e32 v6, 0x37800000
	v_lshlrev_b32_e32 v4, 21, v4
	v_and_b32_e32 v5, 0x80000000, v5
	v_lshl_add_u32 v6, v7, 23, v6
	v_or3_b32 v5, v5, v6, v4
.LBB30_572:
	s_or_b64 exec, exec, s[28:29]
	v_bfe_u32 v4, v5, 16, 1
	s_movk_i32 s0, 0x7fff
	v_add3_u32 v4, v5, v4, s0
	v_cmp_o_f32_e32 vcc, v5, v5
	v_mov_b32_e32 v5, 0x7fc0
	v_cndmask_b32_sdwa v4, v5, v4, vcc dst_sel:DWORD dst_unused:UNUSED_PAD src0_sel:DWORD src1_sel:WORD_1
	s_mov_b64 s[0:1], 0
	s_branch .LBB30_578
.LBB30_573:
	s_mov_b64 s[28:29], -1
                                        ; implicit-def: $vgpr4
	s_branch .LBB30_584
.LBB30_574:
	s_or_saveexec_b64 s[28:29], s[28:29]
	v_mov_b32_e32 v5, 0x7f800001
	s_xor_b64 exec, exec, s[28:29]
	s_cbranch_execz .LBB30_557
.LBB30_575:
	v_cmp_ne_u16_e32 vcc, 0, v4
	s_andn2_b64 s[0:1], s[0:1], exec
	s_and_b64 s[30:31], vcc, exec
	v_mov_b32_e32 v5, 0
	s_or_b64 s[0:1], s[0:1], s[30:31]
	s_or_b64 exec, exec, s[28:29]
	s_and_saveexec_b64 s[28:29], s[0:1]
	s_cbranch_execnz .LBB30_558
	s_branch .LBB30_559
.LBB30_576:
	s_mov_b64 s[0:1], -1
                                        ; implicit-def: $vgpr4
	s_branch .LBB30_581
.LBB30_577:
	s_mov_b64 s[0:1], -1
                                        ; implicit-def: $vgpr4
.LBB30_578:
	s_and_b64 vcc, exec, s[0:1]
	s_cbranch_vccz .LBB30_580
; %bb.579:
	global_load_ubyte v4, v[0:1], off
	s_mov_b32 s0, 0x7f800000
	s_brev_b32 s1, 1
	s_movk_i32 s28, 0x7fff
	s_waitcnt vmcnt(0)
	v_lshlrev_b32_e32 v4, 24, v4
	v_and_b32_e32 v5, 0x7f000000, v4
	v_ffbh_u32_e32 v6, v5
	v_min_u32_e32 v6, 32, v6
	v_sub_u32_e64 v6, v6, 4 clamp
	v_lshlrev_b32_e32 v8, v6, v5
	v_lshlrev_b32_e32 v6, 23, v6
	v_lshrrev_b32_e32 v8, 4, v8
	v_add_u32_e32 v7, 0x1000000, v5
	v_sub_u32_e32 v6, v8, v6
	v_ashrrev_i32_e32 v7, 8, v7
	v_add_u32_e32 v6, 0x3c000000, v6
	v_and_or_b32 v6, v7, s0, v6
	v_cmp_ne_u32_e32 vcc, 0, v5
	v_cndmask_b32_e32 v5, 0, v6, vcc
	v_and_or_b32 v4, v4, s1, v5
	v_bfe_u32 v5, v5, 16, 1
	v_add3_u32 v5, v4, v5, s28
	v_cmp_o_f32_e32 vcc, v4, v4
	v_mov_b32_e32 v4, 0x7fc0
	v_cndmask_b32_sdwa v4, v4, v5, vcc dst_sel:DWORD dst_unused:UNUSED_PAD src0_sel:DWORD src1_sel:WORD_1
.LBB30_580:
	s_mov_b64 s[0:1], 0
.LBB30_581:
	s_andn2_b64 vcc, exec, s[0:1]
	s_cbranch_vccnz .LBB30_583
; %bb.582:
	global_load_ubyte v4, v[0:1], off
	s_movk_i32 s0, 0x7f00
	s_brev_b32 s1, 16
	s_brev_b32 s28, 1
	s_movk_i32 s29, 0x7fff
	s_waitcnt vmcnt(0)
	v_lshlrev_b16_e32 v5, 8, v4
	v_lshlrev_b32_e32 v4, 25, v4
	v_lshrrev_b32_e32 v6, 4, v4
	v_and_or_b32 v7, v5, s0, 0.5
	v_or_b32_e32 v6, 0x70000000, v6
	v_add_f32_e32 v7, -0.5, v7
	v_mul_f32_e32 v6, 0x7800000, v6
	v_cmp_gt_u32_e32 vcc, s1, v4
	v_bfe_i32 v5, v5, 0, 16
	v_cndmask_b32_e32 v4, v6, v7, vcc
	v_and_or_b32 v5, v5, s28, v4
	v_bfe_u32 v4, v4, 16, 1
	v_add3_u32 v4, v5, v4, s29
	v_cmp_o_f32_e32 vcc, v5, v5
	v_mov_b32_e32 v5, 0x7fc0
	v_cndmask_b32_sdwa v4, v5, v4, vcc dst_sel:DWORD dst_unused:UNUSED_PAD src0_sel:DWORD src1_sel:WORD_1
.LBB30_583:
	s_mov_b64 s[28:29], 0
	s_mov_b64 s[0:1], -1
.LBB30_584:
	s_andn2_b64 vcc, exec, s[28:29]
	s_cbranch_vccnz .LBB30_597
; %bb.585:
	s_cmp_gt_i32 s34, 14
	s_cbranch_scc0 .LBB30_588
; %bb.586:
	s_cmp_eq_u32 s34, 15
	s_cbranch_scc0 .LBB30_591
; %bb.587:
	global_load_ushort v4, v[0:1], off
	s_mov_b64 s[0:1], -1
	s_mov_b64 s[26:27], 0
	s_branch .LBB30_592
.LBB30_588:
	s_mov_b64 s[28:29], -1
                                        ; implicit-def: $vgpr4
	s_branch .LBB30_593
.LBB30_589:
	s_or_saveexec_b64 s[28:29], s[28:29]
	v_mov_b32_e32 v5, 0x7f800001
	s_xor_b64 exec, exec, s[28:29]
	s_cbranch_execz .LBB30_570
.LBB30_590:
	v_cmp_ne_u16_e32 vcc, 0, v4
	s_andn2_b64 s[0:1], s[0:1], exec
	s_and_b64 s[30:31], vcc, exec
	v_mov_b32_e32 v5, 0
	s_or_b64 s[0:1], s[0:1], s[30:31]
	s_or_b64 exec, exec, s[28:29]
	s_and_saveexec_b64 s[28:29], s[0:1]
	s_cbranch_execnz .LBB30_571
	s_branch .LBB30_572
.LBB30_591:
	s_mov_b64 s[26:27], -1
                                        ; implicit-def: $vgpr4
.LBB30_592:
	s_mov_b64 s[28:29], 0
.LBB30_593:
	s_and_b64 vcc, exec, s[28:29]
	s_cbranch_vccz .LBB30_597
; %bb.594:
	s_cmp_eq_u32 s34, 11
	s_cbranch_scc0 .LBB30_596
; %bb.595:
	global_load_ubyte v4, v[0:1], off
	s_mov_b64 s[0:1], -1
	s_mov_b64 s[26:27], 0
	s_waitcnt vmcnt(0)
	v_cmp_ne_u16_e32 vcc, 0, v4
	v_cndmask_b32_e64 v4, 0, 1.0, vcc
	v_lshrrev_b32_e32 v4, 16, v4
	s_branch .LBB30_597
.LBB30_596:
	s_mov_b64 s[26:27], -1
                                        ; implicit-def: $vgpr4
.LBB30_597:
	s_mov_b64 s[28:29], 0
.LBB30_598:
	s_and_b64 vcc, exec, s[28:29]
	s_cbranch_vccz .LBB30_647
; %bb.599:
	s_cmp_lt_i32 s34, 5
	s_cbranch_scc1 .LBB30_604
; %bb.600:
	s_cmp_lt_i32 s34, 8
	s_cbranch_scc1 .LBB30_605
	;; [unrolled: 3-line block ×3, first 2 shown]
; %bb.602:
	s_cmp_gt_i32 s34, 9
	s_cbranch_scc0 .LBB30_607
; %bb.603:
	global_load_dwordx2 v[4:5], v[0:1], off
	s_movk_i32 s0, 0x7fff
	s_waitcnt vmcnt(0)
	v_cvt_f32_f64_e32 v4, v[4:5]
	v_mov_b32_e32 v5, 0x7fc0
	v_bfe_u32 v6, v4, 16, 1
	v_cmp_o_f32_e32 vcc, v4, v4
	v_add3_u32 v4, v4, v6, s0
	v_cndmask_b32_sdwa v4, v5, v4, vcc dst_sel:DWORD dst_unused:UNUSED_PAD src0_sel:DWORD src1_sel:WORD_1
	s_mov_b64 s[0:1], 0
	s_branch .LBB30_608
.LBB30_604:
	s_mov_b64 s[0:1], -1
                                        ; implicit-def: $vgpr4
	s_branch .LBB30_626
.LBB30_605:
	s_mov_b64 s[0:1], -1
                                        ; implicit-def: $vgpr4
	s_branch .LBB30_614
.LBB30_606:
	s_mov_b64 s[0:1], -1
                                        ; implicit-def: $vgpr4
	s_branch .LBB30_611
.LBB30_607:
	s_mov_b64 s[0:1], -1
                                        ; implicit-def: $vgpr4
.LBB30_608:
	s_andn2_b64 vcc, exec, s[0:1]
	s_cbranch_vccnz .LBB30_610
; %bb.609:
	global_load_dword v4, v[0:1], off
	s_movk_i32 s0, 0x7fff
	v_mov_b32_e32 v5, 0x7fc0
	s_waitcnt vmcnt(0)
	v_bfe_u32 v6, v4, 16, 1
	v_cmp_o_f32_e32 vcc, v4, v4
	v_add3_u32 v4, v4, v6, s0
	v_cndmask_b32_sdwa v4, v5, v4, vcc dst_sel:DWORD dst_unused:UNUSED_PAD src0_sel:DWORD src1_sel:WORD_1
.LBB30_610:
	s_mov_b64 s[0:1], 0
.LBB30_611:
	s_andn2_b64 vcc, exec, s[0:1]
	s_cbranch_vccnz .LBB30_613
; %bb.612:
	global_load_dword v4, v[0:1], off
	s_movk_i32 s0, 0x7fff
	v_mov_b32_e32 v6, 0x7fc0
	s_waitcnt vmcnt(0)
	v_cvt_f32_f16_e32 v5, v4
	v_cmp_o_f16_e32 vcc, v4, v4
	v_bfe_u32 v4, v5, 16, 1
	v_add3_u32 v4, v5, v4, s0
	v_cndmask_b32_sdwa v4, v6, v4, vcc dst_sel:DWORD dst_unused:UNUSED_PAD src0_sel:DWORD src1_sel:WORD_1
.LBB30_613:
	s_mov_b64 s[0:1], 0
.LBB30_614:
	s_andn2_b64 vcc, exec, s[0:1]
	s_cbranch_vccnz .LBB30_625
; %bb.615:
	s_cmp_lt_i32 s34, 6
	s_cbranch_scc1 .LBB30_618
; %bb.616:
	s_cmp_gt_i32 s34, 6
	s_cbranch_scc0 .LBB30_619
; %bb.617:
	global_load_dwordx2 v[4:5], v[0:1], off
	s_movk_i32 s0, 0x7fff
	s_waitcnt vmcnt(0)
	v_cvt_f32_f64_e32 v4, v[4:5]
	v_mov_b32_e32 v5, 0x7fc0
	v_bfe_u32 v6, v4, 16, 1
	v_cmp_o_f32_e32 vcc, v4, v4
	v_add3_u32 v4, v4, v6, s0
	v_cndmask_b32_sdwa v4, v5, v4, vcc dst_sel:DWORD dst_unused:UNUSED_PAD src0_sel:DWORD src1_sel:WORD_1
	s_mov_b64 s[0:1], 0
	s_branch .LBB30_620
.LBB30_618:
	s_mov_b64 s[0:1], -1
                                        ; implicit-def: $vgpr4
	s_branch .LBB30_623
.LBB30_619:
	s_mov_b64 s[0:1], -1
                                        ; implicit-def: $vgpr4
.LBB30_620:
	s_andn2_b64 vcc, exec, s[0:1]
	s_cbranch_vccnz .LBB30_622
; %bb.621:
	global_load_dword v4, v[0:1], off
	s_movk_i32 s0, 0x7fff
	v_mov_b32_e32 v5, 0x7fc0
	s_waitcnt vmcnt(0)
	v_bfe_u32 v6, v4, 16, 1
	v_cmp_o_f32_e32 vcc, v4, v4
	v_add3_u32 v4, v4, v6, s0
	v_cndmask_b32_sdwa v4, v5, v4, vcc dst_sel:DWORD dst_unused:UNUSED_PAD src0_sel:DWORD src1_sel:WORD_1
.LBB30_622:
	s_mov_b64 s[0:1], 0
.LBB30_623:
	s_andn2_b64 vcc, exec, s[0:1]
	s_cbranch_vccnz .LBB30_625
; %bb.624:
	global_load_ushort v4, v[0:1], off
	s_movk_i32 s0, 0x7fff
	v_mov_b32_e32 v6, 0x7fc0
	s_waitcnt vmcnt(0)
	v_cvt_f32_f16_e32 v5, v4
	v_cmp_o_f16_e32 vcc, v4, v4
	v_bfe_u32 v4, v5, 16, 1
	v_add3_u32 v4, v5, v4, s0
	v_cndmask_b32_sdwa v4, v6, v4, vcc dst_sel:DWORD dst_unused:UNUSED_PAD src0_sel:DWORD src1_sel:WORD_1
.LBB30_625:
	s_mov_b64 s[0:1], 0
.LBB30_626:
	s_andn2_b64 vcc, exec, s[0:1]
	s_cbranch_vccnz .LBB30_646
; %bb.627:
	s_cmp_lt_i32 s34, 2
	s_cbranch_scc1 .LBB30_631
; %bb.628:
	s_cmp_lt_i32 s34, 3
	s_cbranch_scc1 .LBB30_632
; %bb.629:
	s_cmp_gt_i32 s34, 3
	s_cbranch_scc0 .LBB30_633
; %bb.630:
	global_load_dwordx2 v[4:5], v[0:1], off
	s_movk_i32 s0, 0x7fff
	s_waitcnt vmcnt(0)
	v_xor_b32_e32 v7, v4, v5
	v_ffbh_i32_e32 v6, v5
	v_ashrrev_i32_e32 v7, 31, v7
	v_add_u32_e32 v6, -1, v6
	v_add_u32_e32 v7, 32, v7
	v_min_u32_e32 v6, v6, v7
	v_lshlrev_b64 v[4:5], v6, v[4:5]
	v_min_u32_e32 v4, 1, v4
	v_or_b32_e32 v4, v5, v4
	v_cvt_f32_i32_e32 v4, v4
	v_sub_u32_e32 v5, 32, v6
	v_ldexp_f32 v4, v4, v5
	v_bfe_u32 v5, v4, 16, 1
	v_add3_u32 v4, v4, v5, s0
	v_lshrrev_b32_e32 v4, 16, v4
	s_mov_b64 s[0:1], 0
	s_branch .LBB30_634
.LBB30_631:
	s_mov_b64 s[0:1], -1
                                        ; implicit-def: $vgpr4
	s_branch .LBB30_640
.LBB30_632:
	s_mov_b64 s[0:1], -1
                                        ; implicit-def: $vgpr4
	s_branch .LBB30_637
.LBB30_633:
	s_mov_b64 s[0:1], -1
                                        ; implicit-def: $vgpr4
.LBB30_634:
	s_andn2_b64 vcc, exec, s[0:1]
	s_cbranch_vccnz .LBB30_636
; %bb.635:
	global_load_dword v4, v[0:1], off
	s_movk_i32 s0, 0x7fff
	s_waitcnt vmcnt(0)
	v_cvt_f32_i32_e32 v4, v4
	v_bfe_u32 v5, v4, 16, 1
	v_add3_u32 v4, v4, v5, s0
	v_lshrrev_b32_e32 v4, 16, v4
.LBB30_636:
	s_mov_b64 s[0:1], 0
.LBB30_637:
	s_andn2_b64 vcc, exec, s[0:1]
	s_cbranch_vccnz .LBB30_639
; %bb.638:
	global_load_sshort v4, v[0:1], off
	s_movk_i32 s0, 0x7fff
	s_waitcnt vmcnt(0)
	v_cvt_f32_i32_e32 v4, v4
	v_bfe_u32 v5, v4, 16, 1
	v_add3_u32 v4, v4, v5, s0
	v_lshrrev_b32_e32 v4, 16, v4
.LBB30_639:
	s_mov_b64 s[0:1], 0
.LBB30_640:
	s_andn2_b64 vcc, exec, s[0:1]
	s_cbranch_vccnz .LBB30_646
; %bb.641:
	s_cmp_gt_i32 s34, 0
	s_cbranch_scc0 .LBB30_643
; %bb.642:
	global_load_sbyte v4, v[0:1], off
	s_movk_i32 s0, 0x7fff
	s_waitcnt vmcnt(0)
	v_cvt_f32_i32_e32 v4, v4
	v_bfe_u32 v5, v4, 16, 1
	v_add3_u32 v4, v4, v5, s0
	v_lshrrev_b32_e32 v4, 16, v4
	s_mov_b64 s[0:1], 0
	s_branch .LBB30_644
.LBB30_643:
	s_mov_b64 s[0:1], -1
                                        ; implicit-def: $vgpr4
.LBB30_644:
	s_andn2_b64 vcc, exec, s[0:1]
	s_cbranch_vccnz .LBB30_646
; %bb.645:
	global_load_ubyte v0, v[0:1], off
	s_movk_i32 s0, 0x7fff
	s_waitcnt vmcnt(0)
	v_cvt_f32_ubyte0_e32 v0, v0
	v_bfe_u32 v1, v0, 16, 1
	v_add3_u32 v0, v0, v1, s0
	v_lshrrev_b32_e32 v4, 16, v0
.LBB30_646:
	s_mov_b64 s[0:1], -1
.LBB30_647:
	s_andn2_b64 vcc, exec, s[0:1]
	s_cbranch_vccnz .LBB30_655
; %bb.648:
	v_mul_lo_u32 v1, v2, s2
	s_waitcnt vmcnt(0)
	v_lshlrev_b32_e32 v0, 16, v4
	v_cmp_nle_f32_e32 vcc, v3, v0
	v_cmp_nge_f32_e64 s[0:1], s44, v0
	s_or_b64 vcc, s[0:1], vcc
	v_cndmask_b32_e32 v4, 0, v4, vcc
	v_ashrrev_i32_e32 v5, 31, v1
	v_mov_b32_e32 v6, s9
	s_and_b32 s36, s33, 0xff
	v_add_co_u32_e32 v0, vcc, s8, v1
	s_cmp_lt_i32 s36, 11
	v_addc_co_u32_e32 v1, vcc, v6, v5, vcc
	s_cbranch_scc1 .LBB30_656
; %bb.649:
	s_and_b32 s37, 0xffff, s36
	s_cmp_gt_i32 s37, 25
	s_cbranch_scc0 .LBB30_657
; %bb.650:
	s_cmp_gt_i32 s37, 28
	s_cbranch_scc0 .LBB30_658
; %bb.651:
	;; [unrolled: 3-line block ×4, first 2 shown]
	s_mov_b64 s[30:31], 0
	s_mov_b64 s[0:1], -1
	s_cmp_eq_u32 s37, 46
	s_mov_b64 s[28:29], 0
	s_cbranch_scc0 .LBB30_661
; %bb.654:
	v_and_b32_e32 v5, 0xffff, v4
	global_store_dword v[0:1], v5, off
	s_mov_b64 s[28:29], -1
	s_mov_b64 s[0:1], 0
	s_branch .LBB30_661
.LBB30_655:
	s_mov_b64 s[30:31], 0
	s_mov_b64 s[0:1], s[20:21]
	s_branch .LBB30_772
.LBB30_656:
	s_mov_b64 s[30:31], -1
	s_mov_b64 s[28:29], 0
	s_mov_b64 s[0:1], s[20:21]
	s_branch .LBB30_730
.LBB30_657:
	s_mov_b64 s[30:31], -1
	s_mov_b64 s[28:29], 0
	s_mov_b64 s[0:1], s[20:21]
	s_branch .LBB30_688
.LBB30_658:
	s_mov_b64 s[30:31], -1
	s_mov_b64 s[28:29], 0
	s_mov_b64 s[0:1], s[20:21]
	s_branch .LBB30_671
.LBB30_659:
	s_mov_b64 s[30:31], -1
	s_mov_b64 s[28:29], 0
	s_mov_b64 s[0:1], s[20:21]
	s_branch .LBB30_667
.LBB30_660:
	s_mov_b64 s[30:31], -1
	s_mov_b64 s[28:29], 0
	s_mov_b64 s[0:1], s[20:21]
.LBB30_661:
	s_and_b64 vcc, exec, s[30:31]
	s_cbranch_vccz .LBB30_666
; %bb.662:
	s_cmp_eq_u32 s37, 44
	s_mov_b64 s[0:1], -1
	s_cbranch_scc0 .LBB30_666
; %bb.663:
	v_and_b32_e32 v6, 0xffff, v4
	v_bfe_u32 v5, v6, 7, 8
	s_movk_i32 s0, 0xff
	v_cmp_ne_u32_e32 vcc, s0, v5
	v_mov_b32_e32 v7, 0xff
	s_and_saveexec_b64 s[28:29], vcc
	s_cbranch_execz .LBB30_665
; %bb.664:
	v_lshlrev_b32_e32 v8, 16, v6
	s_mov_b32 s0, 0x3f0000
	v_lshrrev_b32_e32 v7, 7, v6
	v_and_b32_e32 v6, 64, v6
	v_and_or_b32 v5, v8, s0, v5
	v_cmp_ne_u32_e32 vcc, 0, v6
	v_cmp_ne_u32_e64 s[0:1], 0, v5
	s_and_b64 s[0:1], vcc, s[0:1]
	v_cndmask_b32_e64 v5, 0, 1, s[0:1]
	v_add_u32_e32 v7, v7, v5
.LBB30_665:
	s_or_b64 exec, exec, s[28:29]
	s_mov_b64 s[28:29], -1
	s_mov_b64 s[0:1], 0
	global_store_byte v[0:1], v7, off
.LBB30_666:
	s_mov_b64 s[30:31], 0
.LBB30_667:
	s_and_b64 vcc, exec, s[30:31]
	s_cbranch_vccz .LBB30_670
; %bb.668:
	s_cmp_eq_u32 s37, 29
	s_mov_b64 s[0:1], -1
	s_cbranch_scc0 .LBB30_670
; %bb.669:
	v_lshlrev_b32_e32 v5, 16, v4
	v_trunc_f32_e32 v5, v5
	v_mul_f32_e32 v6, 0x2f800000, v5
	v_floor_f32_e32 v7, v6
	v_fmac_f32_e32 v5, 0xcf800000, v7
	v_cvt_u32_f32_e32 v6, v7
	v_cvt_u32_f32_e32 v5, v5
	s_mov_b64 s[28:29], -1
	s_mov_b64 s[0:1], 0
	s_mov_b64 s[30:31], 0
	global_store_dwordx2 v[0:1], v[5:6], off
	s_branch .LBB30_671
.LBB30_670:
	s_mov_b64 s[30:31], 0
.LBB30_671:
	s_and_b64 vcc, exec, s[30:31]
	s_cbranch_vccz .LBB30_687
; %bb.672:
	s_cmp_lt_i32 s37, 27
	s_mov_b64 s[28:29], -1
	s_cbranch_scc1 .LBB30_678
; %bb.673:
	s_cmp_gt_i32 s37, 27
	s_cbranch_scc0 .LBB30_675
; %bb.674:
	v_lshlrev_b32_e32 v5, 16, v4
	v_cvt_u32_f32_e32 v5, v5
	s_mov_b64 s[28:29], 0
	global_store_dword v[0:1], v5, off
.LBB30_675:
	s_andn2_b64 vcc, exec, s[28:29]
	s_cbranch_vccnz .LBB30_677
; %bb.676:
	v_lshlrev_b32_e32 v5, 16, v4
	v_cvt_u32_f32_e32 v5, v5
	global_store_short v[0:1], v5, off
.LBB30_677:
	s_mov_b64 s[28:29], 0
.LBB30_678:
	s_andn2_b64 vcc, exec, s[28:29]
	s_cbranch_vccnz .LBB30_686
; %bb.679:
	v_lshlrev_b32_e32 v7, 16, v4
	v_and_b32_e32 v6, 0x7fffffff, v7
	s_mov_b32 s28, 0x43800000
	v_cmp_gt_u32_e32 vcc, s28, v6
	v_mov_b32_e32 v8, 0x80
	s_and_saveexec_b64 s[28:29], vcc
	s_cbranch_execz .LBB30_685
; %bb.680:
	s_mov_b32 s30, 0x3bffffff
	v_and_b32_e32 v5, 0xffff, v4
	v_cmp_lt_u32_e32 vcc, s30, v6
	s_mov_b64 s[30:31], 0
                                        ; implicit-def: $vgpr6
	s_and_saveexec_b64 s[34:35], vcc
	s_xor_b64 s[34:35], exec, s[34:35]
	s_cbranch_execz .LBB30_787
; %bb.681:
	v_bfe_u32 v6, v5, 4, 1
	s_mov_b32 s39, 0x487ffff
	v_add3_u32 v6, v7, v6, s39
	s_mov_b64 s[30:31], exec
	v_lshrrev_b32_e32 v6, 20, v6
                                        ; implicit-def: $vgpr7
	s_andn2_saveexec_b64 s[34:35], s[34:35]
	s_cbranch_execnz .LBB30_788
.LBB30_682:
	s_or_b64 exec, exec, s[34:35]
	v_mov_b32_e32 v8, 0
	s_and_saveexec_b64 s[34:35], s[30:31]
.LBB30_683:
	v_lshrrev_b32_e32 v5, 8, v5
	s_movk_i32 s30, 0x80
	v_and_or_b32 v8, v5, s30, v6
.LBB30_684:
	s_or_b64 exec, exec, s[34:35]
.LBB30_685:
	s_or_b64 exec, exec, s[28:29]
	global_store_byte v[0:1], v8, off
.LBB30_686:
	s_mov_b64 s[28:29], -1
.LBB30_687:
	s_mov_b64 s[30:31], 0
.LBB30_688:
	s_and_b64 vcc, exec, s[30:31]
	s_cbranch_vccz .LBB30_729
; %bb.689:
	s_cmp_gt_i32 s37, 22
	s_mov_b64 s[30:31], -1
	s_cbranch_scc0 .LBB30_721
; %bb.690:
	s_cmp_lt_i32 s37, 24
	s_mov_b64 s[28:29], -1
	s_cbranch_scc1 .LBB30_710
; %bb.691:
	s_cmp_gt_i32 s37, 24
	s_cbranch_scc0 .LBB30_699
; %bb.692:
	v_lshlrev_b32_e32 v7, 16, v4
	v_and_b32_e32 v6, 0x7fffffff, v7
	s_mov_b32 s28, 0x47800000
	v_cmp_gt_u32_e32 vcc, s28, v6
	v_mov_b32_e32 v8, 0x80
	s_and_saveexec_b64 s[28:29], vcc
	s_cbranch_execz .LBB30_698
; %bb.693:
	s_mov_b32 s30, 0x37ffffff
	v_and_b32_e32 v5, 0xffff, v4
	v_cmp_lt_u32_e32 vcc, s30, v6
	s_mov_b64 s[30:31], 0
                                        ; implicit-def: $vgpr6
	s_and_saveexec_b64 s[34:35], vcc
	s_xor_b64 s[34:35], exec, s[34:35]
	s_cbranch_execz .LBB30_790
; %bb.694:
	v_bfe_u32 v6, v5, 5, 1
	s_mov_b32 s39, 0x88fffff
	v_add3_u32 v6, v7, v6, s39
	s_mov_b64 s[30:31], exec
	v_lshrrev_b32_e32 v6, 21, v6
                                        ; implicit-def: $vgpr7
	s_andn2_saveexec_b64 s[34:35], s[34:35]
	s_cbranch_execnz .LBB30_791
.LBB30_695:
	s_or_b64 exec, exec, s[34:35]
	v_mov_b32_e32 v8, 0
	s_and_saveexec_b64 s[34:35], s[30:31]
.LBB30_696:
	v_lshrrev_b32_e32 v5, 8, v5
	s_movk_i32 s30, 0x80
	v_and_or_b32 v8, v5, s30, v6
.LBB30_697:
	s_or_b64 exec, exec, s[34:35]
.LBB30_698:
	s_or_b64 exec, exec, s[28:29]
	s_mov_b64 s[28:29], 0
	global_store_byte v[0:1], v8, off
.LBB30_699:
	s_and_b64 vcc, exec, s[28:29]
	s_cbranch_vccz .LBB30_709
; %bb.700:
	v_lshlrev_b32_e32 v7, 16, v4
	v_and_b32_e32 v8, 0x7fffffff, v7
	s_mov_b32 s28, 0x43f00000
	v_and_b32_e32 v5, 0xffff, v4
	v_cmp_gt_u32_e32 vcc, s28, v8
                                        ; implicit-def: $vgpr6
	s_and_saveexec_b64 s[28:29], vcc
	s_xor_b64 s[28:29], exec, s[28:29]
	s_cbranch_execz .LBB30_706
; %bb.701:
	s_mov_b32 s30, 0x3c7fffff
	v_cmp_lt_u32_e32 vcc, s30, v8
                                        ; implicit-def: $vgpr6
	s_and_saveexec_b64 s[30:31], vcc
	s_xor_b64 s[30:31], exec, s[30:31]
; %bb.702:
	v_bfe_u32 v6, v5, 4, 1
	s_mov_b32 s34, 0x407ffff
	v_add3_u32 v6, v7, v6, s34
	v_lshrrev_b32_e32 v7, 20, v6
	v_and_b32_e32 v6, 0xff00000, v6
	s_mov_b32 s34, 0x7f00000
	v_mov_b32_e32 v8, 0x7e
	v_cmp_ne_u32_e32 vcc, s34, v6
	v_cndmask_b32_e32 v6, v8, v7, vcc
                                        ; implicit-def: $vgpr7
; %bb.703:
	s_andn2_saveexec_b64 s[30:31], s[30:31]
; %bb.704:
	s_mov_b32 s34, 0x46800000
	v_add_f32_e64 v6, |v7|, s34
; %bb.705:
	s_or_b64 exec, exec, s[30:31]
                                        ; implicit-def: $vgpr8
.LBB30_706:
	s_andn2_saveexec_b64 s[28:29], s[28:29]
; %bb.707:
	s_mov_b32 s30, 0x7f800000
	v_mov_b32_e32 v6, 0x7e
	v_mov_b32_e32 v7, 0x7f
	v_cmp_lt_u32_e32 vcc, s30, v8
	v_cndmask_b32_e32 v6, v6, v7, vcc
; %bb.708:
	s_or_b64 exec, exec, s[28:29]
	v_lshrrev_b32_e32 v5, 8, v5
	s_movk_i32 s28, 0x80
	v_and_or_b32 v5, v5, s28, v6
	global_store_byte v[0:1], v5, off
.LBB30_709:
	s_mov_b64 s[28:29], 0
.LBB30_710:
	s_andn2_b64 vcc, exec, s[28:29]
	s_cbranch_vccnz .LBB30_720
; %bb.711:
	v_lshlrev_b32_e32 v7, 16, v4
	v_and_b32_e32 v8, 0x7fffffff, v7
	s_mov_b32 s28, 0x47800000
	v_and_b32_e32 v5, 0xffff, v4
	v_cmp_gt_u32_e32 vcc, s28, v8
                                        ; implicit-def: $vgpr6
	s_and_saveexec_b64 s[28:29], vcc
	s_xor_b64 s[28:29], exec, s[28:29]
	s_cbranch_execz .LBB30_717
; %bb.712:
	s_mov_b32 s30, 0x387fffff
	v_cmp_lt_u32_e32 vcc, s30, v8
                                        ; implicit-def: $vgpr6
	s_and_saveexec_b64 s[30:31], vcc
	s_xor_b64 s[30:31], exec, s[30:31]
; %bb.713:
	v_bfe_u32 v6, v5, 5, 1
	s_mov_b32 s34, 0x80fffff
	v_add3_u32 v6, v7, v6, s34
	v_lshrrev_b32_e32 v6, 21, v6
                                        ; implicit-def: $vgpr7
; %bb.714:
	s_andn2_saveexec_b64 s[30:31], s[30:31]
; %bb.715:
	s_mov_b32 s34, 0x43000000
	v_add_f32_e64 v6, |v7|, s34
; %bb.716:
	s_or_b64 exec, exec, s[30:31]
                                        ; implicit-def: $vgpr8
.LBB30_717:
	s_andn2_saveexec_b64 s[28:29], s[28:29]
; %bb.718:
	s_mov_b32 s30, 0x7f800000
	v_mov_b32_e32 v6, 0x7c
	v_mov_b32_e32 v7, 0x7f
	v_cmp_lt_u32_e32 vcc, s30, v8
	v_cndmask_b32_e32 v6, v6, v7, vcc
; %bb.719:
	s_or_b64 exec, exec, s[28:29]
	v_lshrrev_b32_e32 v5, 8, v5
	s_movk_i32 s28, 0x80
	v_and_or_b32 v5, v5, s28, v6
	global_store_byte v[0:1], v5, off
.LBB30_720:
	s_mov_b64 s[30:31], 0
	s_mov_b64 s[28:29], -1
.LBB30_721:
	s_andn2_b64 vcc, exec, s[30:31]
	s_cbranch_vccnz .LBB30_729
; %bb.722:
	s_cmp_gt_i32 s37, 14
	s_mov_b64 s[30:31], -1
	s_cbranch_scc0 .LBB30_726
; %bb.723:
	s_cmp_eq_u32 s37, 15
	s_mov_b64 s[0:1], -1
	s_cbranch_scc0 .LBB30_725
; %bb.724:
	global_store_short v[0:1], v4, off
	s_mov_b64 s[28:29], -1
	s_mov_b64 s[0:1], 0
.LBB30_725:
	s_mov_b64 s[30:31], 0
.LBB30_726:
	s_and_b64 vcc, exec, s[30:31]
	s_cbranch_vccz .LBB30_729
; %bb.727:
	s_cmp_eq_u32 s37, 11
	s_mov_b64 s[0:1], -1
	s_cbranch_scc0 .LBB30_729
; %bb.728:
	v_and_b32_e32 v5, 0x7fff, v4
	v_cmp_ne_u16_e32 vcc, 0, v5
	v_cndmask_b32_e64 v5, 0, 1, vcc
	s_mov_b64 s[28:29], -1
	s_mov_b64 s[0:1], 0
	global_store_byte v[0:1], v5, off
.LBB30_729:
	s_mov_b64 s[30:31], 0
.LBB30_730:
	s_and_b64 vcc, exec, s[30:31]
	s_cbranch_vccz .LBB30_769
; %bb.731:
	s_and_b32 s30, 0xffff, s36
	s_cmp_lt_i32 s30, 5
	s_mov_b64 s[28:29], -1
	s_cbranch_scc1 .LBB30_752
; %bb.732:
	s_cmp_lt_i32 s30, 8
	s_cbranch_scc1 .LBB30_742
; %bb.733:
	s_cmp_lt_i32 s30, 9
	s_cbranch_scc1 .LBB30_739
; %bb.734:
	s_cmp_gt_i32 s30, 9
	s_cbranch_scc0 .LBB30_736
; %bb.735:
	v_lshlrev_b32_e32 v5, 16, v4
	v_cvt_f64_f32_e32 v[5:6], v5
	v_mov_b32_e32 v7, 0
	v_mov_b32_e32 v8, v7
	s_mov_b64 s[28:29], 0
	global_store_dwordx4 v[0:1], v[5:8], off
.LBB30_736:
	s_andn2_b64 vcc, exec, s[28:29]
	s_cbranch_vccnz .LBB30_738
; %bb.737:
	v_lshlrev_b32_e32 v5, 16, v4
	v_mov_b32_e32 v6, 0
	global_store_dwordx2 v[0:1], v[5:6], off
.LBB30_738:
	s_mov_b64 s[28:29], 0
.LBB30_739:
	s_andn2_b64 vcc, exec, s[28:29]
	s_cbranch_vccnz .LBB30_741
; %bb.740:
	v_lshlrev_b32_e32 v5, 16, v4
	v_cvt_f16_f32_e32 v5, v5
	global_store_dword v[0:1], v5, off
.LBB30_741:
	s_mov_b64 s[28:29], 0
.LBB30_742:
	s_andn2_b64 vcc, exec, s[28:29]
	s_cbranch_vccnz .LBB30_751
; %bb.743:
	s_cmp_lt_i32 s30, 6
	s_mov_b64 s[28:29], -1
	s_cbranch_scc1 .LBB30_749
; %bb.744:
	s_cmp_gt_i32 s30, 6
	s_cbranch_scc0 .LBB30_746
; %bb.745:
	v_lshlrev_b32_e32 v5, 16, v4
	v_cvt_f64_f32_e32 v[5:6], v5
	s_mov_b64 s[28:29], 0
	global_store_dwordx2 v[0:1], v[5:6], off
.LBB30_746:
	s_andn2_b64 vcc, exec, s[28:29]
	s_cbranch_vccnz .LBB30_748
; %bb.747:
	v_lshlrev_b32_e32 v5, 16, v4
	global_store_dword v[0:1], v5, off
.LBB30_748:
	s_mov_b64 s[28:29], 0
.LBB30_749:
	s_andn2_b64 vcc, exec, s[28:29]
	s_cbranch_vccnz .LBB30_751
; %bb.750:
	v_lshlrev_b32_e32 v5, 16, v4
	v_cvt_f16_f32_e32 v5, v5
	global_store_short v[0:1], v5, off
.LBB30_751:
	s_mov_b64 s[28:29], 0
.LBB30_752:
	s_andn2_b64 vcc, exec, s[28:29]
	s_cbranch_vccnz .LBB30_768
; %bb.753:
	s_cmp_lt_i32 s30, 2
	s_mov_b64 s[28:29], -1
	s_cbranch_scc1 .LBB30_763
; %bb.754:
	s_cmp_lt_i32 s30, 3
	s_cbranch_scc1 .LBB30_760
; %bb.755:
	s_cmp_gt_i32 s30, 3
	s_cbranch_scc0 .LBB30_757
; %bb.756:
	v_lshlrev_b32_e32 v5, 16, v4
	v_trunc_f32_e32 v5, v5
	s_mov_b32 s28, 0x2f800000
	v_mul_f32_e64 v6, |v5|, s28
	v_floor_f32_e32 v6, v6
	s_mov_b32 s28, 0xcf800000
	v_cvt_u32_f32_e32 v7, v6
	v_fma_f32 v6, v6, s28, |v5|
	v_cvt_u32_f32_e32 v6, v6
	v_ashrrev_i32_e32 v8, 31, v5
	v_xor_b32_e32 v7, v7, v8
	s_mov_b64 s[28:29], 0
	v_xor_b32_e32 v5, v6, v8
	v_sub_co_u32_e32 v5, vcc, v5, v8
	v_subb_co_u32_e32 v6, vcc, v7, v8, vcc
	global_store_dwordx2 v[0:1], v[5:6], off
.LBB30_757:
	s_andn2_b64 vcc, exec, s[28:29]
	s_cbranch_vccnz .LBB30_759
; %bb.758:
	v_lshlrev_b32_e32 v5, 16, v4
	v_cvt_i32_f32_e32 v5, v5
	global_store_dword v[0:1], v5, off
.LBB30_759:
	s_mov_b64 s[28:29], 0
.LBB30_760:
	s_andn2_b64 vcc, exec, s[28:29]
	s_cbranch_vccnz .LBB30_762
; %bb.761:
	v_lshlrev_b32_e32 v5, 16, v4
	v_cvt_i32_f32_e32 v5, v5
	global_store_short v[0:1], v5, off
.LBB30_762:
	s_mov_b64 s[28:29], 0
.LBB30_763:
	s_andn2_b64 vcc, exec, s[28:29]
	s_cbranch_vccnz .LBB30_768
; %bb.764:
	s_mov_b64 s[28:29], -1
	s_cmp_gt_i32 s30, 0
	v_lshlrev_b32_e32 v4, 16, v4
	s_cbranch_scc0 .LBB30_766
; %bb.765:
	v_cvt_i32_f32_e32 v5, v4
	s_mov_b64 s[28:29], 0
	global_store_byte v[0:1], v5, off
.LBB30_766:
	s_andn2_b64 vcc, exec, s[28:29]
	s_cbranch_vccnz .LBB30_768
; %bb.767:
	v_trunc_f32_e32 v4, v4
	s_mov_b32 s28, 0x2f800000
	v_mul_f32_e64 v5, |v4|, s28
	v_floor_f32_e32 v5, v5
	s_mov_b32 s28, 0xcf800000
	v_fma_f32 v5, v5, s28, |v4|
	v_cvt_u32_f32_e32 v5, v5
	v_ashrrev_i32_e32 v4, 31, v4
	v_xor_b32_e32 v5, v5, v4
	v_sub_u32_e32 v4, v5, v4
	global_store_byte v[0:1], v4, off
.LBB30_768:
	s_mov_b64 s[28:29], -1
.LBB30_769:
	s_andn2_b64 vcc, exec, s[28:29]
	s_cbranch_vccnz .LBB30_771
; %bb.770:
	v_add_u32_e32 v2, 0x80, v2
	s_mov_b64 s[30:31], -1
	s_branch .LBB30_773
.LBB30_771:
	s_mov_b64 s[30:31], 0
.LBB30_772:
                                        ; implicit-def: $vgpr2
.LBB30_773:
	s_andn2_b64 s[28:29], s[20:21], exec
	s_and_b64 s[0:1], s[0:1], exec
	s_or_b64 s[28:29], s[28:29], s[0:1]
	s_andn2_b64 s[0:1], s[18:19], exec
	s_and_b64 s[26:27], s[26:27], exec
	s_or_b64 s[0:1], s[0:1], s[26:27]
	s_orn2_b64 s[34:35], s[30:31], exec
.LBB30_774:
	s_or_b64 exec, exec, s[24:25]
	s_mov_b64 s[30:31], 0
	s_mov_b64 s[26:27], 0
	;; [unrolled: 1-line block ×3, first 2 shown]
                                        ; implicit-def: $vgpr0_vgpr1
                                        ; implicit-def: $vgpr5
	s_and_saveexec_b64 s[24:25], s[34:35]
	s_cbranch_execz .LBB30_859
; %bb.775:
	v_cmp_gt_i32_e32 vcc, s38, v2
	s_mov_b64 s[34:35], 0
	s_mov_b64 s[38:39], s[0:1]
	;; [unrolled: 1-line block ×3, first 2 shown]
                                        ; implicit-def: $vgpr0_vgpr1
                                        ; implicit-def: $vgpr5
	s_and_saveexec_b64 s[26:27], vcc
	s_cbranch_execz .LBB30_858
; %bb.776:
	v_mul_lo_u32 v0, v2, s3
	v_mov_b32_e32 v1, s11
	s_and_b32 s45, 0xffff, s43
	s_cmp_lt_i32 s45, 11
	s_waitcnt vmcnt(0)
	v_ashrrev_i32_e32 v4, 31, v0
	v_add_co_u32_e32 v0, vcc, s10, v0
	v_addc_co_u32_e32 v1, vcc, v1, v4, vcc
	s_cbranch_scc1 .LBB30_783
; %bb.777:
	s_cmp_gt_i32 s45, 25
	s_cbranch_scc0 .LBB30_784
; %bb.778:
	s_cmp_gt_i32 s45, 28
	s_cbranch_scc0 .LBB30_785
	;; [unrolled: 3-line block ×4, first 2 shown]
; %bb.781:
	s_cmp_eq_u32 s45, 46
	s_mov_b64 s[38:39], 0
	s_cbranch_scc0 .LBB30_792
; %bb.782:
	global_load_dword v5, v[0:1], off
	s_mov_b64 s[36:37], -1
	s_branch .LBB30_794
.LBB30_783:
	s_mov_b64 s[38:39], -1
                                        ; implicit-def: $vgpr5
	s_mov_b64 s[30:31], s[0:1]
	s_branch .LBB30_857
.LBB30_784:
	s_mov_b64 s[38:39], -1
	s_mov_b64 s[30:31], s[0:1]
                                        ; implicit-def: $vgpr5
	s_branch .LBB30_823
.LBB30_785:
	s_mov_b64 s[38:39], -1
	s_mov_b64 s[30:31], s[0:1]
                                        ; implicit-def: $vgpr5
	s_branch .LBB30_804
.LBB30_786:
	s_mov_b64 s[38:39], -1
	s_mov_b64 s[30:31], s[0:1]
                                        ; implicit-def: $vgpr5
	s_branch .LBB30_799
.LBB30_787:
	s_andn2_saveexec_b64 s[34:35], s[34:35]
	s_cbranch_execz .LBB30_682
.LBB30_788:
	s_mov_b32 s39, 0x46000000
	v_add_f32_e64 v6, |v7|, s39
	v_and_b32_e32 v6, 0xff, v6
	v_cmp_ne_u32_e32 vcc, 0, v6
	s_andn2_b64 s[30:31], s[30:31], exec
	s_and_b64 s[40:41], vcc, exec
	s_or_b64 s[30:31], s[30:31], s[40:41]
	s_or_b64 exec, exec, s[34:35]
	v_mov_b32_e32 v8, 0
	s_and_saveexec_b64 s[34:35], s[30:31]
	s_cbranch_execnz .LBB30_683
	s_branch .LBB30_684
.LBB30_789:
	s_mov_b64 s[38:39], -1
	s_mov_b64 s[30:31], s[0:1]
	s_branch .LBB30_793
.LBB30_790:
	s_andn2_saveexec_b64 s[34:35], s[34:35]
	s_cbranch_execz .LBB30_695
.LBB30_791:
	s_mov_b32 s39, 0x42800000
	v_add_f32_e64 v6, |v7|, s39
	v_and_b32_e32 v6, 0xff, v6
	v_cmp_ne_u32_e32 vcc, 0, v6
	s_andn2_b64 s[30:31], s[30:31], exec
	s_and_b64 s[40:41], vcc, exec
	s_or_b64 s[30:31], s[30:31], s[40:41]
	s_or_b64 exec, exec, s[34:35]
	v_mov_b32_e32 v8, 0
	s_and_saveexec_b64 s[34:35], s[30:31]
	s_cbranch_execnz .LBB30_696
	s_branch .LBB30_697
.LBB30_792:
	s_mov_b64 s[30:31], -1
.LBB30_793:
                                        ; implicit-def: $vgpr5
.LBB30_794:
	s_and_b64 vcc, exec, s[38:39]
	s_cbranch_vccz .LBB30_798
; %bb.795:
	s_cmp_eq_u32 s45, 44
	s_cbranch_scc0 .LBB30_797
; %bb.796:
	global_load_ubyte v4, v[0:1], off
	s_movk_i32 s36, 0xff
	s_waitcnt vmcnt(1)
	v_mov_b32_e32 v5, 0x7f800001
	v_mov_b32_e32 v6, 0x400000
	;; [unrolled: 1-line block ×3, first 2 shown]
	s_mov_b64 s[30:31], 0
	s_waitcnt vmcnt(0)
	v_lshlrev_b32_e32 v8, 23, v4
	v_cmp_ne_u32_e32 vcc, s36, v4
	v_cndmask_b32_e32 v5, v5, v8, vcc
	v_cmp_ne_u32_e32 vcc, 0, v4
	v_cndmask_b32_e32 v4, v6, v5, vcc
	v_add_u32_e32 v5, 0x7fff, v4
	v_cmp_o_f32_e32 vcc, v4, v4
	v_cndmask_b32_sdwa v5, v7, v5, vcc dst_sel:DWORD dst_unused:UNUSED_PAD src0_sel:DWORD src1_sel:WORD_1
	s_mov_b64 s[36:37], -1
	s_branch .LBB30_798
.LBB30_797:
	s_mov_b64 s[30:31], -1
                                        ; implicit-def: $vgpr5
.LBB30_798:
	s_mov_b64 s[38:39], 0
.LBB30_799:
	s_and_b64 vcc, exec, s[38:39]
	s_cbranch_vccz .LBB30_803
; %bb.800:
	s_cmp_eq_u32 s45, 29
	s_cbranch_scc0 .LBB30_802
; %bb.801:
	global_load_dwordx2 v[4:5], v[0:1], off
	s_movk_i32 s36, 0x7fff
	s_mov_b64 s[30:31], 0
	s_mov_b64 s[38:39], 0
	s_waitcnt vmcnt(0)
	v_ffbh_u32_e32 v6, v5
	v_min_u32_e32 v6, 32, v6
	v_lshlrev_b64 v[4:5], v6, v[4:5]
	v_min_u32_e32 v4, 1, v4
	v_or_b32_e32 v4, v5, v4
	v_cvt_f32_u32_e32 v4, v4
	v_sub_u32_e32 v5, 32, v6
	v_ldexp_f32 v4, v4, v5
	v_bfe_u32 v5, v4, 16, 1
	v_add3_u32 v4, v4, v5, s36
	v_lshrrev_b32_e32 v5, 16, v4
	s_mov_b64 s[36:37], -1
	s_branch .LBB30_804
.LBB30_802:
	s_mov_b64 s[30:31], -1
                                        ; implicit-def: $vgpr5
.LBB30_803:
	s_mov_b64 s[38:39], 0
.LBB30_804:
	s_and_b64 vcc, exec, s[38:39]
	s_cbranch_vccz .LBB30_822
; %bb.805:
	s_cmp_lt_i32 s45, 27
	s_cbranch_scc1 .LBB30_808
; %bb.806:
	s_cmp_gt_i32 s45, 27
	s_cbranch_scc0 .LBB30_809
; %bb.807:
	global_load_dword v4, v[0:1], off
	s_movk_i32 s36, 0x7fff
	s_waitcnt vmcnt(0)
	v_cvt_f32_u32_e32 v4, v4
	v_bfe_u32 v5, v4, 16, 1
	v_add3_u32 v4, v4, v5, s36
	v_lshrrev_b32_e32 v5, 16, v4
	s_mov_b64 s[36:37], 0
	s_branch .LBB30_810
.LBB30_808:
	s_mov_b64 s[36:37], -1
                                        ; implicit-def: $vgpr5
	s_branch .LBB30_813
.LBB30_809:
	s_mov_b64 s[36:37], -1
                                        ; implicit-def: $vgpr5
.LBB30_810:
	s_andn2_b64 vcc, exec, s[36:37]
	s_cbranch_vccnz .LBB30_812
; %bb.811:
	global_load_ushort v4, v[0:1], off
	s_movk_i32 s36, 0x7fff
	s_waitcnt vmcnt(0)
	v_cvt_f32_u32_e32 v4, v4
	v_bfe_u32 v5, v4, 16, 1
	v_add3_u32 v4, v4, v5, s36
	v_lshrrev_b32_e32 v5, 16, v4
.LBB30_812:
	s_mov_b64 s[36:37], 0
.LBB30_813:
	s_andn2_b64 vcc, exec, s[36:37]
	s_cbranch_vccnz .LBB30_821
; %bb.814:
	global_load_ubyte v4, v[0:1], off
	s_movk_i32 s36, 0x7f
	s_waitcnt vmcnt(0)
	v_cmp_lt_i16_e32 vcc, s36, v4
	s_mov_b64 s[36:37], 0
	s_and_saveexec_b64 s[38:39], vcc
	s_xor_b64 s[38:39], exec, s[38:39]
	s_cbranch_execz .LBB30_835
; %bb.815:
	s_movk_i32 s36, 0x80
	v_cmp_eq_u16_e32 vcc, s36, v4
	s_mov_b64 s[36:37], -1
	s_and_saveexec_b64 s[40:41], vcc
; %bb.816:
	s_xor_b64 s[36:37], exec, -1
; %bb.817:
	s_or_b64 exec, exec, s[40:41]
	s_and_b64 s[36:37], s[36:37], exec
	s_or_saveexec_b64 s[38:39], s[38:39]
	v_mov_b32_e32 v5, 0x7f800001
	s_xor_b64 exec, exec, s[38:39]
	s_cbranch_execnz .LBB30_836
.LBB30_818:
	s_or_b64 exec, exec, s[38:39]
	s_and_saveexec_b64 s[38:39], s[36:37]
	s_cbranch_execz .LBB30_820
.LBB30_819:
	v_lshlrev_b32_e32 v5, 24, v4
	v_and_b32_e32 v4, 0xffff, v4
	v_and_b32_e32 v6, 7, v4
	v_ffbh_u32_e32 v8, v6
	v_min_u32_e32 v8, 32, v8
	v_subrev_u32_e32 v9, 28, v8
	v_bfe_u32 v7, v4, 3, 4
	v_lshlrev_b32_e32 v4, v9, v4
	v_sub_u32_e32 v8, 29, v8
	v_and_b32_e32 v4, 7, v4
	v_cmp_eq_u32_e32 vcc, 0, v7
	v_cndmask_b32_e32 v7, v7, v8, vcc
	v_cndmask_b32_e32 v4, v6, v4, vcc
	v_mov_b32_e32 v6, 0x3b800000
	v_lshlrev_b32_e32 v4, 20, v4
	v_and_b32_e32 v5, 0x80000000, v5
	v_lshl_add_u32 v6, v7, 23, v6
	v_or3_b32 v5, v5, v6, v4
.LBB30_820:
	s_or_b64 exec, exec, s[38:39]
	v_bfe_u32 v4, v5, 16, 1
	s_movk_i32 s36, 0x7fff
	v_add3_u32 v4, v5, v4, s36
	v_cmp_o_f32_e32 vcc, v5, v5
	v_mov_b32_e32 v5, 0x7fc0
	v_cndmask_b32_sdwa v5, v5, v4, vcc dst_sel:DWORD dst_unused:UNUSED_PAD src0_sel:DWORD src1_sel:WORD_1
.LBB30_821:
	s_mov_b64 s[36:37], -1
.LBB30_822:
	s_mov_b64 s[38:39], 0
.LBB30_823:
	s_and_b64 vcc, exec, s[38:39]
	s_cbranch_vccz .LBB30_856
; %bb.824:
	s_cmp_gt_i32 s45, 22
	s_cbranch_scc0 .LBB30_834
; %bb.825:
	s_cmp_lt_i32 s45, 24
	s_cbranch_scc1 .LBB30_837
; %bb.826:
	s_cmp_gt_i32 s45, 24
	s_cbranch_scc0 .LBB30_838
; %bb.827:
	global_load_ubyte v4, v[0:1], off
	s_movk_i32 s34, 0x7f
	s_waitcnt vmcnt(0)
	v_cmp_lt_i16_e32 vcc, s34, v4
	s_mov_b64 s[34:35], 0
	s_and_saveexec_b64 s[36:37], vcc
	s_xor_b64 s[36:37], exec, s[36:37]
	s_cbranch_execz .LBB30_850
; %bb.828:
	s_movk_i32 s34, 0x80
	v_cmp_eq_u16_e32 vcc, s34, v4
	s_mov_b64 s[34:35], -1
	s_and_saveexec_b64 s[38:39], vcc
; %bb.829:
	s_xor_b64 s[34:35], exec, -1
; %bb.830:
	s_or_b64 exec, exec, s[38:39]
	s_and_b64 s[34:35], s[34:35], exec
	s_or_saveexec_b64 s[36:37], s[36:37]
	v_mov_b32_e32 v5, 0x7f800001
	s_xor_b64 exec, exec, s[36:37]
	s_cbranch_execnz .LBB30_851
.LBB30_831:
	s_or_b64 exec, exec, s[36:37]
	s_and_saveexec_b64 s[36:37], s[34:35]
	s_cbranch_execz .LBB30_833
.LBB30_832:
	v_lshlrev_b32_e32 v5, 24, v4
	v_and_b32_e32 v4, 0xffff, v4
	v_and_b32_e32 v6, 3, v4
	v_ffbh_u32_e32 v8, v6
	v_min_u32_e32 v8, 32, v8
	v_subrev_u32_e32 v9, 29, v8
	v_bfe_u32 v7, v4, 2, 5
	v_lshlrev_b32_e32 v4, v9, v4
	v_sub_u32_e32 v8, 30, v8
	v_and_b32_e32 v4, 3, v4
	v_cmp_eq_u32_e32 vcc, 0, v7
	v_cndmask_b32_e32 v7, v7, v8, vcc
	v_cndmask_b32_e32 v4, v6, v4, vcc
	v_mov_b32_e32 v6, 0x37800000
	v_lshlrev_b32_e32 v4, 21, v4
	v_and_b32_e32 v5, 0x80000000, v5
	v_lshl_add_u32 v6, v7, 23, v6
	v_or3_b32 v5, v5, v6, v4
.LBB30_833:
	s_or_b64 exec, exec, s[36:37]
	v_bfe_u32 v4, v5, 16, 1
	s_movk_i32 s34, 0x7fff
	v_add3_u32 v4, v5, v4, s34
	v_cmp_o_f32_e32 vcc, v5, v5
	v_mov_b32_e32 v5, 0x7fc0
	v_cndmask_b32_sdwa v5, v5, v4, vcc dst_sel:DWORD dst_unused:UNUSED_PAD src0_sel:DWORD src1_sel:WORD_1
	s_mov_b64 s[34:35], 0
	s_branch .LBB30_839
.LBB30_834:
	s_mov_b64 s[34:35], -1
                                        ; implicit-def: $vgpr5
	s_branch .LBB30_845
.LBB30_835:
	s_or_saveexec_b64 s[38:39], s[38:39]
	v_mov_b32_e32 v5, 0x7f800001
	s_xor_b64 exec, exec, s[38:39]
	s_cbranch_execz .LBB30_818
.LBB30_836:
	v_cmp_ne_u16_e32 vcc, 0, v4
	s_andn2_b64 s[36:37], s[36:37], exec
	s_and_b64 s[40:41], vcc, exec
	v_mov_b32_e32 v5, 0
	s_or_b64 s[36:37], s[36:37], s[40:41]
	s_or_b64 exec, exec, s[38:39]
	s_and_saveexec_b64 s[38:39], s[36:37]
	s_cbranch_execnz .LBB30_819
	s_branch .LBB30_820
.LBB30_837:
	s_mov_b64 s[34:35], -1
                                        ; implicit-def: $vgpr5
	s_branch .LBB30_842
.LBB30_838:
	s_mov_b64 s[34:35], -1
                                        ; implicit-def: $vgpr5
.LBB30_839:
	s_and_b64 vcc, exec, s[34:35]
	s_cbranch_vccz .LBB30_841
; %bb.840:
	global_load_ubyte v4, v[0:1], off
	s_mov_b32 s34, 0x7f800000
	s_brev_b32 s35, 1
	s_movk_i32 s36, 0x7fff
	s_waitcnt vmcnt(0)
	v_lshlrev_b32_e32 v4, 24, v4
	v_and_b32_e32 v5, 0x7f000000, v4
	v_ffbh_u32_e32 v6, v5
	v_min_u32_e32 v6, 32, v6
	v_sub_u32_e64 v6, v6, 4 clamp
	v_lshlrev_b32_e32 v8, v6, v5
	v_lshlrev_b32_e32 v6, 23, v6
	v_lshrrev_b32_e32 v8, 4, v8
	v_add_u32_e32 v7, 0x1000000, v5
	v_sub_u32_e32 v6, v8, v6
	v_ashrrev_i32_e32 v7, 8, v7
	v_add_u32_e32 v6, 0x3c000000, v6
	v_and_or_b32 v6, v7, s34, v6
	v_cmp_ne_u32_e32 vcc, 0, v5
	v_cndmask_b32_e32 v5, 0, v6, vcc
	v_and_or_b32 v4, v4, s35, v5
	v_bfe_u32 v5, v5, 16, 1
	v_add3_u32 v5, v4, v5, s36
	v_cmp_o_f32_e32 vcc, v4, v4
	v_mov_b32_e32 v4, 0x7fc0
	v_cndmask_b32_sdwa v5, v4, v5, vcc dst_sel:DWORD dst_unused:UNUSED_PAD src0_sel:DWORD src1_sel:WORD_1
.LBB30_841:
	s_mov_b64 s[34:35], 0
.LBB30_842:
	s_andn2_b64 vcc, exec, s[34:35]
	s_cbranch_vccnz .LBB30_844
; %bb.843:
	global_load_ubyte v4, v[0:1], off
	s_movk_i32 s34, 0x7f00
	s_brev_b32 s35, 16
	s_brev_b32 s36, 1
	s_movk_i32 s37, 0x7fff
	s_waitcnt vmcnt(0)
	v_lshlrev_b16_e32 v5, 8, v4
	v_lshlrev_b32_e32 v4, 25, v4
	v_lshrrev_b32_e32 v6, 4, v4
	v_and_or_b32 v7, v5, s34, 0.5
	v_or_b32_e32 v6, 0x70000000, v6
	v_add_f32_e32 v7, -0.5, v7
	v_mul_f32_e32 v6, 0x7800000, v6
	v_cmp_gt_u32_e32 vcc, s35, v4
	v_bfe_i32 v5, v5, 0, 16
	v_cndmask_b32_e32 v4, v6, v7, vcc
	v_and_or_b32 v5, v5, s36, v4
	v_bfe_u32 v4, v4, 16, 1
	v_add3_u32 v4, v5, v4, s37
	v_cmp_o_f32_e32 vcc, v5, v5
	v_mov_b32_e32 v5, 0x7fc0
	v_cndmask_b32_sdwa v5, v5, v4, vcc dst_sel:DWORD dst_unused:UNUSED_PAD src0_sel:DWORD src1_sel:WORD_1
.LBB30_844:
	s_mov_b64 s[34:35], 0
	s_mov_b64 s[36:37], -1
.LBB30_845:
	s_andn2_b64 vcc, exec, s[34:35]
	s_mov_b64 s[34:35], 0
	s_cbranch_vccnz .LBB30_856
; %bb.846:
	s_cmp_gt_i32 s45, 14
	s_cbranch_scc0 .LBB30_849
; %bb.847:
	s_cmp_eq_u32 s45, 15
	s_cbranch_scc0 .LBB30_852
; %bb.848:
	global_load_ushort v5, v[0:1], off
	s_mov_b64 s[30:31], 0
	s_mov_b64 s[36:37], -1
	s_branch .LBB30_853
.LBB30_849:
	s_mov_b64 s[38:39], -1
                                        ; implicit-def: $vgpr5
	s_branch .LBB30_854
.LBB30_850:
	s_or_saveexec_b64 s[36:37], s[36:37]
	v_mov_b32_e32 v5, 0x7f800001
	s_xor_b64 exec, exec, s[36:37]
	s_cbranch_execz .LBB30_831
.LBB30_851:
	v_cmp_ne_u16_e32 vcc, 0, v4
	s_andn2_b64 s[34:35], s[34:35], exec
	s_and_b64 s[38:39], vcc, exec
	v_mov_b32_e32 v5, 0
	s_or_b64 s[34:35], s[34:35], s[38:39]
	s_or_b64 exec, exec, s[36:37]
	s_and_saveexec_b64 s[36:37], s[34:35]
	s_cbranch_execnz .LBB30_832
	s_branch .LBB30_833
.LBB30_852:
	s_mov_b64 s[30:31], -1
                                        ; implicit-def: $vgpr5
.LBB30_853:
	s_mov_b64 s[38:39], 0
.LBB30_854:
	s_and_b64 vcc, exec, s[38:39]
	s_cbranch_vccz .LBB30_856
; %bb.855:
	s_cmp_lg_u32 s45, 11
	s_cselect_b64 s[38:39], -1, 0
	s_andn2_b64 s[30:31], s[30:31], exec
	s_and_b64 s[38:39], s[38:39], exec
	s_mov_b64 s[34:35], -1
	s_or_b64 s[30:31], s[30:31], s[38:39]
.LBB30_856:
	s_mov_b64 s[38:39], 0
.LBB30_857:
	s_and_b64 s[40:41], s[38:39], exec
	s_andn2_b64 s[38:39], s[0:1], exec
	s_and_b64 s[30:31], s[30:31], exec
	s_and_b64 s[36:37], s[36:37], exec
	;; [unrolled: 1-line block ×3, first 2 shown]
	s_or_b64 s[38:39], s[38:39], s[30:31]
.LBB30_858:
	s_or_b64 exec, exec, s[26:27]
	s_and_b64 s[30:31], s[34:35], exec
	s_andn2_b64 s[0:1], s[0:1], exec
	s_and_b64 s[34:35], s[38:39], exec
	s_and_b64 s[36:37], s[36:37], exec
	;; [unrolled: 1-line block ×3, first 2 shown]
	s_or_b64 s[0:1], s[0:1], s[34:35]
.LBB30_859:
	s_or_b64 exec, exec, s[24:25]
	s_andn2_b64 s[20:21], s[20:21], exec
	s_and_b64 s[24:25], s[28:29], exec
	s_andn2_b64 s[18:19], s[18:19], exec
	s_and_b64 s[0:1], s[0:1], exec
	s_or_b64 s[20:21], s[20:21], s[24:25]
	s_and_b64 s[28:29], s[36:37], exec
	s_and_b64 s[26:27], s[26:27], exec
	;; [unrolled: 1-line block ×3, first 2 shown]
	s_or_b64 s[18:19], s[18:19], s[0:1]
.LBB30_860:
	s_or_b64 exec, exec, s[22:23]
	s_andn2_b64 s[0:1], s[12:13], exec
	s_and_b64 s[12:13], s[20:21], exec
	s_andn2_b64 s[14:15], s[14:15], exec
	s_and_b64 s[18:19], s[18:19], exec
	s_or_b64 s[12:13], s[0:1], s[12:13]
	s_and_b64 s[0:1], s[28:29], exec
	s_and_b64 s[22:23], s[26:27], exec
	;; [unrolled: 1-line block ×3, first 2 shown]
	s_or_b64 s[14:15], s[14:15], s[18:19]
	s_or_b64 exec, exec, s[16:17]
	s_mov_b64 s[16:17], 0
	s_and_saveexec_b64 s[18:19], s[14:15]
	s_cbranch_execz .LBB30_262
.LBB30_861:
	s_mov_b64 s[16:17], exec
	s_andn2_b64 s[20:21], s[20:21], exec
	s_trap 2
	s_or_b64 exec, exec, s[18:19]
	s_and_saveexec_b64 s[14:15], s[20:21]
	s_xor_b64 s[14:15], exec, s[14:15]
	s_cbranch_execnz .LBB30_263
.LBB30_862:
	s_or_b64 exec, exec, s[14:15]
	s_and_saveexec_b64 s[14:15], s[22:23]
	s_cbranch_execz .LBB30_908
.LBB30_863:
	s_sext_i32_i16 s18, s43
	s_cmp_lt_i32 s18, 5
	s_cbranch_scc1 .LBB30_868
; %bb.864:
	s_cmp_lt_i32 s18, 8
	s_cbranch_scc1 .LBB30_869
; %bb.865:
	;; [unrolled: 3-line block ×3, first 2 shown]
	s_cmp_gt_i32 s18, 9
	s_cbranch_scc0 .LBB30_871
; %bb.867:
	global_load_dwordx2 v[4:5], v[0:1], off
	s_movk_i32 s18, 0x7fff
	s_waitcnt vmcnt(0)
	v_cvt_f32_f64_e32 v4, v[4:5]
	v_mov_b32_e32 v5, 0x7fc0
	v_bfe_u32 v6, v4, 16, 1
	v_cmp_o_f32_e32 vcc, v4, v4
	v_add3_u32 v4, v4, v6, s18
	v_cndmask_b32_sdwa v5, v5, v4, vcc dst_sel:DWORD dst_unused:UNUSED_PAD src0_sel:DWORD src1_sel:WORD_1
	s_mov_b64 s[18:19], 0
	s_branch .LBB30_872
.LBB30_868:
                                        ; implicit-def: $vgpr5
	s_branch .LBB30_889
.LBB30_869:
                                        ; implicit-def: $vgpr5
	s_branch .LBB30_878
.LBB30_870:
	s_mov_b64 s[18:19], -1
                                        ; implicit-def: $vgpr5
	s_branch .LBB30_875
.LBB30_871:
	s_mov_b64 s[18:19], -1
                                        ; implicit-def: $vgpr5
.LBB30_872:
	s_andn2_b64 vcc, exec, s[18:19]
	s_cbranch_vccnz .LBB30_874
; %bb.873:
	global_load_dword v4, v[0:1], off
	s_movk_i32 s18, 0x7fff
	s_waitcnt vmcnt(1)
	v_mov_b32_e32 v5, 0x7fc0
	s_waitcnt vmcnt(0)
	v_bfe_u32 v6, v4, 16, 1
	v_cmp_o_f32_e32 vcc, v4, v4
	v_add3_u32 v4, v4, v6, s18
	v_cndmask_b32_sdwa v5, v5, v4, vcc dst_sel:DWORD dst_unused:UNUSED_PAD src0_sel:DWORD src1_sel:WORD_1
.LBB30_874:
	s_mov_b64 s[18:19], 0
.LBB30_875:
	s_andn2_b64 vcc, exec, s[18:19]
	s_cbranch_vccnz .LBB30_877
; %bb.876:
	global_load_dword v4, v[0:1], off
	s_movk_i32 s18, 0x7fff
	v_mov_b32_e32 v6, 0x7fc0
	s_waitcnt vmcnt(0)
	v_cvt_f32_f16_e32 v5, v4
	v_cmp_o_f16_e32 vcc, v4, v4
	v_bfe_u32 v4, v5, 16, 1
	v_add3_u32 v4, v5, v4, s18
	v_cndmask_b32_sdwa v5, v6, v4, vcc dst_sel:DWORD dst_unused:UNUSED_PAD src0_sel:DWORD src1_sel:WORD_1
.LBB30_877:
	s_cbranch_execnz .LBB30_888
.LBB30_878:
	s_sext_i32_i16 s18, s43
	s_cmp_lt_i32 s18, 6
	s_cbranch_scc1 .LBB30_881
; %bb.879:
	s_cmp_gt_i32 s18, 6
	s_cbranch_scc0 .LBB30_882
; %bb.880:
	global_load_dwordx2 v[4:5], v[0:1], off
	s_movk_i32 s18, 0x7fff
	s_waitcnt vmcnt(0)
	v_cvt_f32_f64_e32 v4, v[4:5]
	v_mov_b32_e32 v5, 0x7fc0
	v_bfe_u32 v6, v4, 16, 1
	v_cmp_o_f32_e32 vcc, v4, v4
	v_add3_u32 v4, v4, v6, s18
	v_cndmask_b32_sdwa v5, v5, v4, vcc dst_sel:DWORD dst_unused:UNUSED_PAD src0_sel:DWORD src1_sel:WORD_1
	s_mov_b64 s[18:19], 0
	s_branch .LBB30_883
.LBB30_881:
	s_mov_b64 s[18:19], -1
                                        ; implicit-def: $vgpr5
	s_branch .LBB30_886
.LBB30_882:
	s_mov_b64 s[18:19], -1
                                        ; implicit-def: $vgpr5
.LBB30_883:
	s_andn2_b64 vcc, exec, s[18:19]
	s_cbranch_vccnz .LBB30_885
; %bb.884:
	global_load_dword v4, v[0:1], off
	s_movk_i32 s18, 0x7fff
	s_waitcnt vmcnt(1)
	v_mov_b32_e32 v5, 0x7fc0
	s_waitcnt vmcnt(0)
	v_bfe_u32 v6, v4, 16, 1
	v_cmp_o_f32_e32 vcc, v4, v4
	v_add3_u32 v4, v4, v6, s18
	v_cndmask_b32_sdwa v5, v5, v4, vcc dst_sel:DWORD dst_unused:UNUSED_PAD src0_sel:DWORD src1_sel:WORD_1
.LBB30_885:
	s_mov_b64 s[18:19], 0
.LBB30_886:
	s_andn2_b64 vcc, exec, s[18:19]
	s_cbranch_vccnz .LBB30_888
; %bb.887:
	global_load_ushort v4, v[0:1], off
	s_movk_i32 s18, 0x7fff
	v_mov_b32_e32 v6, 0x7fc0
	s_waitcnt vmcnt(0)
	v_cvt_f32_f16_e32 v5, v4
	v_cmp_o_f16_e32 vcc, v4, v4
	v_bfe_u32 v4, v5, 16, 1
	v_add3_u32 v4, v5, v4, s18
	v_cndmask_b32_sdwa v5, v6, v4, vcc dst_sel:DWORD dst_unused:UNUSED_PAD src0_sel:DWORD src1_sel:WORD_1
.LBB30_888:
	s_cbranch_execnz .LBB30_907
.LBB30_889:
	s_sext_i32_i16 s18, s43
	s_cmp_lt_i32 s18, 2
	s_cbranch_scc1 .LBB30_893
; %bb.890:
	s_cmp_lt_i32 s18, 3
	s_cbranch_scc1 .LBB30_894
; %bb.891:
	s_cmp_gt_i32 s18, 3
	s_cbranch_scc0 .LBB30_895
; %bb.892:
	global_load_dwordx2 v[4:5], v[0:1], off
	s_movk_i32 s18, 0x7fff
	s_waitcnt vmcnt(0)
	v_xor_b32_e32 v7, v4, v5
	v_ffbh_i32_e32 v6, v5
	v_ashrrev_i32_e32 v7, 31, v7
	v_add_u32_e32 v6, -1, v6
	v_add_u32_e32 v7, 32, v7
	v_min_u32_e32 v6, v6, v7
	v_lshlrev_b64 v[4:5], v6, v[4:5]
	v_min_u32_e32 v4, 1, v4
	v_or_b32_e32 v4, v5, v4
	v_cvt_f32_i32_e32 v4, v4
	v_sub_u32_e32 v5, 32, v6
	v_ldexp_f32 v4, v4, v5
	v_bfe_u32 v5, v4, 16, 1
	v_add3_u32 v4, v4, v5, s18
	v_lshrrev_b32_e32 v5, 16, v4
	s_mov_b64 s[18:19], 0
	s_branch .LBB30_896
.LBB30_893:
                                        ; implicit-def: $vgpr5
	s_branch .LBB30_902
.LBB30_894:
	s_mov_b64 s[18:19], -1
                                        ; implicit-def: $vgpr5
	s_branch .LBB30_899
.LBB30_895:
	s_mov_b64 s[18:19], -1
                                        ; implicit-def: $vgpr5
.LBB30_896:
	s_andn2_b64 vcc, exec, s[18:19]
	s_cbranch_vccnz .LBB30_898
; %bb.897:
	global_load_dword v4, v[0:1], off
	s_movk_i32 s18, 0x7fff
	s_waitcnt vmcnt(0)
	v_cvt_f32_i32_e32 v4, v4
	v_bfe_u32 v5, v4, 16, 1
	v_add3_u32 v4, v4, v5, s18
	v_lshrrev_b32_e32 v5, 16, v4
.LBB30_898:
	s_mov_b64 s[18:19], 0
.LBB30_899:
	s_andn2_b64 vcc, exec, s[18:19]
	s_cbranch_vccnz .LBB30_901
; %bb.900:
	global_load_sshort v4, v[0:1], off
	s_movk_i32 s18, 0x7fff
	s_waitcnt vmcnt(0)
	v_cvt_f32_i32_e32 v4, v4
	v_bfe_u32 v5, v4, 16, 1
	v_add3_u32 v4, v4, v5, s18
	v_lshrrev_b32_e32 v5, 16, v4
.LBB30_901:
	s_cbranch_execnz .LBB30_907
.LBB30_902:
	s_sext_i32_i16 s18, s43
	s_cmp_gt_i32 s18, 0
	s_cbranch_scc0 .LBB30_904
; %bb.903:
	global_load_sbyte v4, v[0:1], off
	s_movk_i32 s18, 0x7fff
	s_waitcnt vmcnt(0)
	v_cvt_f32_i32_e32 v4, v4
	v_bfe_u32 v5, v4, 16, 1
	v_add3_u32 v4, v4, v5, s18
	v_lshrrev_b32_e32 v5, 16, v4
	s_mov_b64 s[18:19], 0
	s_branch .LBB30_905
.LBB30_904:
	s_mov_b64 s[18:19], -1
                                        ; implicit-def: $vgpr5
.LBB30_905:
	s_andn2_b64 vcc, exec, s[18:19]
	s_cbranch_vccnz .LBB30_907
; %bb.906:
	global_load_ubyte v0, v[0:1], off
	s_movk_i32 s18, 0x7fff
	s_waitcnt vmcnt(0)
	v_cvt_f32_ubyte0_e32 v0, v0
	v_bfe_u32 v1, v0, 16, 1
	v_add3_u32 v0, v0, v1, s18
	v_lshrrev_b32_e32 v5, 16, v0
.LBB30_907:
	s_or_b64 s[0:1], s[0:1], exec
.LBB30_908:
	s_or_b64 exec, exec, s[14:15]
	s_mov_b64 s[20:21], 0
	s_mov_b64 s[18:19], 0
                                        ; implicit-def: $sgpr26
                                        ; implicit-def: $vgpr0_vgpr1
                                        ; implicit-def: $vgpr4
	s_and_saveexec_b64 s[14:15], s[0:1]
	s_cbranch_execz .LBB30_926
; %bb.909:
	v_mul_lo_u32 v1, v2, s2
	s_waitcnt vmcnt(0)
	v_lshlrev_b32_e32 v0, 16, v5
	v_cmp_nle_f32_e32 vcc, v3, v0
	v_cmp_nge_f32_e64 s[0:1], s44, v0
	s_or_b64 vcc, s[0:1], vcc
	v_cndmask_b32_e32 v4, 0, v5, vcc
	v_ashrrev_i32_e32 v2, 31, v1
	v_mov_b32_e32 v3, s9
	s_and_b32 s26, s33, 0xff
	v_add_co_u32_e32 v0, vcc, s8, v1
	s_cmp_lt_i32 s26, 11
	v_addc_co_u32_e32 v1, vcc, v3, v2, vcc
	s_cbranch_scc1 .LBB30_929
; %bb.910:
	s_and_b32 s27, 0xffff, s26
	s_mov_b64 s[20:21], -1
	s_cmp_gt_i32 s27, 25
	s_mov_b64 s[0:1], s[12:13]
	s_cbranch_scc0 .LBB30_947
; %bb.911:
	s_mov_b64 s[18:19], -1
	s_cmp_gt_i32 s27, 28
	s_mov_b64 s[0:1], s[12:13]
	s_cbranch_scc0 .LBB30_931
; %bb.912:
	s_cmp_gt_i32 s27, 43
	s_mov_b64 s[0:1], s[12:13]
	s_cbranch_scc0 .LBB30_923
; %bb.913:
	;; [unrolled: 4-line block ×3, first 2 shown]
	s_cmp_eq_u32 s27, 46
	s_mov_b64 s[0:1], -1
	s_cbranch_scc0 .LBB30_916
; %bb.915:
	v_and_b32_e32 v2, 0xffff, v4
	global_store_dword v[0:1], v2, off
	s_mov_b64 s[0:1], 0
.LBB30_916:
	s_mov_b64 s[18:19], 0
.LBB30_917:
	s_and_b64 vcc, exec, s[18:19]
	s_cbranch_vccz .LBB30_922
; %bb.918:
	s_cmp_eq_u32 s27, 44
	s_mov_b64 s[0:1], -1
	s_cbranch_scc0 .LBB30_922
; %bb.919:
	v_and_b32_e32 v3, 0xffff, v4
	v_bfe_u32 v2, v3, 7, 8
	s_movk_i32 s0, 0xff
	v_cmp_ne_u32_e32 vcc, s0, v2
	v_mov_b32_e32 v5, 0xff
	s_and_saveexec_b64 s[18:19], vcc
	s_cbranch_execz .LBB30_921
; %bb.920:
	v_lshlrev_b32_e32 v6, 16, v3
	s_mov_b32 s0, 0x3f0000
	v_lshrrev_b32_e32 v5, 7, v3
	v_and_b32_e32 v3, 64, v3
	v_and_or_b32 v2, v6, s0, v2
	v_cmp_ne_u32_e32 vcc, 0, v3
	v_cmp_ne_u32_e64 s[0:1], 0, v2
	s_and_b64 s[0:1], vcc, s[0:1]
	v_cndmask_b32_e64 v2, 0, 1, s[0:1]
	v_add_u32_e32 v5, v5, v2
.LBB30_921:
	s_or_b64 exec, exec, s[18:19]
	s_mov_b64 s[0:1], 0
	global_store_byte v[0:1], v5, off
.LBB30_922:
	s_mov_b64 s[18:19], 0
.LBB30_923:
	s_and_b64 vcc, exec, s[18:19]
	s_cbranch_vccz .LBB30_930
; %bb.924:
	s_cmp_eq_u32 s27, 29
	s_mov_b64 s[0:1], -1
	s_cbranch_scc0 .LBB30_930
; %bb.925:
	v_lshlrev_b32_e32 v2, 16, v4
	v_trunc_f32_e32 v2, v2
	v_mul_f32_e32 v3, 0x2f800000, v2
	v_floor_f32_e32 v5, v3
	v_fmac_f32_e32 v2, 0xcf800000, v5
	v_cvt_u32_f32_e32 v3, v5
	v_cvt_u32_f32_e32 v2, v2
	s_mov_b64 s[0:1], 0
	s_mov_b64 s[18:19], 0
	global_store_dwordx2 v[0:1], v[2:3], off
	s_branch .LBB30_931
.LBB30_926:
	s_or_b64 exec, exec, s[14:15]
	s_and_saveexec_b64 s[0:1], s[12:13]
	s_cbranch_execnz .LBB30_989
.LBB30_927:
	s_or_b64 exec, exec, s[0:1]
	s_and_saveexec_b64 s[0:1], s[20:21]
	s_xor_b64 s[0:1], exec, s[0:1]
	s_cbranch_execz .LBB30_990
.LBB30_928:
	s_waitcnt vmcnt(0)
	v_and_b32_e32 v2, 0x7fff, v4
	v_cmp_ne_u16_e32 vcc, 0, v2
	v_cndmask_b32_e64 v2, 0, 1, vcc
	global_store_byte v[0:1], v2, off
	s_or_b64 exec, exec, s[0:1]
	s_and_saveexec_b64 s[0:1], s[18:19]
	s_xor_b64 s[0:1], exec, s[0:1]
	s_cbranch_execz .LBB30_1028
	s_branch .LBB30_991
.LBB30_929:
	s_mov_b64 s[18:19], -1
	s_mov_b64 s[0:1], s[12:13]
	s_branch .LBB30_988
.LBB30_930:
	s_mov_b64 s[18:19], 0
.LBB30_931:
	s_and_b64 vcc, exec, s[18:19]
	s_cbranch_vccz .LBB30_946
; %bb.932:
	s_cmp_lt_i32 s27, 27
	s_mov_b64 s[18:19], -1
	s_cbranch_scc1 .LBB30_938
; %bb.933:
	s_cmp_gt_i32 s27, 27
	s_cbranch_scc0 .LBB30_935
; %bb.934:
	v_lshlrev_b32_e32 v2, 16, v4
	v_cvt_u32_f32_e32 v2, v2
	s_mov_b64 s[18:19], 0
	global_store_dword v[0:1], v2, off
.LBB30_935:
	s_andn2_b64 vcc, exec, s[18:19]
	s_cbranch_vccnz .LBB30_937
; %bb.936:
	v_lshlrev_b32_e32 v2, 16, v4
	v_cvt_u32_f32_e32 v2, v2
	global_store_short v[0:1], v2, off
.LBB30_937:
	s_mov_b64 s[18:19], 0
.LBB30_938:
	s_andn2_b64 vcc, exec, s[18:19]
	s_cbranch_vccnz .LBB30_946
; %bb.939:
	v_lshlrev_b32_e32 v5, 16, v4
	v_and_b32_e32 v3, 0x7fffffff, v5
	s_mov_b32 s18, 0x43800000
	v_cmp_gt_u32_e32 vcc, s18, v3
	v_mov_b32_e32 v6, 0x80
	s_and_saveexec_b64 s[18:19], vcc
	s_cbranch_execz .LBB30_945
; %bb.940:
	s_mov_b32 s20, 0x3bffffff
	v_and_b32_e32 v2, 0xffff, v4
	v_cmp_lt_u32_e32 vcc, s20, v3
	s_mov_b64 s[20:21], 0
                                        ; implicit-def: $vgpr3
	s_and_saveexec_b64 s[22:23], vcc
	s_xor_b64 s[22:23], exec, s[22:23]
	s_cbranch_execz .LBB30_1043
; %bb.941:
	v_bfe_u32 v3, v2, 4, 1
	s_mov_b32 s24, 0x487ffff
	v_add3_u32 v3, v5, v3, s24
	s_mov_b64 s[20:21], exec
	v_lshrrev_b32_e32 v3, 20, v3
                                        ; implicit-def: $vgpr5
	s_andn2_saveexec_b64 s[22:23], s[22:23]
	s_cbranch_execnz .LBB30_1044
.LBB30_942:
	s_or_b64 exec, exec, s[22:23]
	v_mov_b32_e32 v6, 0
	s_and_saveexec_b64 s[22:23], s[20:21]
.LBB30_943:
	v_lshrrev_b32_e32 v2, 8, v2
	s_movk_i32 s20, 0x80
	v_and_or_b32 v6, v2, s20, v3
.LBB30_944:
	s_or_b64 exec, exec, s[22:23]
.LBB30_945:
	s_or_b64 exec, exec, s[18:19]
	global_store_byte v[0:1], v6, off
.LBB30_946:
	s_mov_b64 s[20:21], 0
.LBB30_947:
	s_mov_b64 s[18:19], 0
	s_and_b64 vcc, exec, s[20:21]
	s_cbranch_vccz .LBB30_987
; %bb.948:
	s_cmp_gt_i32 s27, 22
	s_mov_b64 s[20:21], -1
	s_cbranch_scc0 .LBB30_980
; %bb.949:
	s_cmp_lt_i32 s27, 24
	s_cbranch_scc1 .LBB30_969
; %bb.950:
	s_cmp_gt_i32 s27, 24
	s_cbranch_scc0 .LBB30_958
; %bb.951:
	v_lshlrev_b32_e32 v5, 16, v4
	v_and_b32_e32 v3, 0x7fffffff, v5
	s_mov_b32 s20, 0x47800000
	v_cmp_gt_u32_e32 vcc, s20, v3
	v_mov_b32_e32 v6, 0x80
	s_and_saveexec_b64 s[20:21], vcc
	s_cbranch_execz .LBB30_957
; %bb.952:
	s_mov_b32 s22, 0x37ffffff
	v_and_b32_e32 v2, 0xffff, v4
	v_cmp_lt_u32_e32 vcc, s22, v3
	s_mov_b64 s[22:23], 0
                                        ; implicit-def: $vgpr3
	s_and_saveexec_b64 s[24:25], vcc
	s_xor_b64 s[24:25], exec, s[24:25]
	s_cbranch_execz .LBB30_1167
; %bb.953:
	v_bfe_u32 v3, v2, 5, 1
	s_mov_b32 s28, 0x88fffff
	v_add3_u32 v3, v5, v3, s28
	s_mov_b64 s[22:23], exec
	v_lshrrev_b32_e32 v3, 21, v3
                                        ; implicit-def: $vgpr5
	s_andn2_saveexec_b64 s[24:25], s[24:25]
	s_cbranch_execnz .LBB30_1168
.LBB30_954:
	s_or_b64 exec, exec, s[24:25]
	v_mov_b32_e32 v6, 0
	s_and_saveexec_b64 s[24:25], s[22:23]
.LBB30_955:
	v_lshrrev_b32_e32 v2, 8, v2
	s_movk_i32 s22, 0x80
	v_and_or_b32 v6, v2, s22, v3
.LBB30_956:
	s_or_b64 exec, exec, s[24:25]
.LBB30_957:
	s_or_b64 exec, exec, s[20:21]
	s_mov_b64 s[20:21], 0
	global_store_byte v[0:1], v6, off
.LBB30_958:
	s_and_b64 vcc, exec, s[20:21]
	s_cbranch_vccz .LBB30_968
; %bb.959:
	v_lshlrev_b32_e32 v5, 16, v4
	v_and_b32_e32 v6, 0x7fffffff, v5
	s_mov_b32 s20, 0x43f00000
	v_and_b32_e32 v2, 0xffff, v4
	v_cmp_gt_u32_e32 vcc, s20, v6
                                        ; implicit-def: $vgpr3
	s_and_saveexec_b64 s[20:21], vcc
	s_xor_b64 s[20:21], exec, s[20:21]
	s_cbranch_execz .LBB30_965
; %bb.960:
	s_mov_b32 s22, 0x3c7fffff
	v_cmp_lt_u32_e32 vcc, s22, v6
                                        ; implicit-def: $vgpr3
	s_and_saveexec_b64 s[22:23], vcc
	s_xor_b64 s[22:23], exec, s[22:23]
; %bb.961:
	v_bfe_u32 v3, v2, 4, 1
	s_mov_b32 s24, 0x407ffff
	v_add3_u32 v3, v5, v3, s24
	v_lshrrev_b32_e32 v5, 20, v3
	v_and_b32_e32 v3, 0xff00000, v3
	s_mov_b32 s24, 0x7f00000
	v_mov_b32_e32 v6, 0x7e
	v_cmp_ne_u32_e32 vcc, s24, v3
	v_cndmask_b32_e32 v3, v6, v5, vcc
                                        ; implicit-def: $vgpr5
; %bb.962:
	s_andn2_saveexec_b64 s[22:23], s[22:23]
; %bb.963:
	s_mov_b32 s24, 0x46800000
	v_add_f32_e64 v3, |v5|, s24
; %bb.964:
	s_or_b64 exec, exec, s[22:23]
                                        ; implicit-def: $vgpr6
.LBB30_965:
	s_andn2_saveexec_b64 s[20:21], s[20:21]
; %bb.966:
	s_mov_b32 s22, 0x7f800000
	v_mov_b32_e32 v3, 0x7e
	v_mov_b32_e32 v5, 0x7f
	v_cmp_lt_u32_e32 vcc, s22, v6
	v_cndmask_b32_e32 v3, v3, v5, vcc
; %bb.967:
	s_or_b64 exec, exec, s[20:21]
	v_lshrrev_b32_e32 v2, 8, v2
	s_movk_i32 s20, 0x80
	v_and_or_b32 v2, v2, s20, v3
	global_store_byte v[0:1], v2, off
.LBB30_968:
	s_mov_b64 s[20:21], 0
.LBB30_969:
	s_andn2_b64 vcc, exec, s[20:21]
	s_cbranch_vccnz .LBB30_979
; %bb.970:
	v_lshlrev_b32_e32 v5, 16, v4
	v_and_b32_e32 v6, 0x7fffffff, v5
	s_mov_b32 s20, 0x47800000
	v_and_b32_e32 v2, 0xffff, v4
	v_cmp_gt_u32_e32 vcc, s20, v6
                                        ; implicit-def: $vgpr3
	s_and_saveexec_b64 s[20:21], vcc
	s_xor_b64 s[20:21], exec, s[20:21]
	s_cbranch_execz .LBB30_976
; %bb.971:
	s_mov_b32 s22, 0x387fffff
	v_cmp_lt_u32_e32 vcc, s22, v6
                                        ; implicit-def: $vgpr3
	s_and_saveexec_b64 s[22:23], vcc
	s_xor_b64 s[22:23], exec, s[22:23]
; %bb.972:
	v_bfe_u32 v3, v2, 5, 1
	s_mov_b32 s24, 0x80fffff
	v_add3_u32 v3, v5, v3, s24
	v_lshrrev_b32_e32 v3, 21, v3
                                        ; implicit-def: $vgpr5
; %bb.973:
	s_andn2_saveexec_b64 s[22:23], s[22:23]
; %bb.974:
	s_mov_b32 s24, 0x43000000
	v_add_f32_e64 v3, |v5|, s24
; %bb.975:
	s_or_b64 exec, exec, s[22:23]
                                        ; implicit-def: $vgpr6
.LBB30_976:
	s_andn2_saveexec_b64 s[20:21], s[20:21]
; %bb.977:
	s_mov_b32 s22, 0x7f800000
	v_mov_b32_e32 v3, 0x7c
	v_mov_b32_e32 v5, 0x7f
	v_cmp_lt_u32_e32 vcc, s22, v6
	v_cndmask_b32_e32 v3, v3, v5, vcc
; %bb.978:
	s_or_b64 exec, exec, s[20:21]
	v_lshrrev_b32_e32 v2, 8, v2
	s_movk_i32 s20, 0x80
	v_and_or_b32 v2, v2, s20, v3
	global_store_byte v[0:1], v2, off
.LBB30_979:
	s_mov_b64 s[20:21], 0
.LBB30_980:
	s_andn2_b64 vcc, exec, s[20:21]
	s_mov_b64 s[20:21], 0
	s_cbranch_vccnz .LBB30_988
; %bb.981:
	s_cmp_gt_i32 s27, 14
	s_mov_b64 s[22:23], -1
	s_cbranch_scc0 .LBB30_985
; %bb.982:
	s_cmp_eq_u32 s27, 15
	s_mov_b64 s[0:1], -1
	s_cbranch_scc0 .LBB30_984
; %bb.983:
	global_store_short v[0:1], v4, off
	s_mov_b64 s[0:1], 0
.LBB30_984:
	s_mov_b64 s[22:23], 0
.LBB30_985:
	s_and_b64 vcc, exec, s[22:23]
	s_cbranch_vccz .LBB30_988
; %bb.986:
	s_cmp_lg_u32 s27, 11
	s_cselect_b64 s[22:23], -1, 0
	s_andn2_b64 s[0:1], s[0:1], exec
	s_and_b64 s[22:23], s[22:23], exec
	s_mov_b64 s[20:21], -1
	s_or_b64 s[0:1], s[0:1], s[22:23]
	s_branch .LBB30_988
.LBB30_987:
	s_mov_b64 s[20:21], 0
.LBB30_988:
	s_andn2_b64 s[12:13], s[12:13], exec
	s_and_b64 s[0:1], s[0:1], exec
	s_and_b64 s[18:19], s[18:19], exec
	;; [unrolled: 1-line block ×3, first 2 shown]
	s_or_b64 s[12:13], s[12:13], s[0:1]
	s_or_b64 exec, exec, s[14:15]
	s_and_saveexec_b64 s[0:1], s[12:13]
	s_cbranch_execz .LBB30_927
.LBB30_989:
	s_or_b64 s[16:17], s[16:17], exec
	s_andn2_b64 s[20:21], s[20:21], exec
	s_trap 2
	s_or_b64 exec, exec, s[0:1]
	s_and_saveexec_b64 s[0:1], s[20:21]
	s_xor_b64 s[0:1], exec, s[0:1]
	s_cbranch_execnz .LBB30_928
.LBB30_990:
	s_or_b64 exec, exec, s[0:1]
	s_and_saveexec_b64 s[0:1], s[18:19]
	s_xor_b64 s[0:1], exec, s[0:1]
	s_cbranch_execz .LBB30_1028
.LBB30_991:
	s_sext_i32_i16 s14, s26
	s_cmp_lt_i32 s14, 5
	s_mov_b64 s[12:13], -1
	s_cbranch_scc1 .LBB30_1012
; %bb.992:
	s_cmp_lt_i32 s14, 8
	s_cbranch_scc1 .LBB30_1002
; %bb.993:
	s_cmp_lt_i32 s14, 9
	s_cbranch_scc1 .LBB30_999
; %bb.994:
	s_cmp_gt_i32 s14, 9
	s_cbranch_scc0 .LBB30_996
; %bb.995:
	s_waitcnt vmcnt(0)
	v_lshlrev_b32_e32 v2, 16, v4
	v_cvt_f64_f32_e32 v[5:6], v2
	v_mov_b32_e32 v7, 0
	v_mov_b32_e32 v8, v7
	s_mov_b64 s[12:13], 0
	global_store_dwordx4 v[0:1], v[5:8], off
.LBB30_996:
	s_andn2_b64 vcc, exec, s[12:13]
	s_cbranch_vccnz .LBB30_998
; %bb.997:
	s_waitcnt vmcnt(0)
	v_lshlrev_b32_e32 v2, 16, v4
	v_mov_b32_e32 v3, 0
	global_store_dwordx2 v[0:1], v[2:3], off
.LBB30_998:
	s_mov_b64 s[12:13], 0
.LBB30_999:
	s_andn2_b64 vcc, exec, s[12:13]
	s_cbranch_vccnz .LBB30_1001
; %bb.1000:
	s_waitcnt vmcnt(0)
	v_lshlrev_b32_e32 v2, 16, v4
	v_cvt_f16_f32_e32 v2, v2
	global_store_dword v[0:1], v2, off
.LBB30_1001:
	s_mov_b64 s[12:13], 0
.LBB30_1002:
	s_andn2_b64 vcc, exec, s[12:13]
	s_cbranch_vccnz .LBB30_1011
; %bb.1003:
	s_sext_i32_i16 s14, s26
	s_cmp_lt_i32 s14, 6
	s_mov_b64 s[12:13], -1
	s_cbranch_scc1 .LBB30_1009
; %bb.1004:
	s_cmp_gt_i32 s14, 6
	s_cbranch_scc0 .LBB30_1006
; %bb.1005:
	s_waitcnt vmcnt(0)
	v_lshlrev_b32_e32 v2, 16, v4
	v_cvt_f64_f32_e32 v[2:3], v2
	s_mov_b64 s[12:13], 0
	global_store_dwordx2 v[0:1], v[2:3], off
.LBB30_1006:
	s_andn2_b64 vcc, exec, s[12:13]
	s_cbranch_vccnz .LBB30_1008
; %bb.1007:
	s_waitcnt vmcnt(0)
	v_lshlrev_b32_e32 v2, 16, v4
	global_store_dword v[0:1], v2, off
.LBB30_1008:
	s_mov_b64 s[12:13], 0
.LBB30_1009:
	s_andn2_b64 vcc, exec, s[12:13]
	s_cbranch_vccnz .LBB30_1011
; %bb.1010:
	s_waitcnt vmcnt(0)
	v_lshlrev_b32_e32 v2, 16, v4
	v_cvt_f16_f32_e32 v2, v2
	global_store_short v[0:1], v2, off
.LBB30_1011:
	s_mov_b64 s[12:13], 0
.LBB30_1012:
	s_andn2_b64 vcc, exec, s[12:13]
	s_cbranch_vccnz .LBB30_1028
; %bb.1013:
	s_sext_i32_i16 s14, s26
	s_cmp_lt_i32 s14, 2
	s_mov_b64 s[12:13], -1
	s_cbranch_scc1 .LBB30_1023
; %bb.1014:
	s_cmp_lt_i32 s14, 3
	s_cbranch_scc1 .LBB30_1020
; %bb.1015:
	s_cmp_gt_i32 s14, 3
	s_cbranch_scc0 .LBB30_1017
; %bb.1016:
	s_waitcnt vmcnt(0)
	v_lshlrev_b32_e32 v2, 16, v4
	v_trunc_f32_e32 v2, v2
	s_mov_b32 s12, 0x2f800000
	v_mul_f32_e64 v3, |v2|, s12
	v_floor_f32_e32 v3, v3
	s_mov_b32 s12, 0xcf800000
	v_cvt_u32_f32_e32 v5, v3
	v_fma_f32 v3, v3, s12, |v2|
	v_cvt_u32_f32_e32 v3, v3
	v_ashrrev_i32_e32 v6, 31, v2
	v_xor_b32_e32 v5, v5, v6
	s_mov_b64 s[12:13], 0
	v_xor_b32_e32 v2, v3, v6
	v_sub_co_u32_e32 v2, vcc, v2, v6
	v_subb_co_u32_e32 v3, vcc, v5, v6, vcc
	global_store_dwordx2 v[0:1], v[2:3], off
.LBB30_1017:
	s_andn2_b64 vcc, exec, s[12:13]
	s_cbranch_vccnz .LBB30_1019
; %bb.1018:
	s_waitcnt vmcnt(0)
	v_lshlrev_b32_e32 v2, 16, v4
	v_cvt_i32_f32_e32 v2, v2
	global_store_dword v[0:1], v2, off
.LBB30_1019:
	s_mov_b64 s[12:13], 0
.LBB30_1020:
	s_andn2_b64 vcc, exec, s[12:13]
	s_cbranch_vccnz .LBB30_1022
; %bb.1021:
	s_waitcnt vmcnt(0)
	v_lshlrev_b32_e32 v2, 16, v4
	v_cvt_i32_f32_e32 v2, v2
	global_store_short v[0:1], v2, off
.LBB30_1022:
	s_mov_b64 s[12:13], 0
.LBB30_1023:
	s_andn2_b64 vcc, exec, s[12:13]
	s_cbranch_vccnz .LBB30_1028
; %bb.1024:
	s_sext_i32_i16 s14, s26
	s_mov_b64 s[12:13], -1
	s_cmp_gt_i32 s14, 0
	s_waitcnt vmcnt(0)
	v_lshlrev_b32_e32 v2, 16, v4
	s_cbranch_scc0 .LBB30_1026
; %bb.1025:
	v_cvt_i32_f32_e32 v3, v2
	s_mov_b64 s[12:13], 0
	global_store_byte v[0:1], v3, off
.LBB30_1026:
	s_andn2_b64 vcc, exec, s[12:13]
	s_cbranch_vccnz .LBB30_1028
; %bb.1027:
	v_trunc_f32_e32 v2, v2
	s_mov_b32 s12, 0x2f800000
	v_mul_f32_e64 v3, |v2|, s12
	v_floor_f32_e32 v3, v3
	s_mov_b32 s12, 0xcf800000
	v_fma_f32 v3, v3, s12, |v2|
	v_cvt_u32_f32_e32 v3, v3
	v_ashrrev_i32_e32 v2, 31, v2
	v_xor_b32_e32 v3, v3, v2
	v_sub_u32_e32 v2, v3, v2
	global_store_byte v[0:1], v2, off
.LBB30_1028:
	s_or_b64 exec, exec, s[0:1]
	s_and_b64 s[12:13], s[16:17], exec
                                        ; implicit-def: $vgpr2
.LBB30_1029:
	s_or_saveexec_b64 s[6:7], s[6:7]
	s_mov_b64 s[0:1], 0
                                        ; implicit-def: $sgpr20
                                        ; implicit-def: $vgpr0_vgpr1
                                        ; implicit-def: $vgpr3
	s_xor_b64 exec, exec, s[6:7]
	s_cbranch_execz .LBB30_1976
; %bb.1030:
	s_waitcnt vmcnt(0)
	v_mul_lo_u32 v4, s3, v2
	v_mov_b32_e32 v1, s11
	s_and_b32 s22, 0xffff, s43
	s_cmp_lt_i32 s22, 11
	v_ashrrev_i32_e32 v3, 31, v4
	v_add_co_u32_e32 v0, vcc, s10, v4
	v_addc_co_u32_e32 v1, vcc, v1, v3, vcc
	s_cbranch_scc1 .LBB30_1037
; %bb.1031:
	s_cmp_gt_i32 s22, 25
	s_cbranch_scc0 .LBB30_1039
; %bb.1032:
	s_cmp_gt_i32 s22, 28
	s_cbranch_scc0 .LBB30_1040
	;; [unrolled: 3-line block ×4, first 2 shown]
; %bb.1035:
	s_cmp_eq_u32 s22, 46
	s_mov_b64 s[14:15], 0
	s_cbranch_scc0 .LBB30_1045
; %bb.1036:
	global_load_dword v3, v[0:1], off
	s_mov_b64 s[16:17], -1
	s_branch .LBB30_1046
.LBB30_1037:
	s_mov_b64 s[16:17], 0
                                        ; implicit-def: $vgpr3
	s_mov_b64 s[14:15], s[12:13]
	s_cbranch_execnz .LBB30_1108
.LBB30_1038:
	s_andn2_b64 vcc, exec, s[16:17]
	s_cbranch_vccz .LBB30_1153
	s_branch .LBB30_1974
.LBB30_1039:
	s_mov_b64 s[16:17], 0
                                        ; implicit-def: $vgpr3
	s_cbranch_execnz .LBB30_1073
	s_branch .LBB30_1104
.LBB30_1040:
	s_mov_b64 s[16:17], 0
                                        ; implicit-def: $vgpr3
	s_cbranch_execz .LBB30_1072
	s_branch .LBB30_1055
.LBB30_1041:
	s_mov_b64 s[16:17], 0
                                        ; implicit-def: $vgpr3
	s_cbranch_execnz .LBB30_1051
	s_branch .LBB30_1054
.LBB30_1042:
	s_mov_b64 s[14:15], -1
	s_mov_b64 s[16:17], 0
                                        ; implicit-def: $vgpr3
	s_branch .LBB30_1046
.LBB30_1043:
	s_andn2_saveexec_b64 s[22:23], s[22:23]
	s_cbranch_execz .LBB30_942
.LBB30_1044:
	s_mov_b32 s24, 0x46000000
	v_add_f32_e64 v3, |v5|, s24
	v_and_b32_e32 v3, 0xff, v3
	v_cmp_ne_u32_e32 vcc, 0, v3
	s_andn2_b64 s[20:21], s[20:21], exec
	s_and_b64 s[24:25], vcc, exec
	s_or_b64 s[20:21], s[20:21], s[24:25]
	s_or_b64 exec, exec, s[22:23]
	v_mov_b32_e32 v6, 0
	s_and_saveexec_b64 s[22:23], s[20:21]
	s_cbranch_execnz .LBB30_943
	s_branch .LBB30_944
.LBB30_1045:
	s_mov_b64 s[0:1], -1
                                        ; implicit-def: $vgpr3
	s_mov_b64 s[16:17], 0
.LBB30_1046:
	s_and_b64 vcc, exec, s[14:15]
	s_cbranch_vccz .LBB30_1049
; %bb.1047:
	s_cmp_eq_u32 s22, 44
	s_cbranch_scc0 .LBB30_1050
; %bb.1048:
	global_load_ubyte v3, v[0:1], off
	s_movk_i32 s14, 0xff
	v_mov_b32_e32 v5, 0x7f800001
	v_mov_b32_e32 v6, 0x400000
	;; [unrolled: 1-line block ×3, first 2 shown]
	s_mov_b64 s[0:1], 0
	s_mov_b64 s[16:17], -1
	s_waitcnt vmcnt(0)
	v_lshlrev_b32_e32 v8, 23, v3
	v_cmp_ne_u32_e32 vcc, s14, v3
	v_cndmask_b32_e32 v5, v5, v8, vcc
	v_cmp_ne_u32_e32 vcc, 0, v3
	v_cndmask_b32_e32 v3, v6, v5, vcc
	v_add_u32_e32 v5, 0x7fff, v3
	v_cmp_o_f32_e32 vcc, v3, v3
	v_cndmask_b32_sdwa v3, v7, v5, vcc dst_sel:DWORD dst_unused:UNUSED_PAD src0_sel:DWORD src1_sel:WORD_1
.LBB30_1049:
	s_branch .LBB30_1054
.LBB30_1050:
	s_mov_b64 s[0:1], -1
                                        ; implicit-def: $vgpr3
	s_branch .LBB30_1054
.LBB30_1051:
	s_cmp_eq_u32 s22, 29
	s_cbranch_scc0 .LBB30_1053
; %bb.1052:
	global_load_dwordx2 v[5:6], v[0:1], off
	s_movk_i32 s14, 0x7fff
	s_mov_b64 s[0:1], 0
	s_mov_b64 s[16:17], -1
	s_waitcnt vmcnt(0)
	v_ffbh_u32_e32 v3, v6
	v_min_u32_e32 v3, 32, v3
	v_lshlrev_b64 v[5:6], v3, v[5:6]
	v_sub_u32_e32 v3, 32, v3
	v_min_u32_e32 v5, 1, v5
	v_or_b32_e32 v5, v6, v5
	v_cvt_f32_u32_e32 v5, v5
	v_ldexp_f32 v3, v5, v3
	v_bfe_u32 v5, v3, 16, 1
	v_add3_u32 v3, v3, v5, s14
	v_lshrrev_b32_e32 v3, 16, v3
	s_branch .LBB30_1054
.LBB30_1053:
	s_mov_b64 s[0:1], -1
                                        ; implicit-def: $vgpr3
.LBB30_1054:
	s_branch .LBB30_1072
.LBB30_1055:
	s_cmp_lt_i32 s22, 27
	s_cbranch_scc1 .LBB30_1058
; %bb.1056:
	s_cmp_gt_i32 s22, 27
	s_cbranch_scc0 .LBB30_1059
; %bb.1057:
	global_load_dword v3, v[0:1], off
	s_movk_i32 s14, 0x7fff
	s_waitcnt vmcnt(0)
	v_cvt_f32_u32_e32 v3, v3
	v_bfe_u32 v5, v3, 16, 1
	v_add3_u32 v3, v3, v5, s14
	v_lshrrev_b32_e32 v3, 16, v3
	s_mov_b64 s[14:15], 0
	s_branch .LBB30_1060
.LBB30_1058:
	s_mov_b64 s[14:15], -1
                                        ; implicit-def: $vgpr3
	s_branch .LBB30_1063
.LBB30_1059:
	s_mov_b64 s[14:15], -1
                                        ; implicit-def: $vgpr3
.LBB30_1060:
	s_andn2_b64 vcc, exec, s[14:15]
	s_cbranch_vccnz .LBB30_1062
; %bb.1061:
	global_load_ushort v3, v[0:1], off
	s_movk_i32 s14, 0x7fff
	s_waitcnt vmcnt(0)
	v_cvt_f32_u32_e32 v3, v3
	v_bfe_u32 v5, v3, 16, 1
	v_add3_u32 v3, v3, v5, s14
	v_lshrrev_b32_e32 v3, 16, v3
.LBB30_1062:
	s_mov_b64 s[14:15], 0
.LBB30_1063:
	s_andn2_b64 vcc, exec, s[14:15]
	s_cbranch_vccnz .LBB30_1071
; %bb.1064:
	global_load_ubyte v3, v[0:1], off
	s_movk_i32 s14, 0x7f
	s_waitcnt vmcnt(0)
	v_cmp_lt_i16_e32 vcc, s14, v3
	s_mov_b64 s[14:15], 0
	s_and_saveexec_b64 s[16:17], vcc
	s_xor_b64 s[16:17], exec, s[16:17]
	s_cbranch_execz .LBB30_1084
; %bb.1065:
	s_movk_i32 s14, 0x80
	v_cmp_eq_u16_e32 vcc, s14, v3
	s_mov_b64 s[14:15], -1
	s_and_saveexec_b64 s[18:19], vcc
; %bb.1066:
	s_xor_b64 s[14:15], exec, -1
; %bb.1067:
	s_or_b64 exec, exec, s[18:19]
	s_and_b64 s[14:15], s[14:15], exec
	s_or_saveexec_b64 s[16:17], s[16:17]
	v_mov_b32_e32 v5, 0x7f800001
	s_xor_b64 exec, exec, s[16:17]
	s_cbranch_execnz .LBB30_1085
.LBB30_1068:
	s_or_b64 exec, exec, s[16:17]
	s_and_saveexec_b64 s[16:17], s[14:15]
	s_cbranch_execz .LBB30_1070
.LBB30_1069:
	v_lshlrev_b32_e32 v5, 24, v3
	v_and_b32_e32 v3, 0xffff, v3
	v_and_b32_e32 v6, 7, v3
	v_ffbh_u32_e32 v8, v6
	v_min_u32_e32 v8, 32, v8
	v_subrev_u32_e32 v9, 28, v8
	v_bfe_u32 v7, v3, 3, 4
	v_lshlrev_b32_e32 v3, v9, v3
	v_sub_u32_e32 v8, 29, v8
	v_and_b32_e32 v3, 7, v3
	v_cmp_eq_u32_e32 vcc, 0, v7
	v_cndmask_b32_e32 v7, v7, v8, vcc
	v_cndmask_b32_e32 v3, v6, v3, vcc
	v_mov_b32_e32 v6, 0x3b800000
	v_lshlrev_b32_e32 v3, 20, v3
	v_and_b32_e32 v5, 0x80000000, v5
	v_lshl_add_u32 v6, v7, 23, v6
	v_or3_b32 v5, v5, v6, v3
.LBB30_1070:
	s_or_b64 exec, exec, s[16:17]
	v_bfe_u32 v3, v5, 16, 1
	s_movk_i32 s14, 0x7fff
	v_add3_u32 v3, v5, v3, s14
	v_cmp_o_f32_e32 vcc, v5, v5
	v_mov_b32_e32 v5, 0x7fc0
	v_cndmask_b32_sdwa v3, v5, v3, vcc dst_sel:DWORD dst_unused:UNUSED_PAD src0_sel:DWORD src1_sel:WORD_1
.LBB30_1071:
	s_mov_b64 s[16:17], -1
.LBB30_1072:
	s_branch .LBB30_1104
.LBB30_1073:
	s_cmp_gt_i32 s22, 22
	s_cbranch_scc0 .LBB30_1083
; %bb.1074:
	s_cmp_lt_i32 s22, 24
	s_cbranch_scc1 .LBB30_1086
; %bb.1075:
	s_cmp_gt_i32 s22, 24
	s_cbranch_scc0 .LBB30_1087
; %bb.1076:
	global_load_ubyte v3, v[0:1], off
	s_movk_i32 s4, 0x7f
	s_waitcnt vmcnt(0)
	v_cmp_lt_i16_e32 vcc, s4, v3
	s_mov_b64 s[4:5], 0
	s_and_saveexec_b64 s[14:15], vcc
	s_xor_b64 s[14:15], exec, s[14:15]
	s_cbranch_execz .LBB30_1098
; %bb.1077:
	s_movk_i32 s4, 0x80
	v_cmp_eq_u16_e32 vcc, s4, v3
	s_mov_b64 s[4:5], -1
	s_and_saveexec_b64 s[16:17], vcc
; %bb.1078:
	s_xor_b64 s[4:5], exec, -1
; %bb.1079:
	s_or_b64 exec, exec, s[16:17]
	s_and_b64 s[4:5], s[4:5], exec
	s_or_saveexec_b64 s[14:15], s[14:15]
	v_mov_b32_e32 v5, 0x7f800001
	s_xor_b64 exec, exec, s[14:15]
	s_cbranch_execnz .LBB30_1099
.LBB30_1080:
	s_or_b64 exec, exec, s[14:15]
	s_and_saveexec_b64 s[14:15], s[4:5]
	s_cbranch_execz .LBB30_1082
.LBB30_1081:
	v_lshlrev_b32_e32 v5, 24, v3
	v_and_b32_e32 v3, 0xffff, v3
	v_and_b32_e32 v6, 3, v3
	v_ffbh_u32_e32 v8, v6
	v_min_u32_e32 v8, 32, v8
	v_subrev_u32_e32 v9, 29, v8
	v_bfe_u32 v7, v3, 2, 5
	v_lshlrev_b32_e32 v3, v9, v3
	v_sub_u32_e32 v8, 30, v8
	v_and_b32_e32 v3, 3, v3
	v_cmp_eq_u32_e32 vcc, 0, v7
	v_cndmask_b32_e32 v7, v7, v8, vcc
	v_cndmask_b32_e32 v3, v6, v3, vcc
	v_mov_b32_e32 v6, 0x37800000
	v_lshlrev_b32_e32 v3, 21, v3
	v_and_b32_e32 v5, 0x80000000, v5
	v_lshl_add_u32 v6, v7, 23, v6
	v_or3_b32 v5, v5, v6, v3
.LBB30_1082:
	s_or_b64 exec, exec, s[14:15]
	v_bfe_u32 v3, v5, 16, 1
	s_movk_i32 s4, 0x7fff
	v_add3_u32 v3, v5, v3, s4
	v_cmp_o_f32_e32 vcc, v5, v5
	v_mov_b32_e32 v5, 0x7fc0
	v_cndmask_b32_sdwa v3, v5, v3, vcc dst_sel:DWORD dst_unused:UNUSED_PAD src0_sel:DWORD src1_sel:WORD_1
	s_mov_b64 s[4:5], 0
	s_branch .LBB30_1088
.LBB30_1083:
                                        ; implicit-def: $vgpr3
	s_mov_b64 s[4:5], 0
	s_branch .LBB30_1094
.LBB30_1084:
	s_or_saveexec_b64 s[16:17], s[16:17]
	v_mov_b32_e32 v5, 0x7f800001
	s_xor_b64 exec, exec, s[16:17]
	s_cbranch_execz .LBB30_1068
.LBB30_1085:
	v_cmp_ne_u16_e32 vcc, 0, v3
	s_andn2_b64 s[14:15], s[14:15], exec
	s_and_b64 s[18:19], vcc, exec
	v_mov_b32_e32 v5, 0
	s_or_b64 s[14:15], s[14:15], s[18:19]
	s_or_b64 exec, exec, s[16:17]
	s_and_saveexec_b64 s[16:17], s[14:15]
	s_cbranch_execnz .LBB30_1069
	s_branch .LBB30_1070
.LBB30_1086:
	s_mov_b64 s[4:5], -1
                                        ; implicit-def: $vgpr3
	s_branch .LBB30_1091
.LBB30_1087:
	s_mov_b64 s[4:5], -1
                                        ; implicit-def: $vgpr3
.LBB30_1088:
	s_and_b64 vcc, exec, s[4:5]
	s_cbranch_vccz .LBB30_1090
; %bb.1089:
	global_load_ubyte v3, v[0:1], off
	s_mov_b32 s4, 0x7f800000
	s_brev_b32 s5, 1
	s_movk_i32 s14, 0x7fff
	s_waitcnt vmcnt(0)
	v_lshlrev_b32_e32 v3, 24, v3
	v_and_b32_e32 v5, 0x7f000000, v3
	v_ffbh_u32_e32 v6, v5
	v_min_u32_e32 v6, 32, v6
	v_sub_u32_e64 v6, v6, 4 clamp
	v_lshlrev_b32_e32 v8, v6, v5
	v_lshlrev_b32_e32 v6, 23, v6
	v_lshrrev_b32_e32 v8, 4, v8
	v_add_u32_e32 v7, 0x1000000, v5
	v_sub_u32_e32 v6, v8, v6
	v_ashrrev_i32_e32 v7, 8, v7
	v_add_u32_e32 v6, 0x3c000000, v6
	v_and_or_b32 v6, v7, s4, v6
	v_cmp_ne_u32_e32 vcc, 0, v5
	v_cndmask_b32_e32 v5, 0, v6, vcc
	v_and_or_b32 v3, v3, s5, v5
	v_bfe_u32 v5, v5, 16, 1
	v_add3_u32 v5, v3, v5, s14
	v_cmp_o_f32_e32 vcc, v3, v3
	v_mov_b32_e32 v3, 0x7fc0
	v_cndmask_b32_sdwa v3, v3, v5, vcc dst_sel:DWORD dst_unused:UNUSED_PAD src0_sel:DWORD src1_sel:WORD_1
.LBB30_1090:
	s_mov_b64 s[4:5], 0
.LBB30_1091:
	s_andn2_b64 vcc, exec, s[4:5]
	s_cbranch_vccnz .LBB30_1093
; %bb.1092:
	global_load_ubyte v3, v[0:1], off
	s_movk_i32 s4, 0x7f00
	s_brev_b32 s5, 16
	s_brev_b32 s14, 1
	s_movk_i32 s15, 0x7fff
	s_waitcnt vmcnt(0)
	v_lshlrev_b16_e32 v5, 8, v3
	v_lshlrev_b32_e32 v3, 25, v3
	v_lshrrev_b32_e32 v6, 4, v3
	v_and_or_b32 v7, v5, s4, 0.5
	v_or_b32_e32 v6, 0x70000000, v6
	v_add_f32_e32 v7, -0.5, v7
	v_mul_f32_e32 v6, 0x7800000, v6
	v_cmp_gt_u32_e32 vcc, s5, v3
	v_bfe_i32 v5, v5, 0, 16
	v_cndmask_b32_e32 v3, v6, v7, vcc
	v_and_or_b32 v5, v5, s14, v3
	v_bfe_u32 v3, v3, 16, 1
	v_add3_u32 v3, v5, v3, s15
	v_cmp_o_f32_e32 vcc, v5, v5
	v_mov_b32_e32 v5, 0x7fc0
	v_cndmask_b32_sdwa v3, v5, v3, vcc dst_sel:DWORD dst_unused:UNUSED_PAD src0_sel:DWORD src1_sel:WORD_1
.LBB30_1093:
	s_mov_b64 s[16:17], -1
	s_mov_b64 s[4:5], 0
	s_cbranch_execnz .LBB30_1104
.LBB30_1094:
	s_cmp_gt_i32 s22, 14
	s_cbranch_scc0 .LBB30_1097
; %bb.1095:
	s_cmp_eq_u32 s22, 15
	s_cbranch_scc0 .LBB30_1100
; %bb.1096:
	global_load_ushort v3, v[0:1], off
	s_mov_b64 s[0:1], 0
	s_mov_b64 s[16:17], -1
	s_branch .LBB30_1101
.LBB30_1097:
	s_mov_b64 s[14:15], -1
                                        ; implicit-def: $vgpr3
	s_branch .LBB30_1102
.LBB30_1098:
	s_or_saveexec_b64 s[14:15], s[14:15]
	v_mov_b32_e32 v5, 0x7f800001
	s_xor_b64 exec, exec, s[14:15]
	s_cbranch_execz .LBB30_1080
.LBB30_1099:
	v_cmp_ne_u16_e32 vcc, 0, v3
	s_andn2_b64 s[4:5], s[4:5], exec
	s_and_b64 s[16:17], vcc, exec
	v_mov_b32_e32 v5, 0
	s_or_b64 s[4:5], s[4:5], s[16:17]
	s_or_b64 exec, exec, s[14:15]
	s_and_saveexec_b64 s[14:15], s[4:5]
	s_cbranch_execnz .LBB30_1081
	s_branch .LBB30_1082
.LBB30_1100:
	s_mov_b64 s[0:1], -1
                                        ; implicit-def: $vgpr3
.LBB30_1101:
	s_mov_b64 s[14:15], 0
.LBB30_1102:
	s_and_b64 vcc, exec, s[14:15]
	s_cbranch_vccz .LBB30_1104
; %bb.1103:
	s_cmp_lg_u32 s22, 11
	s_mov_b64 s[4:5], -1
	s_cselect_b64 s[0:1], -1, 0
.LBB30_1104:
	s_and_b64 vcc, exec, s[0:1]
	s_mov_b64 s[14:15], s[12:13]
	s_cbranch_vccnz .LBB30_1165
; %bb.1105:
	s_andn2_b64 vcc, exec, s[4:5]
	s_cbranch_vccnz .LBB30_1107
.LBB30_1106:
	global_load_ubyte v3, v[0:1], off
	s_mov_b64 s[16:17], -1
	s_waitcnt vmcnt(0)
	v_cmp_ne_u16_e32 vcc, 0, v3
	v_cndmask_b32_e64 v3, 0, 1.0, vcc
	v_lshrrev_b32_e32 v3, 16, v3
.LBB30_1107:
	s_branch .LBB30_1038
.LBB30_1108:
	s_cmp_lt_i32 s22, 5
	s_cbranch_scc1 .LBB30_1113
; %bb.1109:
	s_cmp_lt_i32 s22, 8
	s_cbranch_scc1 .LBB30_1114
; %bb.1110:
	;; [unrolled: 3-line block ×3, first 2 shown]
	s_cmp_gt_i32 s22, 9
	s_cbranch_scc0 .LBB30_1116
; %bb.1112:
	global_load_dwordx2 v[5:6], v[0:1], off
	s_movk_i32 s0, 0x7fff
	s_waitcnt vmcnt(0)
	v_cvt_f32_f64_e32 v3, v[5:6]
	v_mov_b32_e32 v5, 0x7fc0
	v_bfe_u32 v6, v3, 16, 1
	v_cmp_o_f32_e32 vcc, v3, v3
	v_add3_u32 v3, v3, v6, s0
	v_cndmask_b32_sdwa v3, v5, v3, vcc dst_sel:DWORD dst_unused:UNUSED_PAD src0_sel:DWORD src1_sel:WORD_1
	s_mov_b64 s[0:1], 0
	s_branch .LBB30_1117
.LBB30_1113:
                                        ; implicit-def: $vgpr3
	s_branch .LBB30_1134
.LBB30_1114:
                                        ; implicit-def: $vgpr3
	s_branch .LBB30_1123
.LBB30_1115:
	s_mov_b64 s[0:1], -1
                                        ; implicit-def: $vgpr3
	s_branch .LBB30_1120
.LBB30_1116:
	s_mov_b64 s[0:1], -1
                                        ; implicit-def: $vgpr3
.LBB30_1117:
	s_andn2_b64 vcc, exec, s[0:1]
	s_cbranch_vccnz .LBB30_1119
; %bb.1118:
	global_load_dword v3, v[0:1], off
	s_movk_i32 s0, 0x7fff
	v_mov_b32_e32 v5, 0x7fc0
	s_waitcnt vmcnt(0)
	v_bfe_u32 v6, v3, 16, 1
	v_cmp_o_f32_e32 vcc, v3, v3
	v_add3_u32 v3, v3, v6, s0
	v_cndmask_b32_sdwa v3, v5, v3, vcc dst_sel:DWORD dst_unused:UNUSED_PAD src0_sel:DWORD src1_sel:WORD_1
.LBB30_1119:
	s_mov_b64 s[0:1], 0
.LBB30_1120:
	s_andn2_b64 vcc, exec, s[0:1]
	s_cbranch_vccnz .LBB30_1122
; %bb.1121:
	global_load_dword v3, v[0:1], off
	s_movk_i32 s0, 0x7fff
	v_mov_b32_e32 v6, 0x7fc0
	s_waitcnt vmcnt(0)
	v_cvt_f32_f16_e32 v5, v3
	v_cmp_o_f16_e32 vcc, v3, v3
	v_bfe_u32 v3, v5, 16, 1
	v_add3_u32 v3, v5, v3, s0
	v_cndmask_b32_sdwa v3, v6, v3, vcc dst_sel:DWORD dst_unused:UNUSED_PAD src0_sel:DWORD src1_sel:WORD_1
.LBB30_1122:
	s_cbranch_execnz .LBB30_1133
.LBB30_1123:
	s_cmp_lt_i32 s22, 6
	s_cbranch_scc1 .LBB30_1126
; %bb.1124:
	s_cmp_gt_i32 s22, 6
	s_cbranch_scc0 .LBB30_1127
; %bb.1125:
	global_load_dwordx2 v[5:6], v[0:1], off
	s_movk_i32 s0, 0x7fff
	s_waitcnt vmcnt(0)
	v_cvt_f32_f64_e32 v3, v[5:6]
	v_mov_b32_e32 v5, 0x7fc0
	v_bfe_u32 v6, v3, 16, 1
	v_cmp_o_f32_e32 vcc, v3, v3
	v_add3_u32 v3, v3, v6, s0
	v_cndmask_b32_sdwa v3, v5, v3, vcc dst_sel:DWORD dst_unused:UNUSED_PAD src0_sel:DWORD src1_sel:WORD_1
	s_mov_b64 s[0:1], 0
	s_branch .LBB30_1128
.LBB30_1126:
	s_mov_b64 s[0:1], -1
                                        ; implicit-def: $vgpr3
	s_branch .LBB30_1131
.LBB30_1127:
	s_mov_b64 s[0:1], -1
                                        ; implicit-def: $vgpr3
.LBB30_1128:
	s_andn2_b64 vcc, exec, s[0:1]
	s_cbranch_vccnz .LBB30_1130
; %bb.1129:
	global_load_dword v3, v[0:1], off
	s_movk_i32 s0, 0x7fff
	v_mov_b32_e32 v5, 0x7fc0
	s_waitcnt vmcnt(0)
	v_bfe_u32 v6, v3, 16, 1
	v_cmp_o_f32_e32 vcc, v3, v3
	v_add3_u32 v3, v3, v6, s0
	v_cndmask_b32_sdwa v3, v5, v3, vcc dst_sel:DWORD dst_unused:UNUSED_PAD src0_sel:DWORD src1_sel:WORD_1
.LBB30_1130:
	s_mov_b64 s[0:1], 0
.LBB30_1131:
	s_andn2_b64 vcc, exec, s[0:1]
	s_cbranch_vccnz .LBB30_1133
; %bb.1132:
	global_load_ushort v3, v[0:1], off
	s_movk_i32 s0, 0x7fff
	v_mov_b32_e32 v6, 0x7fc0
	s_waitcnt vmcnt(0)
	v_cvt_f32_f16_e32 v5, v3
	v_cmp_o_f16_e32 vcc, v3, v3
	v_bfe_u32 v3, v5, 16, 1
	v_add3_u32 v3, v5, v3, s0
	v_cndmask_b32_sdwa v3, v6, v3, vcc dst_sel:DWORD dst_unused:UNUSED_PAD src0_sel:DWORD src1_sel:WORD_1
.LBB30_1133:
	s_cbranch_execnz .LBB30_1152
.LBB30_1134:
	s_cmp_lt_i32 s22, 2
	s_cbranch_scc1 .LBB30_1138
; %bb.1135:
	s_cmp_lt_i32 s22, 3
	s_cbranch_scc1 .LBB30_1139
; %bb.1136:
	s_cmp_gt_i32 s22, 3
	s_cbranch_scc0 .LBB30_1140
; %bb.1137:
	global_load_dwordx2 v[5:6], v[0:1], off
	s_movk_i32 s0, 0x7fff
	s_waitcnt vmcnt(0)
	v_xor_b32_e32 v7, v5, v6
	v_ffbh_i32_e32 v3, v6
	v_ashrrev_i32_e32 v7, 31, v7
	v_add_u32_e32 v3, -1, v3
	v_add_u32_e32 v7, 32, v7
	v_min_u32_e32 v3, v3, v7
	v_lshlrev_b64 v[5:6], v3, v[5:6]
	v_sub_u32_e32 v3, 32, v3
	v_min_u32_e32 v5, 1, v5
	v_or_b32_e32 v5, v6, v5
	v_cvt_f32_i32_e32 v5, v5
	v_ldexp_f32 v3, v5, v3
	v_bfe_u32 v5, v3, 16, 1
	v_add3_u32 v3, v3, v5, s0
	v_lshrrev_b32_e32 v3, 16, v3
	s_mov_b64 s[0:1], 0
	s_branch .LBB30_1141
.LBB30_1138:
                                        ; implicit-def: $vgpr3
	s_branch .LBB30_1147
.LBB30_1139:
	s_mov_b64 s[0:1], -1
                                        ; implicit-def: $vgpr3
	s_branch .LBB30_1144
.LBB30_1140:
	s_mov_b64 s[0:1], -1
                                        ; implicit-def: $vgpr3
.LBB30_1141:
	s_andn2_b64 vcc, exec, s[0:1]
	s_cbranch_vccnz .LBB30_1143
; %bb.1142:
	global_load_dword v3, v[0:1], off
	s_movk_i32 s0, 0x7fff
	s_waitcnt vmcnt(0)
	v_cvt_f32_i32_e32 v3, v3
	v_bfe_u32 v5, v3, 16, 1
	v_add3_u32 v3, v3, v5, s0
	v_lshrrev_b32_e32 v3, 16, v3
.LBB30_1143:
	s_mov_b64 s[0:1], 0
.LBB30_1144:
	s_andn2_b64 vcc, exec, s[0:1]
	s_cbranch_vccnz .LBB30_1146
; %bb.1145:
	global_load_sshort v3, v[0:1], off
	s_movk_i32 s0, 0x7fff
	s_waitcnt vmcnt(0)
	v_cvt_f32_i32_e32 v3, v3
	v_bfe_u32 v5, v3, 16, 1
	v_add3_u32 v3, v3, v5, s0
	v_lshrrev_b32_e32 v3, 16, v3
.LBB30_1146:
	s_cbranch_execnz .LBB30_1152
.LBB30_1147:
	s_cmp_gt_i32 s22, 0
	s_cbranch_scc0 .LBB30_1149
; %bb.1148:
	global_load_sbyte v3, v[0:1], off
	s_movk_i32 s0, 0x7fff
	s_waitcnt vmcnt(0)
	v_cvt_f32_i32_e32 v3, v3
	v_bfe_u32 v5, v3, 16, 1
	v_add3_u32 v3, v3, v5, s0
	v_lshrrev_b32_e32 v3, 16, v3
	s_mov_b64 s[0:1], 0
	s_branch .LBB30_1150
.LBB30_1149:
	s_mov_b64 s[0:1], -1
                                        ; implicit-def: $vgpr3
.LBB30_1150:
	s_andn2_b64 vcc, exec, s[0:1]
	s_cbranch_vccnz .LBB30_1152
; %bb.1151:
	global_load_ubyte v0, v[0:1], off
	s_movk_i32 s0, 0x7fff
	s_waitcnt vmcnt(0)
	v_cvt_f32_ubyte0_e32 v0, v0
	v_bfe_u32 v1, v0, 16, 1
	v_add3_u32 v0, v0, v1, s0
	v_lshrrev_b32_e32 v3, 16, v0
.LBB30_1152:
.LBB30_1153:
	s_lshl_b32 s3, s3, 7
	v_add_u32_e32 v5, s3, v4
	v_ashrrev_i32_e32 v1, 31, v5
	v_mov_b32_e32 v4, s11
	v_add_co_u32_e32 v0, vcc, s10, v5
	s_cmp_lt_i32 s22, 11
	v_addc_co_u32_e32 v1, vcc, v4, v1, vcc
	s_cbranch_scc1 .LBB30_1160
; %bb.1154:
	s_cmp_gt_i32 s22, 25
	s_mov_b64 s[4:5], 0
	s_cbranch_scc0 .LBB30_1162
; %bb.1155:
	s_cmp_gt_i32 s22, 28
	s_cbranch_scc0 .LBB30_1163
; %bb.1156:
	s_cmp_gt_i32 s22, 43
	;; [unrolled: 3-line block ×3, first 2 shown]
	s_cbranch_scc0 .LBB30_1166
; %bb.1158:
	s_cmp_eq_u32 s22, 46
	s_mov_b64 s[18:19], 0
	s_cbranch_scc0 .LBB30_1169
; %bb.1159:
	global_load_dword v4, v[0:1], off
	s_mov_b64 s[0:1], 0
	s_mov_b64 s[16:17], -1
	s_branch .LBB30_1170
.LBB30_1160:
	s_mov_b64 s[16:17], 0
                                        ; implicit-def: $vgpr4
	s_cbranch_execnz .LBB30_1235
.LBB30_1161:
	s_andn2_b64 vcc, exec, s[16:17]
	s_cbranch_vccnz .LBB30_1974
	s_branch .LBB30_1282
.LBB30_1162:
	s_mov_b64 s[16:17], 0
	s_mov_b64 s[0:1], 0
                                        ; implicit-def: $vgpr4
	s_cbranch_execnz .LBB30_1199
	s_branch .LBB30_1231
.LBB30_1163:
	s_mov_b64 s[18:19], -1
	s_mov_b64 s[16:17], 0
	s_mov_b64 s[0:1], 0
                                        ; implicit-def: $vgpr4
	s_branch .LBB30_1180
.LBB30_1164:
	s_mov_b64 s[18:19], -1
	s_mov_b64 s[16:17], 0
	s_mov_b64 s[0:1], 0
                                        ; implicit-def: $vgpr4
	s_branch .LBB30_1175
.LBB30_1165:
	s_or_b64 s[14:15], s[12:13], exec
	s_trap 2
	s_cbranch_execz .LBB30_1106
	s_branch .LBB30_1107
.LBB30_1166:
	s_mov_b64 s[18:19], -1
	s_mov_b64 s[16:17], 0
	s_mov_b64 s[0:1], 0
                                        ; implicit-def: $vgpr4
	s_branch .LBB30_1170
.LBB30_1167:
	s_andn2_saveexec_b64 s[24:25], s[24:25]
	s_cbranch_execz .LBB30_954
.LBB30_1168:
	s_mov_b32 s28, 0x42800000
	v_add_f32_e64 v3, |v5|, s28
	v_and_b32_e32 v3, 0xff, v3
	v_cmp_ne_u32_e32 vcc, 0, v3
	s_andn2_b64 s[22:23], s[22:23], exec
	s_and_b64 s[28:29], vcc, exec
	s_or_b64 s[22:23], s[22:23], s[28:29]
	s_or_b64 exec, exec, s[24:25]
	v_mov_b32_e32 v6, 0
	s_and_saveexec_b64 s[24:25], s[22:23]
	s_cbranch_execnz .LBB30_955
	s_branch .LBB30_956
.LBB30_1169:
	s_mov_b64 s[0:1], -1
                                        ; implicit-def: $vgpr4
	s_mov_b64 s[16:17], 0
.LBB30_1170:
	s_and_b64 vcc, exec, s[18:19]
	s_cbranch_vccz .LBB30_1174
; %bb.1171:
	s_cmp_eq_u32 s22, 44
	s_cbranch_scc0 .LBB30_1173
; %bb.1172:
	global_load_ubyte v4, v[0:1], off
	s_movk_i32 s16, 0xff
	v_mov_b32_e32 v6, 0x7f800001
	v_mov_b32_e32 v7, 0x400000
	;; [unrolled: 1-line block ×3, first 2 shown]
	s_mov_b64 s[0:1], 0
	s_waitcnt vmcnt(0)
	v_lshlrev_b32_e32 v9, 23, v4
	v_cmp_ne_u32_e32 vcc, s16, v4
	v_cndmask_b32_e32 v6, v6, v9, vcc
	v_cmp_ne_u32_e32 vcc, 0, v4
	v_cndmask_b32_e32 v4, v7, v6, vcc
	v_add_u32_e32 v6, 0x7fff, v4
	v_cmp_o_f32_e32 vcc, v4, v4
	v_cndmask_b32_sdwa v4, v8, v6, vcc dst_sel:DWORD dst_unused:UNUSED_PAD src0_sel:DWORD src1_sel:WORD_1
	s_mov_b64 s[16:17], -1
	s_branch .LBB30_1174
.LBB30_1173:
	s_mov_b64 s[0:1], -1
                                        ; implicit-def: $vgpr4
.LBB30_1174:
	s_mov_b64 s[18:19], 0
.LBB30_1175:
	s_and_b64 vcc, exec, s[18:19]
	s_cbranch_vccz .LBB30_1179
; %bb.1176:
	s_cmp_eq_u32 s22, 29
	s_cbranch_scc0 .LBB30_1178
; %bb.1177:
	global_load_dwordx2 v[6:7], v[0:1], off
	s_movk_i32 s16, 0x7fff
	s_mov_b64 s[0:1], 0
	s_mov_b64 s[18:19], 0
	s_waitcnt vmcnt(0)
	v_ffbh_u32_e32 v4, v7
	v_min_u32_e32 v4, 32, v4
	v_lshlrev_b64 v[6:7], v4, v[6:7]
	v_sub_u32_e32 v4, 32, v4
	v_min_u32_e32 v6, 1, v6
	v_or_b32_e32 v6, v7, v6
	v_cvt_f32_u32_e32 v6, v6
	v_ldexp_f32 v4, v6, v4
	v_bfe_u32 v6, v4, 16, 1
	v_add3_u32 v4, v4, v6, s16
	v_lshrrev_b32_e32 v4, 16, v4
	s_mov_b64 s[16:17], -1
	s_branch .LBB30_1180
.LBB30_1178:
	s_mov_b64 s[0:1], -1
                                        ; implicit-def: $vgpr4
.LBB30_1179:
	s_mov_b64 s[18:19], 0
.LBB30_1180:
	s_and_b64 vcc, exec, s[18:19]
	s_cbranch_vccz .LBB30_1198
; %bb.1181:
	s_cmp_lt_i32 s22, 27
	s_cbranch_scc1 .LBB30_1184
; %bb.1182:
	s_cmp_gt_i32 s22, 27
	s_cbranch_scc0 .LBB30_1185
; %bb.1183:
	global_load_dword v4, v[0:1], off
	s_movk_i32 s16, 0x7fff
	s_waitcnt vmcnt(0)
	v_cvt_f32_u32_e32 v4, v4
	v_bfe_u32 v6, v4, 16, 1
	v_add3_u32 v4, v4, v6, s16
	v_lshrrev_b32_e32 v4, 16, v4
	s_mov_b64 s[16:17], 0
	s_branch .LBB30_1186
.LBB30_1184:
	s_mov_b64 s[16:17], -1
                                        ; implicit-def: $vgpr4
	s_branch .LBB30_1189
.LBB30_1185:
	s_mov_b64 s[16:17], -1
                                        ; implicit-def: $vgpr4
.LBB30_1186:
	s_andn2_b64 vcc, exec, s[16:17]
	s_cbranch_vccnz .LBB30_1188
; %bb.1187:
	global_load_ushort v4, v[0:1], off
	s_movk_i32 s16, 0x7fff
	s_waitcnt vmcnt(0)
	v_cvt_f32_u32_e32 v4, v4
	v_bfe_u32 v6, v4, 16, 1
	v_add3_u32 v4, v4, v6, s16
	v_lshrrev_b32_e32 v4, 16, v4
.LBB30_1188:
	s_mov_b64 s[16:17], 0
.LBB30_1189:
	s_andn2_b64 vcc, exec, s[16:17]
	s_cbranch_vccnz .LBB30_1197
; %bb.1190:
	global_load_ubyte v4, v[0:1], off
	s_movk_i32 s16, 0x7f
	s_waitcnt vmcnt(0)
	v_cmp_lt_i16_e32 vcc, s16, v4
	s_mov_b64 s[16:17], 0
	s_and_saveexec_b64 s[18:19], vcc
	s_xor_b64 s[18:19], exec, s[18:19]
	s_cbranch_execz .LBB30_1210
; %bb.1191:
	s_movk_i32 s16, 0x80
	v_cmp_eq_u16_e32 vcc, s16, v4
	s_mov_b64 s[16:17], -1
	s_and_saveexec_b64 s[20:21], vcc
; %bb.1192:
	s_xor_b64 s[16:17], exec, -1
; %bb.1193:
	s_or_b64 exec, exec, s[20:21]
	s_and_b64 s[16:17], s[16:17], exec
	s_or_saveexec_b64 s[18:19], s[18:19]
	v_mov_b32_e32 v6, 0x7f800001
	s_xor_b64 exec, exec, s[18:19]
	s_cbranch_execnz .LBB30_1211
.LBB30_1194:
	s_or_b64 exec, exec, s[18:19]
	s_and_saveexec_b64 s[18:19], s[16:17]
	s_cbranch_execz .LBB30_1196
.LBB30_1195:
	v_lshlrev_b32_e32 v6, 24, v4
	v_and_b32_e32 v4, 0xffff, v4
	v_and_b32_e32 v7, 7, v4
	v_ffbh_u32_e32 v9, v7
	v_min_u32_e32 v9, 32, v9
	v_subrev_u32_e32 v10, 28, v9
	v_bfe_u32 v8, v4, 3, 4
	v_lshlrev_b32_e32 v4, v10, v4
	v_sub_u32_e32 v9, 29, v9
	v_and_b32_e32 v4, 7, v4
	v_cmp_eq_u32_e32 vcc, 0, v8
	v_cndmask_b32_e32 v8, v8, v9, vcc
	v_cndmask_b32_e32 v4, v7, v4, vcc
	v_mov_b32_e32 v7, 0x3b800000
	v_lshlrev_b32_e32 v4, 20, v4
	v_and_b32_e32 v6, 0x80000000, v6
	v_lshl_add_u32 v7, v8, 23, v7
	v_or3_b32 v6, v6, v7, v4
.LBB30_1196:
	s_or_b64 exec, exec, s[18:19]
	v_bfe_u32 v4, v6, 16, 1
	s_movk_i32 s16, 0x7fff
	v_add3_u32 v4, v6, v4, s16
	v_cmp_o_f32_e32 vcc, v6, v6
	v_mov_b32_e32 v6, 0x7fc0
	v_cndmask_b32_sdwa v4, v6, v4, vcc dst_sel:DWORD dst_unused:UNUSED_PAD src0_sel:DWORD src1_sel:WORD_1
.LBB30_1197:
	s_mov_b64 s[16:17], -1
.LBB30_1198:
	s_branch .LBB30_1231
.LBB30_1199:
	s_cmp_gt_i32 s22, 22
	s_cbranch_scc0 .LBB30_1209
; %bb.1200:
	s_cmp_lt_i32 s22, 24
	s_cbranch_scc1 .LBB30_1212
; %bb.1201:
	s_cmp_gt_i32 s22, 24
	s_cbranch_scc0 .LBB30_1213
; %bb.1202:
	global_load_ubyte v4, v[0:1], off
	s_movk_i32 s4, 0x7f
	s_waitcnt vmcnt(0)
	v_cmp_lt_i16_e32 vcc, s4, v4
	s_mov_b64 s[4:5], 0
	s_and_saveexec_b64 s[16:17], vcc
	s_xor_b64 s[16:17], exec, s[16:17]
	s_cbranch_execz .LBB30_1225
; %bb.1203:
	s_movk_i32 s4, 0x80
	v_cmp_eq_u16_e32 vcc, s4, v4
	s_mov_b64 s[4:5], -1
	s_and_saveexec_b64 s[18:19], vcc
; %bb.1204:
	s_xor_b64 s[4:5], exec, -1
; %bb.1205:
	s_or_b64 exec, exec, s[18:19]
	s_and_b64 s[4:5], s[4:5], exec
	s_or_saveexec_b64 s[16:17], s[16:17]
	v_mov_b32_e32 v6, 0x7f800001
	s_xor_b64 exec, exec, s[16:17]
	s_cbranch_execnz .LBB30_1226
.LBB30_1206:
	s_or_b64 exec, exec, s[16:17]
	s_and_saveexec_b64 s[16:17], s[4:5]
	s_cbranch_execz .LBB30_1208
.LBB30_1207:
	v_lshlrev_b32_e32 v6, 24, v4
	v_and_b32_e32 v4, 0xffff, v4
	v_and_b32_e32 v7, 3, v4
	v_ffbh_u32_e32 v9, v7
	v_min_u32_e32 v9, 32, v9
	v_subrev_u32_e32 v10, 29, v9
	v_bfe_u32 v8, v4, 2, 5
	v_lshlrev_b32_e32 v4, v10, v4
	v_sub_u32_e32 v9, 30, v9
	v_and_b32_e32 v4, 3, v4
	v_cmp_eq_u32_e32 vcc, 0, v8
	v_cndmask_b32_e32 v8, v8, v9, vcc
	v_cndmask_b32_e32 v4, v7, v4, vcc
	v_mov_b32_e32 v7, 0x37800000
	v_lshlrev_b32_e32 v4, 21, v4
	v_and_b32_e32 v6, 0x80000000, v6
	v_lshl_add_u32 v7, v8, 23, v7
	v_or3_b32 v6, v6, v7, v4
.LBB30_1208:
	s_or_b64 exec, exec, s[16:17]
	v_bfe_u32 v4, v6, 16, 1
	s_movk_i32 s4, 0x7fff
	v_add3_u32 v4, v6, v4, s4
	v_cmp_o_f32_e32 vcc, v6, v6
	v_mov_b32_e32 v6, 0x7fc0
	v_cndmask_b32_sdwa v4, v6, v4, vcc dst_sel:DWORD dst_unused:UNUSED_PAD src0_sel:DWORD src1_sel:WORD_1
	s_mov_b64 s[4:5], 0
	s_branch .LBB30_1214
.LBB30_1209:
	s_mov_b64 s[4:5], -1
                                        ; implicit-def: $vgpr4
	s_branch .LBB30_1220
.LBB30_1210:
	s_or_saveexec_b64 s[18:19], s[18:19]
	v_mov_b32_e32 v6, 0x7f800001
	s_xor_b64 exec, exec, s[18:19]
	s_cbranch_execz .LBB30_1194
.LBB30_1211:
	v_cmp_ne_u16_e32 vcc, 0, v4
	s_andn2_b64 s[16:17], s[16:17], exec
	s_and_b64 s[20:21], vcc, exec
	v_mov_b32_e32 v6, 0
	s_or_b64 s[16:17], s[16:17], s[20:21]
	s_or_b64 exec, exec, s[18:19]
	s_and_saveexec_b64 s[18:19], s[16:17]
	s_cbranch_execnz .LBB30_1195
	s_branch .LBB30_1196
.LBB30_1212:
	s_mov_b64 s[4:5], -1
                                        ; implicit-def: $vgpr4
	s_branch .LBB30_1217
.LBB30_1213:
	s_mov_b64 s[4:5], -1
                                        ; implicit-def: $vgpr4
.LBB30_1214:
	s_and_b64 vcc, exec, s[4:5]
	s_cbranch_vccz .LBB30_1216
; %bb.1215:
	global_load_ubyte v4, v[0:1], off
	s_mov_b32 s4, 0x7f800000
	s_brev_b32 s5, 1
	s_movk_i32 s16, 0x7fff
	s_waitcnt vmcnt(0)
	v_lshlrev_b32_e32 v4, 24, v4
	v_and_b32_e32 v6, 0x7f000000, v4
	v_ffbh_u32_e32 v7, v6
	v_min_u32_e32 v7, 32, v7
	v_sub_u32_e64 v7, v7, 4 clamp
	v_lshlrev_b32_e32 v9, v7, v6
	v_lshlrev_b32_e32 v7, 23, v7
	v_lshrrev_b32_e32 v9, 4, v9
	v_add_u32_e32 v8, 0x1000000, v6
	v_sub_u32_e32 v7, v9, v7
	v_ashrrev_i32_e32 v8, 8, v8
	v_add_u32_e32 v7, 0x3c000000, v7
	v_and_or_b32 v7, v8, s4, v7
	v_cmp_ne_u32_e32 vcc, 0, v6
	v_cndmask_b32_e32 v6, 0, v7, vcc
	v_and_or_b32 v4, v4, s5, v6
	v_bfe_u32 v6, v6, 16, 1
	v_add3_u32 v6, v4, v6, s16
	v_cmp_o_f32_e32 vcc, v4, v4
	v_mov_b32_e32 v4, 0x7fc0
	v_cndmask_b32_sdwa v4, v4, v6, vcc dst_sel:DWORD dst_unused:UNUSED_PAD src0_sel:DWORD src1_sel:WORD_1
.LBB30_1216:
	s_mov_b64 s[4:5], 0
.LBB30_1217:
	s_andn2_b64 vcc, exec, s[4:5]
	s_cbranch_vccnz .LBB30_1219
; %bb.1218:
	global_load_ubyte v4, v[0:1], off
	s_movk_i32 s4, 0x7f00
	s_brev_b32 s5, 16
	s_brev_b32 s16, 1
	s_movk_i32 s17, 0x7fff
	s_waitcnt vmcnt(0)
	v_lshlrev_b16_e32 v6, 8, v4
	v_lshlrev_b32_e32 v4, 25, v4
	v_lshrrev_b32_e32 v7, 4, v4
	v_and_or_b32 v8, v6, s4, 0.5
	v_or_b32_e32 v7, 0x70000000, v7
	v_add_f32_e32 v8, -0.5, v8
	v_mul_f32_e32 v7, 0x7800000, v7
	v_cmp_gt_u32_e32 vcc, s5, v4
	v_bfe_i32 v6, v6, 0, 16
	v_cndmask_b32_e32 v4, v7, v8, vcc
	v_and_or_b32 v6, v6, s16, v4
	v_bfe_u32 v4, v4, 16, 1
	v_add3_u32 v4, v6, v4, s17
	v_cmp_o_f32_e32 vcc, v6, v6
	v_mov_b32_e32 v6, 0x7fc0
	v_cndmask_b32_sdwa v4, v6, v4, vcc dst_sel:DWORD dst_unused:UNUSED_PAD src0_sel:DWORD src1_sel:WORD_1
.LBB30_1219:
	s_mov_b64 s[4:5], 0
	s_mov_b64 s[16:17], -1
.LBB30_1220:
	s_andn2_b64 vcc, exec, s[4:5]
	s_mov_b64 s[4:5], 0
	s_cbranch_vccnz .LBB30_1231
; %bb.1221:
	s_cmp_gt_i32 s22, 14
	s_cbranch_scc0 .LBB30_1224
; %bb.1222:
	s_cmp_eq_u32 s22, 15
	s_cbranch_scc0 .LBB30_1227
; %bb.1223:
	global_load_ushort v4, v[0:1], off
	s_mov_b64 s[0:1], 0
	s_mov_b64 s[16:17], -1
	s_branch .LBB30_1228
.LBB30_1224:
	s_mov_b64 s[18:19], -1
                                        ; implicit-def: $vgpr4
	s_branch .LBB30_1229
.LBB30_1225:
	s_or_saveexec_b64 s[16:17], s[16:17]
	v_mov_b32_e32 v6, 0x7f800001
	s_xor_b64 exec, exec, s[16:17]
	s_cbranch_execz .LBB30_1206
.LBB30_1226:
	v_cmp_ne_u16_e32 vcc, 0, v4
	s_andn2_b64 s[4:5], s[4:5], exec
	s_and_b64 s[18:19], vcc, exec
	v_mov_b32_e32 v6, 0
	s_or_b64 s[4:5], s[4:5], s[18:19]
	s_or_b64 exec, exec, s[16:17]
	s_and_saveexec_b64 s[16:17], s[4:5]
	s_cbranch_execnz .LBB30_1207
	s_branch .LBB30_1208
.LBB30_1227:
	s_mov_b64 s[0:1], -1
                                        ; implicit-def: $vgpr4
.LBB30_1228:
	s_mov_b64 s[18:19], 0
.LBB30_1229:
	s_and_b64 vcc, exec, s[18:19]
	s_cbranch_vccz .LBB30_1231
; %bb.1230:
	s_cmp_lg_u32 s22, 11
	s_mov_b64 s[4:5], -1
	s_cselect_b64 s[0:1], -1, 0
.LBB30_1231:
	s_and_b64 vcc, exec, s[0:1]
	s_cbranch_vccnz .LBB30_1294
; %bb.1232:
	s_andn2_b64 vcc, exec, s[4:5]
	s_cbranch_vccnz .LBB30_1234
.LBB30_1233:
	global_load_ubyte v4, v[0:1], off
	s_mov_b64 s[16:17], -1
	s_waitcnt vmcnt(0)
	v_cmp_ne_u16_e32 vcc, 0, v4
	v_cndmask_b32_e64 v4, 0, 1.0, vcc
	v_lshrrev_b32_e32 v4, 16, v4
.LBB30_1234:
	s_branch .LBB30_1161
.LBB30_1235:
	s_cmp_lt_i32 s22, 5
	s_cbranch_scc1 .LBB30_1240
; %bb.1236:
	s_cmp_lt_i32 s22, 8
	s_cbranch_scc1 .LBB30_1241
; %bb.1237:
	;; [unrolled: 3-line block ×3, first 2 shown]
	s_cmp_gt_i32 s22, 9
	s_cbranch_scc0 .LBB30_1243
; %bb.1239:
	global_load_dwordx2 v[6:7], v[0:1], off
	s_movk_i32 s0, 0x7fff
	s_waitcnt vmcnt(0)
	v_cvt_f32_f64_e32 v4, v[6:7]
	v_mov_b32_e32 v6, 0x7fc0
	v_bfe_u32 v7, v4, 16, 1
	v_cmp_o_f32_e32 vcc, v4, v4
	v_add3_u32 v4, v4, v7, s0
	v_cndmask_b32_sdwa v4, v6, v4, vcc dst_sel:DWORD dst_unused:UNUSED_PAD src0_sel:DWORD src1_sel:WORD_1
	s_mov_b64 s[0:1], 0
	s_branch .LBB30_1244
.LBB30_1240:
                                        ; implicit-def: $vgpr4
	s_branch .LBB30_1262
.LBB30_1241:
	s_mov_b64 s[0:1], -1
                                        ; implicit-def: $vgpr4
	s_branch .LBB30_1250
.LBB30_1242:
	s_mov_b64 s[0:1], -1
                                        ; implicit-def: $vgpr4
	s_branch .LBB30_1247
.LBB30_1243:
	s_mov_b64 s[0:1], -1
                                        ; implicit-def: $vgpr4
.LBB30_1244:
	s_andn2_b64 vcc, exec, s[0:1]
	s_cbranch_vccnz .LBB30_1246
; %bb.1245:
	global_load_dword v4, v[0:1], off
	s_movk_i32 s0, 0x7fff
	v_mov_b32_e32 v6, 0x7fc0
	s_waitcnt vmcnt(0)
	v_bfe_u32 v7, v4, 16, 1
	v_cmp_o_f32_e32 vcc, v4, v4
	v_add3_u32 v4, v4, v7, s0
	v_cndmask_b32_sdwa v4, v6, v4, vcc dst_sel:DWORD dst_unused:UNUSED_PAD src0_sel:DWORD src1_sel:WORD_1
.LBB30_1246:
	s_mov_b64 s[0:1], 0
.LBB30_1247:
	s_andn2_b64 vcc, exec, s[0:1]
	s_cbranch_vccnz .LBB30_1249
; %bb.1248:
	global_load_dword v4, v[0:1], off
	s_movk_i32 s0, 0x7fff
	v_mov_b32_e32 v7, 0x7fc0
	s_waitcnt vmcnt(0)
	v_cvt_f32_f16_e32 v6, v4
	v_cmp_o_f16_e32 vcc, v4, v4
	v_bfe_u32 v4, v6, 16, 1
	v_add3_u32 v4, v6, v4, s0
	v_cndmask_b32_sdwa v4, v7, v4, vcc dst_sel:DWORD dst_unused:UNUSED_PAD src0_sel:DWORD src1_sel:WORD_1
.LBB30_1249:
	s_mov_b64 s[0:1], 0
.LBB30_1250:
	s_andn2_b64 vcc, exec, s[0:1]
	s_cbranch_vccnz .LBB30_1261
; %bb.1251:
	s_cmp_lt_i32 s22, 6
	s_cbranch_scc1 .LBB30_1254
; %bb.1252:
	s_cmp_gt_i32 s22, 6
	s_cbranch_scc0 .LBB30_1255
; %bb.1253:
	global_load_dwordx2 v[6:7], v[0:1], off
	s_movk_i32 s0, 0x7fff
	s_waitcnt vmcnt(0)
	v_cvt_f32_f64_e32 v4, v[6:7]
	v_mov_b32_e32 v6, 0x7fc0
	v_bfe_u32 v7, v4, 16, 1
	v_cmp_o_f32_e32 vcc, v4, v4
	v_add3_u32 v4, v4, v7, s0
	v_cndmask_b32_sdwa v4, v6, v4, vcc dst_sel:DWORD dst_unused:UNUSED_PAD src0_sel:DWORD src1_sel:WORD_1
	s_mov_b64 s[0:1], 0
	s_branch .LBB30_1256
.LBB30_1254:
	s_mov_b64 s[0:1], -1
                                        ; implicit-def: $vgpr4
	s_branch .LBB30_1259
.LBB30_1255:
	s_mov_b64 s[0:1], -1
                                        ; implicit-def: $vgpr4
.LBB30_1256:
	s_andn2_b64 vcc, exec, s[0:1]
	s_cbranch_vccnz .LBB30_1258
; %bb.1257:
	global_load_dword v4, v[0:1], off
	s_movk_i32 s0, 0x7fff
	v_mov_b32_e32 v6, 0x7fc0
	s_waitcnt vmcnt(0)
	v_bfe_u32 v7, v4, 16, 1
	v_cmp_o_f32_e32 vcc, v4, v4
	v_add3_u32 v4, v4, v7, s0
	v_cndmask_b32_sdwa v4, v6, v4, vcc dst_sel:DWORD dst_unused:UNUSED_PAD src0_sel:DWORD src1_sel:WORD_1
.LBB30_1258:
	s_mov_b64 s[0:1], 0
.LBB30_1259:
	s_andn2_b64 vcc, exec, s[0:1]
	s_cbranch_vccnz .LBB30_1261
; %bb.1260:
	global_load_ushort v4, v[0:1], off
	s_movk_i32 s0, 0x7fff
	v_mov_b32_e32 v7, 0x7fc0
	s_waitcnt vmcnt(0)
	v_cvt_f32_f16_e32 v6, v4
	v_cmp_o_f16_e32 vcc, v4, v4
	v_bfe_u32 v4, v6, 16, 1
	v_add3_u32 v4, v6, v4, s0
	v_cndmask_b32_sdwa v4, v7, v4, vcc dst_sel:DWORD dst_unused:UNUSED_PAD src0_sel:DWORD src1_sel:WORD_1
.LBB30_1261:
	s_cbranch_execnz .LBB30_1281
.LBB30_1262:
	s_cmp_lt_i32 s22, 2
	s_cbranch_scc1 .LBB30_1266
; %bb.1263:
	s_cmp_lt_i32 s22, 3
	s_cbranch_scc1 .LBB30_1267
; %bb.1264:
	s_cmp_gt_i32 s22, 3
	s_cbranch_scc0 .LBB30_1268
; %bb.1265:
	global_load_dwordx2 v[6:7], v[0:1], off
	s_movk_i32 s0, 0x7fff
	s_waitcnt vmcnt(0)
	v_xor_b32_e32 v8, v6, v7
	v_ffbh_i32_e32 v4, v7
	v_ashrrev_i32_e32 v8, 31, v8
	v_add_u32_e32 v4, -1, v4
	v_add_u32_e32 v8, 32, v8
	v_min_u32_e32 v4, v4, v8
	v_lshlrev_b64 v[6:7], v4, v[6:7]
	v_sub_u32_e32 v4, 32, v4
	v_min_u32_e32 v6, 1, v6
	v_or_b32_e32 v6, v7, v6
	v_cvt_f32_i32_e32 v6, v6
	v_ldexp_f32 v4, v6, v4
	v_bfe_u32 v6, v4, 16, 1
	v_add3_u32 v4, v4, v6, s0
	v_lshrrev_b32_e32 v4, 16, v4
	s_mov_b64 s[0:1], 0
	s_branch .LBB30_1269
.LBB30_1266:
	s_mov_b64 s[0:1], -1
                                        ; implicit-def: $vgpr4
	s_branch .LBB30_1275
.LBB30_1267:
	s_mov_b64 s[0:1], -1
                                        ; implicit-def: $vgpr4
	s_branch .LBB30_1272
.LBB30_1268:
	s_mov_b64 s[0:1], -1
                                        ; implicit-def: $vgpr4
.LBB30_1269:
	s_andn2_b64 vcc, exec, s[0:1]
	s_cbranch_vccnz .LBB30_1271
; %bb.1270:
	global_load_dword v4, v[0:1], off
	s_movk_i32 s0, 0x7fff
	s_waitcnt vmcnt(0)
	v_cvt_f32_i32_e32 v4, v4
	v_bfe_u32 v6, v4, 16, 1
	v_add3_u32 v4, v4, v6, s0
	v_lshrrev_b32_e32 v4, 16, v4
.LBB30_1271:
	s_mov_b64 s[0:1], 0
.LBB30_1272:
	s_andn2_b64 vcc, exec, s[0:1]
	s_cbranch_vccnz .LBB30_1274
; %bb.1273:
	global_load_sshort v4, v[0:1], off
	s_movk_i32 s0, 0x7fff
	s_waitcnt vmcnt(0)
	v_cvt_f32_i32_e32 v4, v4
	v_bfe_u32 v6, v4, 16, 1
	v_add3_u32 v4, v4, v6, s0
	v_lshrrev_b32_e32 v4, 16, v4
.LBB30_1274:
	s_mov_b64 s[0:1], 0
.LBB30_1275:
	s_andn2_b64 vcc, exec, s[0:1]
	s_cbranch_vccnz .LBB30_1281
; %bb.1276:
	s_cmp_gt_i32 s22, 0
	s_cbranch_scc0 .LBB30_1278
; %bb.1277:
	global_load_sbyte v4, v[0:1], off
	s_movk_i32 s0, 0x7fff
	s_waitcnt vmcnt(0)
	v_cvt_f32_i32_e32 v4, v4
	v_bfe_u32 v6, v4, 16, 1
	v_add3_u32 v4, v4, v6, s0
	v_lshrrev_b32_e32 v4, 16, v4
	s_mov_b64 s[0:1], 0
	s_branch .LBB30_1279
.LBB30_1278:
	s_mov_b64 s[0:1], -1
                                        ; implicit-def: $vgpr4
.LBB30_1279:
	s_andn2_b64 vcc, exec, s[0:1]
	s_cbranch_vccnz .LBB30_1281
; %bb.1280:
	global_load_ubyte v0, v[0:1], off
	s_movk_i32 s0, 0x7fff
	s_waitcnt vmcnt(0)
	v_cvt_f32_ubyte0_e32 v0, v0
	v_bfe_u32 v1, v0, 16, 1
	v_add3_u32 v0, v0, v1, s0
	v_lshrrev_b32_e32 v4, 16, v0
.LBB30_1281:
.LBB30_1282:
	v_add_u32_e32 v6, s3, v5
	v_ashrrev_i32_e32 v1, 31, v6
	v_mov_b32_e32 v5, s11
	v_add_co_u32_e32 v0, vcc, s10, v6
	s_cmp_lt_i32 s22, 11
	v_addc_co_u32_e32 v1, vcc, v5, v1, vcc
	s_cbranch_scc1 .LBB30_1289
; %bb.1283:
	s_cmp_gt_i32 s22, 25
	s_mov_b64 s[4:5], 0
	s_cbranch_scc0 .LBB30_1291
; %bb.1284:
	s_cmp_gt_i32 s22, 28
	s_cbranch_scc0 .LBB30_1292
; %bb.1285:
	s_cmp_gt_i32 s22, 43
	;; [unrolled: 3-line block ×3, first 2 shown]
	s_cbranch_scc0 .LBB30_1295
; %bb.1287:
	s_cmp_eq_u32 s22, 46
	s_mov_b64 s[18:19], 0
	s_cbranch_scc0 .LBB30_1296
; %bb.1288:
	global_load_dword v5, v[0:1], off
	s_mov_b64 s[0:1], 0
	s_mov_b64 s[16:17], -1
	s_branch .LBB30_1297
.LBB30_1289:
	s_mov_b64 s[16:17], 0
                                        ; implicit-def: $vgpr5
	s_cbranch_execnz .LBB30_1363
.LBB30_1290:
	s_andn2_b64 vcc, exec, s[16:17]
	s_cbranch_vccnz .LBB30_1974
	s_branch .LBB30_1411
.LBB30_1291:
	s_mov_b64 s[18:19], -1
	s_mov_b64 s[16:17], 0
	s_mov_b64 s[0:1], 0
                                        ; implicit-def: $vgpr5
	s_branch .LBB30_1326
.LBB30_1292:
	s_mov_b64 s[18:19], -1
	s_mov_b64 s[16:17], 0
	s_mov_b64 s[0:1], 0
                                        ; implicit-def: $vgpr5
	s_branch .LBB30_1307
.LBB30_1293:
	s_mov_b64 s[18:19], -1
	s_mov_b64 s[16:17], 0
	s_mov_b64 s[0:1], 0
                                        ; implicit-def: $vgpr5
	s_branch .LBB30_1302
.LBB30_1294:
	s_trap 2
	s_or_b64 s[14:15], s[14:15], exec
	s_cbranch_execz .LBB30_1233
	s_branch .LBB30_1234
.LBB30_1295:
	s_mov_b64 s[18:19], -1
	s_mov_b64 s[16:17], 0
	s_mov_b64 s[0:1], 0
                                        ; implicit-def: $vgpr5
	s_branch .LBB30_1297
.LBB30_1296:
	s_mov_b64 s[0:1], -1
                                        ; implicit-def: $vgpr5
	s_mov_b64 s[16:17], 0
.LBB30_1297:
	s_and_b64 vcc, exec, s[18:19]
	s_cbranch_vccz .LBB30_1301
; %bb.1298:
	s_cmp_eq_u32 s22, 44
	s_cbranch_scc0 .LBB30_1300
; %bb.1299:
	global_load_ubyte v5, v[0:1], off
	s_movk_i32 s16, 0xff
	v_mov_b32_e32 v7, 0x7f800001
	v_mov_b32_e32 v8, 0x400000
	;; [unrolled: 1-line block ×3, first 2 shown]
	s_mov_b64 s[0:1], 0
	s_waitcnt vmcnt(0)
	v_lshlrev_b32_e32 v10, 23, v5
	v_cmp_ne_u32_e32 vcc, s16, v5
	v_cndmask_b32_e32 v7, v7, v10, vcc
	v_cmp_ne_u32_e32 vcc, 0, v5
	v_cndmask_b32_e32 v5, v8, v7, vcc
	v_add_u32_e32 v7, 0x7fff, v5
	v_cmp_o_f32_e32 vcc, v5, v5
	v_cndmask_b32_sdwa v5, v9, v7, vcc dst_sel:DWORD dst_unused:UNUSED_PAD src0_sel:DWORD src1_sel:WORD_1
	s_mov_b64 s[16:17], -1
	s_branch .LBB30_1301
.LBB30_1300:
	s_mov_b64 s[0:1], -1
                                        ; implicit-def: $vgpr5
.LBB30_1301:
	s_mov_b64 s[18:19], 0
.LBB30_1302:
	s_and_b64 vcc, exec, s[18:19]
	s_cbranch_vccz .LBB30_1306
; %bb.1303:
	s_cmp_eq_u32 s22, 29
	s_cbranch_scc0 .LBB30_1305
; %bb.1304:
	global_load_dwordx2 v[7:8], v[0:1], off
	s_movk_i32 s16, 0x7fff
	s_mov_b64 s[0:1], 0
	s_mov_b64 s[18:19], 0
	s_waitcnt vmcnt(0)
	v_ffbh_u32_e32 v5, v8
	v_min_u32_e32 v5, 32, v5
	v_lshlrev_b64 v[7:8], v5, v[7:8]
	v_sub_u32_e32 v5, 32, v5
	v_min_u32_e32 v7, 1, v7
	v_or_b32_e32 v7, v8, v7
	v_cvt_f32_u32_e32 v7, v7
	v_ldexp_f32 v5, v7, v5
	v_bfe_u32 v7, v5, 16, 1
	v_add3_u32 v5, v5, v7, s16
	v_lshrrev_b32_e32 v5, 16, v5
	s_mov_b64 s[16:17], -1
	s_branch .LBB30_1307
.LBB30_1305:
	s_mov_b64 s[0:1], -1
                                        ; implicit-def: $vgpr5
.LBB30_1306:
	s_mov_b64 s[18:19], 0
.LBB30_1307:
	s_and_b64 vcc, exec, s[18:19]
	s_cbranch_vccz .LBB30_1325
; %bb.1308:
	s_cmp_lt_i32 s22, 27
	s_cbranch_scc1 .LBB30_1311
; %bb.1309:
	s_cmp_gt_i32 s22, 27
	s_cbranch_scc0 .LBB30_1312
; %bb.1310:
	global_load_dword v5, v[0:1], off
	s_movk_i32 s16, 0x7fff
	s_waitcnt vmcnt(0)
	v_cvt_f32_u32_e32 v5, v5
	v_bfe_u32 v7, v5, 16, 1
	v_add3_u32 v5, v5, v7, s16
	v_lshrrev_b32_e32 v5, 16, v5
	s_mov_b64 s[16:17], 0
	s_branch .LBB30_1313
.LBB30_1311:
	s_mov_b64 s[16:17], -1
                                        ; implicit-def: $vgpr5
	s_branch .LBB30_1316
.LBB30_1312:
	s_mov_b64 s[16:17], -1
                                        ; implicit-def: $vgpr5
.LBB30_1313:
	s_andn2_b64 vcc, exec, s[16:17]
	s_cbranch_vccnz .LBB30_1315
; %bb.1314:
	global_load_ushort v5, v[0:1], off
	s_movk_i32 s16, 0x7fff
	s_waitcnt vmcnt(0)
	v_cvt_f32_u32_e32 v5, v5
	v_bfe_u32 v7, v5, 16, 1
	v_add3_u32 v5, v5, v7, s16
	v_lshrrev_b32_e32 v5, 16, v5
.LBB30_1315:
	s_mov_b64 s[16:17], 0
.LBB30_1316:
	s_andn2_b64 vcc, exec, s[16:17]
	s_cbranch_vccnz .LBB30_1324
; %bb.1317:
	global_load_ubyte v5, v[0:1], off
	s_movk_i32 s16, 0x7f
	s_waitcnt vmcnt(0)
	v_cmp_lt_i16_e32 vcc, s16, v5
	s_mov_b64 s[16:17], 0
	s_and_saveexec_b64 s[18:19], vcc
	s_xor_b64 s[18:19], exec, s[18:19]
	s_cbranch_execz .LBB30_1338
; %bb.1318:
	s_movk_i32 s16, 0x80
	v_cmp_eq_u16_e32 vcc, s16, v5
	s_mov_b64 s[16:17], -1
	s_and_saveexec_b64 s[20:21], vcc
; %bb.1319:
	s_xor_b64 s[16:17], exec, -1
; %bb.1320:
	s_or_b64 exec, exec, s[20:21]
	s_and_b64 s[16:17], s[16:17], exec
	s_or_saveexec_b64 s[18:19], s[18:19]
	v_mov_b32_e32 v7, 0x7f800001
	s_xor_b64 exec, exec, s[18:19]
	s_cbranch_execnz .LBB30_1339
.LBB30_1321:
	s_or_b64 exec, exec, s[18:19]
	s_and_saveexec_b64 s[18:19], s[16:17]
	s_cbranch_execz .LBB30_1323
.LBB30_1322:
	v_lshlrev_b32_e32 v7, 24, v5
	v_and_b32_e32 v5, 0xffff, v5
	v_and_b32_e32 v8, 7, v5
	v_ffbh_u32_e32 v10, v8
	v_min_u32_e32 v10, 32, v10
	v_subrev_u32_e32 v11, 28, v10
	v_bfe_u32 v9, v5, 3, 4
	v_lshlrev_b32_e32 v5, v11, v5
	v_sub_u32_e32 v10, 29, v10
	v_and_b32_e32 v5, 7, v5
	v_cmp_eq_u32_e32 vcc, 0, v9
	v_cndmask_b32_e32 v9, v9, v10, vcc
	v_cndmask_b32_e32 v5, v8, v5, vcc
	v_mov_b32_e32 v8, 0x3b800000
	v_lshlrev_b32_e32 v5, 20, v5
	v_and_b32_e32 v7, 0x80000000, v7
	v_lshl_add_u32 v8, v9, 23, v8
	v_or3_b32 v7, v7, v8, v5
.LBB30_1323:
	s_or_b64 exec, exec, s[18:19]
	v_bfe_u32 v5, v7, 16, 1
	s_movk_i32 s16, 0x7fff
	v_add3_u32 v5, v7, v5, s16
	v_cmp_o_f32_e32 vcc, v7, v7
	v_mov_b32_e32 v7, 0x7fc0
	v_cndmask_b32_sdwa v5, v7, v5, vcc dst_sel:DWORD dst_unused:UNUSED_PAD src0_sel:DWORD src1_sel:WORD_1
.LBB30_1324:
	s_mov_b64 s[16:17], -1
.LBB30_1325:
	s_mov_b64 s[18:19], 0
.LBB30_1326:
	s_and_b64 vcc, exec, s[18:19]
	s_cbranch_vccz .LBB30_1359
; %bb.1327:
	s_cmp_gt_i32 s22, 22
	s_cbranch_scc0 .LBB30_1337
; %bb.1328:
	s_cmp_lt_i32 s22, 24
	s_cbranch_scc1 .LBB30_1340
; %bb.1329:
	s_cmp_gt_i32 s22, 24
	s_cbranch_scc0 .LBB30_1341
; %bb.1330:
	global_load_ubyte v5, v[0:1], off
	s_movk_i32 s4, 0x7f
	s_waitcnt vmcnt(0)
	v_cmp_lt_i16_e32 vcc, s4, v5
	s_mov_b64 s[4:5], 0
	s_and_saveexec_b64 s[16:17], vcc
	s_xor_b64 s[16:17], exec, s[16:17]
	s_cbranch_execz .LBB30_1353
; %bb.1331:
	s_movk_i32 s4, 0x80
	v_cmp_eq_u16_e32 vcc, s4, v5
	s_mov_b64 s[4:5], -1
	s_and_saveexec_b64 s[18:19], vcc
; %bb.1332:
	s_xor_b64 s[4:5], exec, -1
; %bb.1333:
	s_or_b64 exec, exec, s[18:19]
	s_and_b64 s[4:5], s[4:5], exec
	s_or_saveexec_b64 s[16:17], s[16:17]
	v_mov_b32_e32 v7, 0x7f800001
	s_xor_b64 exec, exec, s[16:17]
	s_cbranch_execnz .LBB30_1354
.LBB30_1334:
	s_or_b64 exec, exec, s[16:17]
	s_and_saveexec_b64 s[16:17], s[4:5]
	s_cbranch_execz .LBB30_1336
.LBB30_1335:
	v_lshlrev_b32_e32 v7, 24, v5
	v_and_b32_e32 v5, 0xffff, v5
	v_and_b32_e32 v8, 3, v5
	v_ffbh_u32_e32 v10, v8
	v_min_u32_e32 v10, 32, v10
	v_subrev_u32_e32 v11, 29, v10
	v_bfe_u32 v9, v5, 2, 5
	v_lshlrev_b32_e32 v5, v11, v5
	v_sub_u32_e32 v10, 30, v10
	v_and_b32_e32 v5, 3, v5
	v_cmp_eq_u32_e32 vcc, 0, v9
	v_cndmask_b32_e32 v9, v9, v10, vcc
	v_cndmask_b32_e32 v5, v8, v5, vcc
	v_mov_b32_e32 v8, 0x37800000
	v_lshlrev_b32_e32 v5, 21, v5
	v_and_b32_e32 v7, 0x80000000, v7
	v_lshl_add_u32 v8, v9, 23, v8
	v_or3_b32 v7, v7, v8, v5
.LBB30_1336:
	s_or_b64 exec, exec, s[16:17]
	v_bfe_u32 v5, v7, 16, 1
	s_movk_i32 s4, 0x7fff
	v_add3_u32 v5, v7, v5, s4
	v_cmp_o_f32_e32 vcc, v7, v7
	v_mov_b32_e32 v7, 0x7fc0
	v_cndmask_b32_sdwa v5, v7, v5, vcc dst_sel:DWORD dst_unused:UNUSED_PAD src0_sel:DWORD src1_sel:WORD_1
	s_mov_b64 s[4:5], 0
	s_branch .LBB30_1342
.LBB30_1337:
	s_mov_b64 s[4:5], -1
                                        ; implicit-def: $vgpr5
	s_branch .LBB30_1348
.LBB30_1338:
	s_or_saveexec_b64 s[18:19], s[18:19]
	v_mov_b32_e32 v7, 0x7f800001
	s_xor_b64 exec, exec, s[18:19]
	s_cbranch_execz .LBB30_1321
.LBB30_1339:
	v_cmp_ne_u16_e32 vcc, 0, v5
	s_andn2_b64 s[16:17], s[16:17], exec
	s_and_b64 s[20:21], vcc, exec
	v_mov_b32_e32 v7, 0
	s_or_b64 s[16:17], s[16:17], s[20:21]
	s_or_b64 exec, exec, s[18:19]
	s_and_saveexec_b64 s[18:19], s[16:17]
	s_cbranch_execnz .LBB30_1322
	s_branch .LBB30_1323
.LBB30_1340:
	s_mov_b64 s[4:5], -1
                                        ; implicit-def: $vgpr5
	s_branch .LBB30_1345
.LBB30_1341:
	s_mov_b64 s[4:5], -1
                                        ; implicit-def: $vgpr5
.LBB30_1342:
	s_and_b64 vcc, exec, s[4:5]
	s_cbranch_vccz .LBB30_1344
; %bb.1343:
	global_load_ubyte v5, v[0:1], off
	s_mov_b32 s4, 0x7f800000
	s_brev_b32 s5, 1
	s_movk_i32 s16, 0x7fff
	s_waitcnt vmcnt(0)
	v_lshlrev_b32_e32 v5, 24, v5
	v_and_b32_e32 v7, 0x7f000000, v5
	v_ffbh_u32_e32 v8, v7
	v_min_u32_e32 v8, 32, v8
	v_sub_u32_e64 v8, v8, 4 clamp
	v_lshlrev_b32_e32 v10, v8, v7
	v_lshlrev_b32_e32 v8, 23, v8
	v_lshrrev_b32_e32 v10, 4, v10
	v_add_u32_e32 v9, 0x1000000, v7
	v_sub_u32_e32 v8, v10, v8
	v_ashrrev_i32_e32 v9, 8, v9
	v_add_u32_e32 v8, 0x3c000000, v8
	v_and_or_b32 v8, v9, s4, v8
	v_cmp_ne_u32_e32 vcc, 0, v7
	v_cndmask_b32_e32 v7, 0, v8, vcc
	v_and_or_b32 v5, v5, s5, v7
	v_bfe_u32 v7, v7, 16, 1
	v_add3_u32 v7, v5, v7, s16
	v_cmp_o_f32_e32 vcc, v5, v5
	v_mov_b32_e32 v5, 0x7fc0
	v_cndmask_b32_sdwa v5, v5, v7, vcc dst_sel:DWORD dst_unused:UNUSED_PAD src0_sel:DWORD src1_sel:WORD_1
.LBB30_1344:
	s_mov_b64 s[4:5], 0
.LBB30_1345:
	s_andn2_b64 vcc, exec, s[4:5]
	s_cbranch_vccnz .LBB30_1347
; %bb.1346:
	global_load_ubyte v5, v[0:1], off
	s_movk_i32 s4, 0x7f00
	s_brev_b32 s5, 16
	s_brev_b32 s16, 1
	s_movk_i32 s17, 0x7fff
	s_waitcnt vmcnt(0)
	v_lshlrev_b16_e32 v7, 8, v5
	v_lshlrev_b32_e32 v5, 25, v5
	v_lshrrev_b32_e32 v8, 4, v5
	v_and_or_b32 v9, v7, s4, 0.5
	v_or_b32_e32 v8, 0x70000000, v8
	v_add_f32_e32 v9, -0.5, v9
	v_mul_f32_e32 v8, 0x7800000, v8
	v_cmp_gt_u32_e32 vcc, s5, v5
	v_bfe_i32 v7, v7, 0, 16
	v_cndmask_b32_e32 v5, v8, v9, vcc
	v_and_or_b32 v7, v7, s16, v5
	v_bfe_u32 v5, v5, 16, 1
	v_add3_u32 v5, v7, v5, s17
	v_cmp_o_f32_e32 vcc, v7, v7
	v_mov_b32_e32 v7, 0x7fc0
	v_cndmask_b32_sdwa v5, v7, v5, vcc dst_sel:DWORD dst_unused:UNUSED_PAD src0_sel:DWORD src1_sel:WORD_1
.LBB30_1347:
	s_mov_b64 s[4:5], 0
	s_mov_b64 s[16:17], -1
.LBB30_1348:
	s_andn2_b64 vcc, exec, s[4:5]
	s_mov_b64 s[4:5], 0
	s_cbranch_vccnz .LBB30_1359
; %bb.1349:
	s_cmp_gt_i32 s22, 14
	s_cbranch_scc0 .LBB30_1352
; %bb.1350:
	s_cmp_eq_u32 s22, 15
	s_cbranch_scc0 .LBB30_1355
; %bb.1351:
	global_load_ushort v5, v[0:1], off
	s_mov_b64 s[0:1], 0
	s_mov_b64 s[16:17], -1
	s_branch .LBB30_1356
.LBB30_1352:
	s_mov_b64 s[18:19], -1
                                        ; implicit-def: $vgpr5
	s_branch .LBB30_1357
.LBB30_1353:
	s_or_saveexec_b64 s[16:17], s[16:17]
	v_mov_b32_e32 v7, 0x7f800001
	s_xor_b64 exec, exec, s[16:17]
	s_cbranch_execz .LBB30_1334
.LBB30_1354:
	v_cmp_ne_u16_e32 vcc, 0, v5
	s_andn2_b64 s[4:5], s[4:5], exec
	s_and_b64 s[18:19], vcc, exec
	v_mov_b32_e32 v7, 0
	s_or_b64 s[4:5], s[4:5], s[18:19]
	s_or_b64 exec, exec, s[16:17]
	s_and_saveexec_b64 s[16:17], s[4:5]
	s_cbranch_execnz .LBB30_1335
	s_branch .LBB30_1336
.LBB30_1355:
	s_mov_b64 s[0:1], -1
                                        ; implicit-def: $vgpr5
.LBB30_1356:
	s_mov_b64 s[18:19], 0
.LBB30_1357:
	s_and_b64 vcc, exec, s[18:19]
	s_cbranch_vccz .LBB30_1359
; %bb.1358:
	s_cmp_lg_u32 s22, 11
	s_mov_b64 s[4:5], -1
	s_cselect_b64 s[0:1], -1, 0
.LBB30_1359:
	s_and_b64 vcc, exec, s[0:1]
	s_cbranch_vccnz .LBB30_1422
; %bb.1360:
	s_andn2_b64 vcc, exec, s[4:5]
	s_cbranch_vccnz .LBB30_1362
.LBB30_1361:
	global_load_ubyte v5, v[0:1], off
	s_mov_b64 s[16:17], -1
	s_waitcnt vmcnt(0)
	v_cmp_ne_u16_e32 vcc, 0, v5
	v_cndmask_b32_e64 v5, 0, 1.0, vcc
	v_lshrrev_b32_e32 v5, 16, v5
.LBB30_1362:
	s_branch .LBB30_1290
.LBB30_1363:
	s_cmp_lt_i32 s22, 5
	s_cbranch_scc1 .LBB30_1368
; %bb.1364:
	s_cmp_lt_i32 s22, 8
	s_cbranch_scc1 .LBB30_1369
; %bb.1365:
	;; [unrolled: 3-line block ×3, first 2 shown]
	s_cmp_gt_i32 s22, 9
	s_cbranch_scc0 .LBB30_1371
; %bb.1367:
	global_load_dwordx2 v[7:8], v[0:1], off
	s_movk_i32 s0, 0x7fff
	s_waitcnt vmcnt(0)
	v_cvt_f32_f64_e32 v5, v[7:8]
	v_mov_b32_e32 v7, 0x7fc0
	v_bfe_u32 v8, v5, 16, 1
	v_cmp_o_f32_e32 vcc, v5, v5
	v_add3_u32 v5, v5, v8, s0
	v_cndmask_b32_sdwa v5, v7, v5, vcc dst_sel:DWORD dst_unused:UNUSED_PAD src0_sel:DWORD src1_sel:WORD_1
	s_mov_b64 s[0:1], 0
	s_branch .LBB30_1372
.LBB30_1368:
	s_mov_b64 s[0:1], -1
                                        ; implicit-def: $vgpr5
	s_branch .LBB30_1390
.LBB30_1369:
	s_mov_b64 s[0:1], -1
                                        ; implicit-def: $vgpr5
	s_branch .LBB30_1378
.LBB30_1370:
	s_mov_b64 s[0:1], -1
                                        ; implicit-def: $vgpr5
	s_branch .LBB30_1375
.LBB30_1371:
	s_mov_b64 s[0:1], -1
                                        ; implicit-def: $vgpr5
.LBB30_1372:
	s_andn2_b64 vcc, exec, s[0:1]
	s_cbranch_vccnz .LBB30_1374
; %bb.1373:
	global_load_dword v5, v[0:1], off
	s_movk_i32 s0, 0x7fff
	v_mov_b32_e32 v7, 0x7fc0
	s_waitcnt vmcnt(0)
	v_bfe_u32 v8, v5, 16, 1
	v_cmp_o_f32_e32 vcc, v5, v5
	v_add3_u32 v5, v5, v8, s0
	v_cndmask_b32_sdwa v5, v7, v5, vcc dst_sel:DWORD dst_unused:UNUSED_PAD src0_sel:DWORD src1_sel:WORD_1
.LBB30_1374:
	s_mov_b64 s[0:1], 0
.LBB30_1375:
	s_andn2_b64 vcc, exec, s[0:1]
	s_cbranch_vccnz .LBB30_1377
; %bb.1376:
	global_load_dword v5, v[0:1], off
	s_movk_i32 s0, 0x7fff
	v_mov_b32_e32 v8, 0x7fc0
	s_waitcnt vmcnt(0)
	v_cvt_f32_f16_e32 v7, v5
	v_cmp_o_f16_e32 vcc, v5, v5
	v_bfe_u32 v5, v7, 16, 1
	v_add3_u32 v5, v7, v5, s0
	v_cndmask_b32_sdwa v5, v8, v5, vcc dst_sel:DWORD dst_unused:UNUSED_PAD src0_sel:DWORD src1_sel:WORD_1
.LBB30_1377:
	s_mov_b64 s[0:1], 0
.LBB30_1378:
	s_andn2_b64 vcc, exec, s[0:1]
	s_cbranch_vccnz .LBB30_1389
; %bb.1379:
	s_cmp_lt_i32 s22, 6
	s_cbranch_scc1 .LBB30_1382
; %bb.1380:
	s_cmp_gt_i32 s22, 6
	s_cbranch_scc0 .LBB30_1383
; %bb.1381:
	global_load_dwordx2 v[7:8], v[0:1], off
	s_movk_i32 s0, 0x7fff
	s_waitcnt vmcnt(0)
	v_cvt_f32_f64_e32 v5, v[7:8]
	v_mov_b32_e32 v7, 0x7fc0
	v_bfe_u32 v8, v5, 16, 1
	v_cmp_o_f32_e32 vcc, v5, v5
	v_add3_u32 v5, v5, v8, s0
	v_cndmask_b32_sdwa v5, v7, v5, vcc dst_sel:DWORD dst_unused:UNUSED_PAD src0_sel:DWORD src1_sel:WORD_1
	s_mov_b64 s[0:1], 0
	s_branch .LBB30_1384
.LBB30_1382:
	s_mov_b64 s[0:1], -1
                                        ; implicit-def: $vgpr5
	s_branch .LBB30_1387
.LBB30_1383:
	s_mov_b64 s[0:1], -1
                                        ; implicit-def: $vgpr5
.LBB30_1384:
	s_andn2_b64 vcc, exec, s[0:1]
	s_cbranch_vccnz .LBB30_1386
; %bb.1385:
	global_load_dword v5, v[0:1], off
	s_movk_i32 s0, 0x7fff
	v_mov_b32_e32 v7, 0x7fc0
	s_waitcnt vmcnt(0)
	v_bfe_u32 v8, v5, 16, 1
	v_cmp_o_f32_e32 vcc, v5, v5
	v_add3_u32 v5, v5, v8, s0
	v_cndmask_b32_sdwa v5, v7, v5, vcc dst_sel:DWORD dst_unused:UNUSED_PAD src0_sel:DWORD src1_sel:WORD_1
.LBB30_1386:
	s_mov_b64 s[0:1], 0
.LBB30_1387:
	s_andn2_b64 vcc, exec, s[0:1]
	s_cbranch_vccnz .LBB30_1389
; %bb.1388:
	global_load_ushort v5, v[0:1], off
	s_movk_i32 s0, 0x7fff
	v_mov_b32_e32 v8, 0x7fc0
	s_waitcnt vmcnt(0)
	v_cvt_f32_f16_e32 v7, v5
	v_cmp_o_f16_e32 vcc, v5, v5
	v_bfe_u32 v5, v7, 16, 1
	v_add3_u32 v5, v7, v5, s0
	v_cndmask_b32_sdwa v5, v8, v5, vcc dst_sel:DWORD dst_unused:UNUSED_PAD src0_sel:DWORD src1_sel:WORD_1
.LBB30_1389:
	s_mov_b64 s[0:1], 0
.LBB30_1390:
	s_andn2_b64 vcc, exec, s[0:1]
	s_cbranch_vccnz .LBB30_1410
; %bb.1391:
	s_cmp_lt_i32 s22, 2
	s_cbranch_scc1 .LBB30_1395
; %bb.1392:
	s_cmp_lt_i32 s22, 3
	s_cbranch_scc1 .LBB30_1396
; %bb.1393:
	s_cmp_gt_i32 s22, 3
	s_cbranch_scc0 .LBB30_1397
; %bb.1394:
	global_load_dwordx2 v[7:8], v[0:1], off
	s_movk_i32 s0, 0x7fff
	s_waitcnt vmcnt(0)
	v_xor_b32_e32 v9, v7, v8
	v_ffbh_i32_e32 v5, v8
	v_ashrrev_i32_e32 v9, 31, v9
	v_add_u32_e32 v5, -1, v5
	v_add_u32_e32 v9, 32, v9
	v_min_u32_e32 v5, v5, v9
	v_lshlrev_b64 v[7:8], v5, v[7:8]
	v_sub_u32_e32 v5, 32, v5
	v_min_u32_e32 v7, 1, v7
	v_or_b32_e32 v7, v8, v7
	v_cvt_f32_i32_e32 v7, v7
	v_ldexp_f32 v5, v7, v5
	v_bfe_u32 v7, v5, 16, 1
	v_add3_u32 v5, v5, v7, s0
	v_lshrrev_b32_e32 v5, 16, v5
	s_mov_b64 s[0:1], 0
	s_branch .LBB30_1398
.LBB30_1395:
	s_mov_b64 s[0:1], -1
                                        ; implicit-def: $vgpr5
	s_branch .LBB30_1404
.LBB30_1396:
	s_mov_b64 s[0:1], -1
                                        ; implicit-def: $vgpr5
	s_branch .LBB30_1401
.LBB30_1397:
	s_mov_b64 s[0:1], -1
                                        ; implicit-def: $vgpr5
.LBB30_1398:
	s_andn2_b64 vcc, exec, s[0:1]
	s_cbranch_vccnz .LBB30_1400
; %bb.1399:
	global_load_dword v5, v[0:1], off
	s_movk_i32 s0, 0x7fff
	s_waitcnt vmcnt(0)
	v_cvt_f32_i32_e32 v5, v5
	v_bfe_u32 v7, v5, 16, 1
	v_add3_u32 v5, v5, v7, s0
	v_lshrrev_b32_e32 v5, 16, v5
.LBB30_1400:
	s_mov_b64 s[0:1], 0
.LBB30_1401:
	s_andn2_b64 vcc, exec, s[0:1]
	s_cbranch_vccnz .LBB30_1403
; %bb.1402:
	global_load_sshort v5, v[0:1], off
	s_movk_i32 s0, 0x7fff
	s_waitcnt vmcnt(0)
	v_cvt_f32_i32_e32 v5, v5
	v_bfe_u32 v7, v5, 16, 1
	v_add3_u32 v5, v5, v7, s0
	v_lshrrev_b32_e32 v5, 16, v5
.LBB30_1403:
	s_mov_b64 s[0:1], 0
.LBB30_1404:
	s_andn2_b64 vcc, exec, s[0:1]
	s_cbranch_vccnz .LBB30_1410
; %bb.1405:
	s_cmp_gt_i32 s22, 0
	s_cbranch_scc0 .LBB30_1407
; %bb.1406:
	global_load_sbyte v5, v[0:1], off
	s_movk_i32 s0, 0x7fff
	s_waitcnt vmcnt(0)
	v_cvt_f32_i32_e32 v5, v5
	v_bfe_u32 v7, v5, 16, 1
	v_add3_u32 v5, v5, v7, s0
	v_lshrrev_b32_e32 v5, 16, v5
	s_mov_b64 s[0:1], 0
	s_branch .LBB30_1408
.LBB30_1407:
	s_mov_b64 s[0:1], -1
                                        ; implicit-def: $vgpr5
.LBB30_1408:
	s_andn2_b64 vcc, exec, s[0:1]
	s_cbranch_vccnz .LBB30_1410
; %bb.1409:
	global_load_ubyte v0, v[0:1], off
	s_movk_i32 s0, 0x7fff
	s_waitcnt vmcnt(0)
	v_cvt_f32_ubyte0_e32 v0, v0
	v_bfe_u32 v1, v0, 16, 1
	v_add3_u32 v0, v0, v1, s0
	v_lshrrev_b32_e32 v5, 16, v0
.LBB30_1410:
.LBB30_1411:
	v_add_u32_e32 v0, s3, v6
	v_ashrrev_i32_e32 v1, 31, v0
	v_mov_b32_e32 v6, s11
	v_add_co_u32_e32 v0, vcc, s10, v0
	s_cmp_lt_i32 s22, 11
	v_addc_co_u32_e32 v1, vcc, v6, v1, vcc
	s_cbranch_scc1 .LBB30_1418
; %bb.1412:
	s_cmp_gt_i32 s22, 25
	s_mov_b64 s[4:5], 0
	s_cbranch_scc0 .LBB30_1419
; %bb.1413:
	s_cmp_gt_i32 s22, 28
	s_cbranch_scc0 .LBB30_1420
; %bb.1414:
	s_cmp_gt_i32 s22, 43
	;; [unrolled: 3-line block ×3, first 2 shown]
	s_cbranch_scc0 .LBB30_1423
; %bb.1416:
	s_cmp_eq_u32 s22, 46
	s_mov_b64 s[16:17], 0
	s_cbranch_scc0 .LBB30_1424
; %bb.1417:
	global_load_dword v6, v[0:1], off
	s_mov_b64 s[0:1], 0
	s_mov_b64 s[10:11], -1
	s_branch .LBB30_1425
.LBB30_1418:
	s_mov_b64 s[0:1], -1
	s_mov_b64 s[10:11], 0
                                        ; implicit-def: $vgpr6
	s_branch .LBB30_1491
.LBB30_1419:
	s_mov_b64 s[16:17], -1
	s_mov_b64 s[10:11], 0
	s_mov_b64 s[0:1], 0
                                        ; implicit-def: $vgpr6
	s_branch .LBB30_1454
.LBB30_1420:
	s_mov_b64 s[16:17], -1
	s_mov_b64 s[10:11], 0
	s_mov_b64 s[0:1], 0
                                        ; implicit-def: $vgpr6
	s_branch .LBB30_1435
.LBB30_1421:
	s_mov_b64 s[16:17], -1
	s_mov_b64 s[10:11], 0
	s_mov_b64 s[0:1], 0
                                        ; implicit-def: $vgpr6
	s_branch .LBB30_1430
.LBB30_1422:
	s_trap 2
	s_or_b64 s[14:15], s[14:15], exec
	s_cbranch_execz .LBB30_1361
	s_branch .LBB30_1362
.LBB30_1423:
	s_mov_b64 s[16:17], -1
	s_mov_b64 s[10:11], 0
	s_mov_b64 s[0:1], 0
                                        ; implicit-def: $vgpr6
	s_branch .LBB30_1425
.LBB30_1424:
	s_mov_b64 s[0:1], -1
                                        ; implicit-def: $vgpr6
	s_mov_b64 s[10:11], 0
.LBB30_1425:
	s_and_b64 vcc, exec, s[16:17]
	s_cbranch_vccz .LBB30_1429
; %bb.1426:
	s_cmp_eq_u32 s22, 44
	s_cbranch_scc0 .LBB30_1428
; %bb.1427:
	global_load_ubyte v6, v[0:1], off
	s_movk_i32 s3, 0xff
	v_mov_b32_e32 v7, 0x7f800001
	v_mov_b32_e32 v8, 0x400000
	;; [unrolled: 1-line block ×3, first 2 shown]
	s_mov_b64 s[0:1], 0
	s_mov_b64 s[10:11], -1
	s_waitcnt vmcnt(0)
	v_lshlrev_b32_e32 v10, 23, v6
	v_cmp_ne_u32_e32 vcc, s3, v6
	v_cndmask_b32_e32 v7, v7, v10, vcc
	v_cmp_ne_u32_e32 vcc, 0, v6
	v_cndmask_b32_e32 v6, v8, v7, vcc
	v_add_u32_e32 v7, 0x7fff, v6
	v_cmp_o_f32_e32 vcc, v6, v6
	v_cndmask_b32_sdwa v6, v9, v7, vcc dst_sel:DWORD dst_unused:UNUSED_PAD src0_sel:DWORD src1_sel:WORD_1
	s_branch .LBB30_1429
.LBB30_1428:
	s_mov_b64 s[0:1], -1
                                        ; implicit-def: $vgpr6
.LBB30_1429:
	s_mov_b64 s[16:17], 0
.LBB30_1430:
	s_and_b64 vcc, exec, s[16:17]
	s_cbranch_vccz .LBB30_1434
; %bb.1431:
	s_cmp_eq_u32 s22, 29
	s_cbranch_scc0 .LBB30_1433
; %bb.1432:
	global_load_dwordx2 v[6:7], v[0:1], off
	s_movk_i32 s3, 0x7fff
	s_mov_b64 s[0:1], 0
	s_mov_b64 s[10:11], -1
	s_mov_b64 s[16:17], 0
	s_waitcnt vmcnt(0)
	v_ffbh_u32_e32 v8, v7
	v_min_u32_e32 v8, 32, v8
	v_lshlrev_b64 v[6:7], v8, v[6:7]
	v_min_u32_e32 v6, 1, v6
	v_or_b32_e32 v6, v7, v6
	v_cvt_f32_u32_e32 v6, v6
	v_sub_u32_e32 v7, 32, v8
	v_ldexp_f32 v6, v6, v7
	v_bfe_u32 v7, v6, 16, 1
	v_add3_u32 v6, v6, v7, s3
	v_lshrrev_b32_e32 v6, 16, v6
	s_branch .LBB30_1435
.LBB30_1433:
	s_mov_b64 s[0:1], -1
                                        ; implicit-def: $vgpr6
.LBB30_1434:
	s_mov_b64 s[16:17], 0
.LBB30_1435:
	s_and_b64 vcc, exec, s[16:17]
	s_cbranch_vccz .LBB30_1453
; %bb.1436:
	s_cmp_lt_i32 s22, 27
	s_cbranch_scc1 .LBB30_1439
; %bb.1437:
	s_cmp_gt_i32 s22, 27
	s_cbranch_scc0 .LBB30_1440
; %bb.1438:
	global_load_dword v6, v[0:1], off
	s_movk_i32 s3, 0x7fff
	s_mov_b64 s[10:11], 0
	s_waitcnt vmcnt(0)
	v_cvt_f32_u32_e32 v6, v6
	v_bfe_u32 v7, v6, 16, 1
	v_add3_u32 v6, v6, v7, s3
	v_lshrrev_b32_e32 v6, 16, v6
	s_branch .LBB30_1441
.LBB30_1439:
	s_mov_b64 s[10:11], -1
                                        ; implicit-def: $vgpr6
	s_branch .LBB30_1444
.LBB30_1440:
	s_mov_b64 s[10:11], -1
                                        ; implicit-def: $vgpr6
.LBB30_1441:
	s_andn2_b64 vcc, exec, s[10:11]
	s_cbranch_vccnz .LBB30_1443
; %bb.1442:
	global_load_ushort v6, v[0:1], off
	s_movk_i32 s3, 0x7fff
	s_waitcnt vmcnt(0)
	v_cvt_f32_u32_e32 v6, v6
	v_bfe_u32 v7, v6, 16, 1
	v_add3_u32 v6, v6, v7, s3
	v_lshrrev_b32_e32 v6, 16, v6
.LBB30_1443:
	s_mov_b64 s[10:11], 0
.LBB30_1444:
	s_andn2_b64 vcc, exec, s[10:11]
	s_cbranch_vccnz .LBB30_1452
; %bb.1445:
	global_load_ubyte v6, v[0:1], off
	s_movk_i32 s3, 0x7f
	s_mov_b64 s[10:11], 0
	s_waitcnt vmcnt(0)
	v_cmp_lt_i16_e32 vcc, s3, v6
	s_and_saveexec_b64 s[16:17], vcc
	s_xor_b64 s[16:17], exec, s[16:17]
	s_cbranch_execz .LBB30_1466
; %bb.1446:
	s_movk_i32 s3, 0x80
	v_cmp_eq_u16_e32 vcc, s3, v6
	s_mov_b64 s[10:11], -1
	s_and_saveexec_b64 s[18:19], vcc
; %bb.1447:
	s_xor_b64 s[10:11], exec, -1
; %bb.1448:
	s_or_b64 exec, exec, s[18:19]
	s_and_b64 s[10:11], s[10:11], exec
	s_or_saveexec_b64 s[16:17], s[16:17]
	v_mov_b32_e32 v7, 0x7f800001
	s_xor_b64 exec, exec, s[16:17]
	s_cbranch_execnz .LBB30_1467
.LBB30_1449:
	s_or_b64 exec, exec, s[16:17]
	s_and_saveexec_b64 s[16:17], s[10:11]
	s_cbranch_execz .LBB30_1451
.LBB30_1450:
	v_lshlrev_b32_e32 v7, 24, v6
	v_and_b32_e32 v6, 0xffff, v6
	v_and_b32_e32 v8, 7, v6
	v_ffbh_u32_e32 v10, v8
	v_min_u32_e32 v10, 32, v10
	v_subrev_u32_e32 v11, 28, v10
	v_bfe_u32 v9, v6, 3, 4
	v_lshlrev_b32_e32 v6, v11, v6
	v_sub_u32_e32 v10, 29, v10
	v_and_b32_e32 v6, 7, v6
	v_cmp_eq_u32_e32 vcc, 0, v9
	v_cndmask_b32_e32 v9, v9, v10, vcc
	v_cndmask_b32_e32 v6, v8, v6, vcc
	v_mov_b32_e32 v8, 0x3b800000
	v_lshlrev_b32_e32 v6, 20, v6
	v_and_b32_e32 v7, 0x80000000, v7
	v_lshl_add_u32 v8, v9, 23, v8
	v_or3_b32 v7, v7, v8, v6
.LBB30_1451:
	s_or_b64 exec, exec, s[16:17]
	v_bfe_u32 v6, v7, 16, 1
	s_movk_i32 s3, 0x7fff
	v_add3_u32 v6, v7, v6, s3
	v_cmp_o_f32_e32 vcc, v7, v7
	v_mov_b32_e32 v7, 0x7fc0
	v_cndmask_b32_sdwa v6, v7, v6, vcc dst_sel:DWORD dst_unused:UNUSED_PAD src0_sel:DWORD src1_sel:WORD_1
.LBB30_1452:
	s_mov_b64 s[10:11], -1
.LBB30_1453:
	s_mov_b64 s[16:17], 0
.LBB30_1454:
	s_and_b64 vcc, exec, s[16:17]
	s_cbranch_vccz .LBB30_1487
; %bb.1455:
	s_cmp_gt_i32 s22, 22
	s_cbranch_scc0 .LBB30_1465
; %bb.1456:
	s_cmp_lt_i32 s22, 24
	s_cbranch_scc1 .LBB30_1468
; %bb.1457:
	s_cmp_gt_i32 s22, 24
	s_cbranch_scc0 .LBB30_1469
; %bb.1458:
	global_load_ubyte v6, v[0:1], off
	s_movk_i32 s3, 0x7f
	s_waitcnt vmcnt(0)
	v_cmp_lt_i16_e32 vcc, s3, v6
	s_and_saveexec_b64 s[10:11], vcc
	s_xor_b64 s[10:11], exec, s[10:11]
	s_cbranch_execz .LBB30_1481
; %bb.1459:
	s_movk_i32 s3, 0x80
	v_cmp_eq_u16_e32 vcc, s3, v6
	s_mov_b64 s[4:5], -1
	s_and_saveexec_b64 s[16:17], vcc
; %bb.1460:
	s_xor_b64 s[4:5], exec, -1
; %bb.1461:
	s_or_b64 exec, exec, s[16:17]
	s_and_b64 s[4:5], s[4:5], exec
	s_or_saveexec_b64 s[10:11], s[10:11]
	v_mov_b32_e32 v7, 0x7f800001
	s_xor_b64 exec, exec, s[10:11]
	s_cbranch_execnz .LBB30_1482
.LBB30_1462:
	s_or_b64 exec, exec, s[10:11]
	s_and_saveexec_b64 s[10:11], s[4:5]
	s_cbranch_execz .LBB30_1464
.LBB30_1463:
	v_lshlrev_b32_e32 v7, 24, v6
	v_and_b32_e32 v6, 0xffff, v6
	v_and_b32_e32 v8, 3, v6
	v_ffbh_u32_e32 v10, v8
	v_min_u32_e32 v10, 32, v10
	v_subrev_u32_e32 v11, 29, v10
	v_bfe_u32 v9, v6, 2, 5
	v_lshlrev_b32_e32 v6, v11, v6
	v_sub_u32_e32 v10, 30, v10
	v_and_b32_e32 v6, 3, v6
	v_cmp_eq_u32_e32 vcc, 0, v9
	v_cndmask_b32_e32 v9, v9, v10, vcc
	v_cndmask_b32_e32 v6, v8, v6, vcc
	v_mov_b32_e32 v8, 0x37800000
	v_lshlrev_b32_e32 v6, 21, v6
	v_and_b32_e32 v7, 0x80000000, v7
	v_lshl_add_u32 v8, v9, 23, v8
	v_or3_b32 v7, v7, v8, v6
.LBB30_1464:
	s_or_b64 exec, exec, s[10:11]
	v_bfe_u32 v6, v7, 16, 1
	s_movk_i32 s3, 0x7fff
	v_add3_u32 v6, v7, v6, s3
	v_cmp_o_f32_e32 vcc, v7, v7
	v_mov_b32_e32 v7, 0x7fc0
	v_cndmask_b32_sdwa v6, v7, v6, vcc dst_sel:DWORD dst_unused:UNUSED_PAD src0_sel:DWORD src1_sel:WORD_1
	s_mov_b64 s[4:5], 0
	s_branch .LBB30_1470
.LBB30_1465:
	s_mov_b64 s[4:5], -1
                                        ; implicit-def: $vgpr6
	s_branch .LBB30_1476
.LBB30_1466:
	s_or_saveexec_b64 s[16:17], s[16:17]
	v_mov_b32_e32 v7, 0x7f800001
	s_xor_b64 exec, exec, s[16:17]
	s_cbranch_execz .LBB30_1449
.LBB30_1467:
	v_cmp_ne_u16_e32 vcc, 0, v6
	s_andn2_b64 s[10:11], s[10:11], exec
	s_and_b64 s[18:19], vcc, exec
	v_mov_b32_e32 v7, 0
	s_or_b64 s[10:11], s[10:11], s[18:19]
	s_or_b64 exec, exec, s[16:17]
	s_and_saveexec_b64 s[16:17], s[10:11]
	s_cbranch_execnz .LBB30_1450
	s_branch .LBB30_1451
.LBB30_1468:
	s_mov_b64 s[4:5], -1
                                        ; implicit-def: $vgpr6
	s_branch .LBB30_1473
.LBB30_1469:
	s_mov_b64 s[4:5], -1
                                        ; implicit-def: $vgpr6
.LBB30_1470:
	s_and_b64 vcc, exec, s[4:5]
	s_cbranch_vccz .LBB30_1472
; %bb.1471:
	global_load_ubyte v6, v[0:1], off
	s_mov_b32 s3, 0x7f800000
	s_brev_b32 s4, 1
	s_movk_i32 s5, 0x7fff
	s_waitcnt vmcnt(0)
	v_lshlrev_b32_e32 v6, 24, v6
	v_and_b32_e32 v7, 0x7f000000, v6
	v_ffbh_u32_e32 v8, v7
	v_min_u32_e32 v8, 32, v8
	v_sub_u32_e64 v8, v8, 4 clamp
	v_lshlrev_b32_e32 v10, v8, v7
	v_lshlrev_b32_e32 v8, 23, v8
	v_lshrrev_b32_e32 v10, 4, v10
	v_add_u32_e32 v9, 0x1000000, v7
	v_sub_u32_e32 v8, v10, v8
	v_ashrrev_i32_e32 v9, 8, v9
	v_add_u32_e32 v8, 0x3c000000, v8
	v_and_or_b32 v8, v9, s3, v8
	v_cmp_ne_u32_e32 vcc, 0, v7
	v_cndmask_b32_e32 v7, 0, v8, vcc
	v_and_or_b32 v6, v6, s4, v7
	v_bfe_u32 v7, v7, 16, 1
	v_add3_u32 v7, v6, v7, s5
	v_cmp_o_f32_e32 vcc, v6, v6
	v_mov_b32_e32 v6, 0x7fc0
	v_cndmask_b32_sdwa v6, v6, v7, vcc dst_sel:DWORD dst_unused:UNUSED_PAD src0_sel:DWORD src1_sel:WORD_1
.LBB30_1472:
	s_mov_b64 s[4:5], 0
.LBB30_1473:
	s_andn2_b64 vcc, exec, s[4:5]
	s_cbranch_vccnz .LBB30_1475
; %bb.1474:
	global_load_ubyte v6, v[0:1], off
	s_movk_i32 s3, 0x7f00
	s_brev_b32 s4, 16
	s_brev_b32 s5, 1
	s_movk_i32 s10, 0x7fff
	s_waitcnt vmcnt(0)
	v_lshlrev_b16_e32 v7, 8, v6
	v_lshlrev_b32_e32 v6, 25, v6
	v_lshrrev_b32_e32 v8, 4, v6
	v_and_or_b32 v9, v7, s3, 0.5
	v_or_b32_e32 v8, 0x70000000, v8
	v_add_f32_e32 v9, -0.5, v9
	v_mul_f32_e32 v8, 0x7800000, v8
	v_cmp_gt_u32_e32 vcc, s4, v6
	v_bfe_i32 v7, v7, 0, 16
	v_cndmask_b32_e32 v6, v8, v9, vcc
	v_and_or_b32 v7, v7, s5, v6
	v_bfe_u32 v6, v6, 16, 1
	v_add3_u32 v6, v7, v6, s10
	v_cmp_o_f32_e32 vcc, v7, v7
	v_mov_b32_e32 v7, 0x7fc0
	v_cndmask_b32_sdwa v6, v7, v6, vcc dst_sel:DWORD dst_unused:UNUSED_PAD src0_sel:DWORD src1_sel:WORD_1
.LBB30_1475:
	s_mov_b64 s[4:5], 0
	s_mov_b64 s[10:11], -1
.LBB30_1476:
	s_andn2_b64 vcc, exec, s[4:5]
	s_mov_b64 s[4:5], 0
	s_cbranch_vccnz .LBB30_1487
; %bb.1477:
	s_cmp_gt_i32 s22, 14
	s_cbranch_scc0 .LBB30_1480
; %bb.1478:
	s_cmp_eq_u32 s22, 15
	s_cbranch_scc0 .LBB30_1483
; %bb.1479:
	global_load_ushort v6, v[0:1], off
	s_mov_b64 s[0:1], 0
	s_mov_b64 s[10:11], -1
	s_branch .LBB30_1484
.LBB30_1480:
	s_mov_b64 s[16:17], -1
                                        ; implicit-def: $vgpr6
	s_branch .LBB30_1485
.LBB30_1481:
	s_or_saveexec_b64 s[10:11], s[10:11]
	v_mov_b32_e32 v7, 0x7f800001
	s_xor_b64 exec, exec, s[10:11]
	s_cbranch_execz .LBB30_1462
.LBB30_1482:
	v_cmp_ne_u16_e32 vcc, 0, v6
	s_andn2_b64 s[4:5], s[4:5], exec
	s_and_b64 s[16:17], vcc, exec
	v_mov_b32_e32 v7, 0
	s_or_b64 s[4:5], s[4:5], s[16:17]
	s_or_b64 exec, exec, s[10:11]
	s_and_saveexec_b64 s[10:11], s[4:5]
	s_cbranch_execnz .LBB30_1463
	s_branch .LBB30_1464
.LBB30_1483:
	s_mov_b64 s[0:1], -1
                                        ; implicit-def: $vgpr6
.LBB30_1484:
	s_mov_b64 s[16:17], 0
.LBB30_1485:
	s_and_b64 vcc, exec, s[16:17]
	s_cbranch_vccz .LBB30_1487
; %bb.1486:
	s_cmp_lg_u32 s22, 11
	s_mov_b64 s[4:5], -1
	s_cselect_b64 s[0:1], -1, 0
.LBB30_1487:
	s_and_b64 vcc, exec, s[0:1]
	s_cbranch_vccnz .LBB30_2020
; %bb.1488:
	s_andn2_b64 vcc, exec, s[4:5]
	s_cbranch_vccnz .LBB30_1490
.LBB30_1489:
	global_load_ubyte v6, v[0:1], off
	s_mov_b64 s[10:11], -1
	s_waitcnt vmcnt(0)
	v_cmp_ne_u16_e32 vcc, 0, v6
	v_cndmask_b32_e64 v6, 0, 1.0, vcc
	v_lshrrev_b32_e32 v6, 16, v6
.LBB30_1490:
	s_mov_b64 s[0:1], 0
.LBB30_1491:
	s_and_b64 vcc, exec, s[0:1]
	s_cbranch_vccz .LBB30_1540
; %bb.1492:
	s_cmp_lt_i32 s22, 5
	s_cbranch_scc1 .LBB30_1497
; %bb.1493:
	s_cmp_lt_i32 s22, 8
	s_cbranch_scc1 .LBB30_1498
	;; [unrolled: 3-line block ×3, first 2 shown]
; %bb.1495:
	s_cmp_gt_i32 s22, 9
	s_cbranch_scc0 .LBB30_1500
; %bb.1496:
	global_load_dwordx2 v[6:7], v[0:1], off
	s_movk_i32 s0, 0x7fff
	s_waitcnt vmcnt(0)
	v_cvt_f32_f64_e32 v6, v[6:7]
	v_mov_b32_e32 v7, 0x7fc0
	v_bfe_u32 v8, v6, 16, 1
	v_cmp_o_f32_e32 vcc, v6, v6
	v_add3_u32 v6, v6, v8, s0
	v_cndmask_b32_sdwa v6, v7, v6, vcc dst_sel:DWORD dst_unused:UNUSED_PAD src0_sel:DWORD src1_sel:WORD_1
	s_mov_b64 s[0:1], 0
	s_branch .LBB30_1501
.LBB30_1497:
	s_mov_b64 s[0:1], -1
                                        ; implicit-def: $vgpr6
	s_branch .LBB30_1519
.LBB30_1498:
	s_mov_b64 s[0:1], -1
                                        ; implicit-def: $vgpr6
	s_branch .LBB30_1507
.LBB30_1499:
	s_mov_b64 s[0:1], -1
                                        ; implicit-def: $vgpr6
	s_branch .LBB30_1504
.LBB30_1500:
	s_mov_b64 s[0:1], -1
                                        ; implicit-def: $vgpr6
.LBB30_1501:
	s_andn2_b64 vcc, exec, s[0:1]
	s_cbranch_vccnz .LBB30_1503
; %bb.1502:
	global_load_dword v6, v[0:1], off
	s_movk_i32 s0, 0x7fff
	v_mov_b32_e32 v7, 0x7fc0
	s_waitcnt vmcnt(0)
	v_bfe_u32 v8, v6, 16, 1
	v_cmp_o_f32_e32 vcc, v6, v6
	v_add3_u32 v6, v6, v8, s0
	v_cndmask_b32_sdwa v6, v7, v6, vcc dst_sel:DWORD dst_unused:UNUSED_PAD src0_sel:DWORD src1_sel:WORD_1
.LBB30_1503:
	s_mov_b64 s[0:1], 0
.LBB30_1504:
	s_andn2_b64 vcc, exec, s[0:1]
	s_cbranch_vccnz .LBB30_1506
; %bb.1505:
	global_load_dword v6, v[0:1], off
	s_movk_i32 s0, 0x7fff
	v_mov_b32_e32 v8, 0x7fc0
	s_waitcnt vmcnt(0)
	v_cvt_f32_f16_e32 v7, v6
	v_cmp_o_f16_e32 vcc, v6, v6
	v_bfe_u32 v6, v7, 16, 1
	v_add3_u32 v6, v7, v6, s0
	v_cndmask_b32_sdwa v6, v8, v6, vcc dst_sel:DWORD dst_unused:UNUSED_PAD src0_sel:DWORD src1_sel:WORD_1
.LBB30_1506:
	s_mov_b64 s[0:1], 0
.LBB30_1507:
	s_andn2_b64 vcc, exec, s[0:1]
	s_cbranch_vccnz .LBB30_1518
; %bb.1508:
	s_cmp_lt_i32 s22, 6
	s_cbranch_scc1 .LBB30_1511
; %bb.1509:
	s_cmp_gt_i32 s22, 6
	s_cbranch_scc0 .LBB30_1512
; %bb.1510:
	global_load_dwordx2 v[6:7], v[0:1], off
	s_movk_i32 s0, 0x7fff
	s_waitcnt vmcnt(0)
	v_cvt_f32_f64_e32 v6, v[6:7]
	v_mov_b32_e32 v7, 0x7fc0
	v_bfe_u32 v8, v6, 16, 1
	v_cmp_o_f32_e32 vcc, v6, v6
	v_add3_u32 v6, v6, v8, s0
	v_cndmask_b32_sdwa v6, v7, v6, vcc dst_sel:DWORD dst_unused:UNUSED_PAD src0_sel:DWORD src1_sel:WORD_1
	s_mov_b64 s[0:1], 0
	s_branch .LBB30_1513
.LBB30_1511:
	s_mov_b64 s[0:1], -1
                                        ; implicit-def: $vgpr6
	s_branch .LBB30_1516
.LBB30_1512:
	s_mov_b64 s[0:1], -1
                                        ; implicit-def: $vgpr6
.LBB30_1513:
	s_andn2_b64 vcc, exec, s[0:1]
	s_cbranch_vccnz .LBB30_1515
; %bb.1514:
	global_load_dword v6, v[0:1], off
	s_movk_i32 s0, 0x7fff
	v_mov_b32_e32 v7, 0x7fc0
	s_waitcnt vmcnt(0)
	v_bfe_u32 v8, v6, 16, 1
	v_cmp_o_f32_e32 vcc, v6, v6
	v_add3_u32 v6, v6, v8, s0
	v_cndmask_b32_sdwa v6, v7, v6, vcc dst_sel:DWORD dst_unused:UNUSED_PAD src0_sel:DWORD src1_sel:WORD_1
.LBB30_1515:
	s_mov_b64 s[0:1], 0
.LBB30_1516:
	s_andn2_b64 vcc, exec, s[0:1]
	s_cbranch_vccnz .LBB30_1518
; %bb.1517:
	global_load_ushort v6, v[0:1], off
	s_movk_i32 s0, 0x7fff
	v_mov_b32_e32 v8, 0x7fc0
	s_waitcnt vmcnt(0)
	v_cvt_f32_f16_e32 v7, v6
	v_cmp_o_f16_e32 vcc, v6, v6
	v_bfe_u32 v6, v7, 16, 1
	v_add3_u32 v6, v7, v6, s0
	v_cndmask_b32_sdwa v6, v8, v6, vcc dst_sel:DWORD dst_unused:UNUSED_PAD src0_sel:DWORD src1_sel:WORD_1
.LBB30_1518:
	s_mov_b64 s[0:1], 0
.LBB30_1519:
	s_andn2_b64 vcc, exec, s[0:1]
	s_cbranch_vccnz .LBB30_1539
; %bb.1520:
	s_cmp_lt_i32 s22, 2
	s_cbranch_scc1 .LBB30_1524
; %bb.1521:
	s_cmp_lt_i32 s22, 3
	s_cbranch_scc1 .LBB30_1525
; %bb.1522:
	s_cmp_gt_i32 s22, 3
	s_cbranch_scc0 .LBB30_1526
; %bb.1523:
	global_load_dwordx2 v[6:7], v[0:1], off
	s_movk_i32 s0, 0x7fff
	s_waitcnt vmcnt(0)
	v_xor_b32_e32 v9, v6, v7
	v_ffbh_i32_e32 v8, v7
	v_ashrrev_i32_e32 v9, 31, v9
	v_add_u32_e32 v8, -1, v8
	v_add_u32_e32 v9, 32, v9
	v_min_u32_e32 v8, v8, v9
	v_lshlrev_b64 v[6:7], v8, v[6:7]
	v_min_u32_e32 v6, 1, v6
	v_or_b32_e32 v6, v7, v6
	v_cvt_f32_i32_e32 v6, v6
	v_sub_u32_e32 v7, 32, v8
	v_ldexp_f32 v6, v6, v7
	v_bfe_u32 v7, v6, 16, 1
	v_add3_u32 v6, v6, v7, s0
	v_lshrrev_b32_e32 v6, 16, v6
	s_mov_b64 s[0:1], 0
	s_branch .LBB30_1527
.LBB30_1524:
	s_mov_b64 s[0:1], -1
                                        ; implicit-def: $vgpr6
	s_branch .LBB30_1533
.LBB30_1525:
	s_mov_b64 s[0:1], -1
                                        ; implicit-def: $vgpr6
	s_branch .LBB30_1530
.LBB30_1526:
	s_mov_b64 s[0:1], -1
                                        ; implicit-def: $vgpr6
.LBB30_1527:
	s_andn2_b64 vcc, exec, s[0:1]
	s_cbranch_vccnz .LBB30_1529
; %bb.1528:
	global_load_dword v6, v[0:1], off
	s_movk_i32 s0, 0x7fff
	s_waitcnt vmcnt(0)
	v_cvt_f32_i32_e32 v6, v6
	v_bfe_u32 v7, v6, 16, 1
	v_add3_u32 v6, v6, v7, s0
	v_lshrrev_b32_e32 v6, 16, v6
.LBB30_1529:
	s_mov_b64 s[0:1], 0
.LBB30_1530:
	s_andn2_b64 vcc, exec, s[0:1]
	s_cbranch_vccnz .LBB30_1532
; %bb.1531:
	global_load_sshort v6, v[0:1], off
	s_movk_i32 s0, 0x7fff
	s_waitcnt vmcnt(0)
	v_cvt_f32_i32_e32 v6, v6
	v_bfe_u32 v7, v6, 16, 1
	v_add3_u32 v6, v6, v7, s0
	v_lshrrev_b32_e32 v6, 16, v6
.LBB30_1532:
	s_mov_b64 s[0:1], 0
.LBB30_1533:
	s_andn2_b64 vcc, exec, s[0:1]
	s_cbranch_vccnz .LBB30_1539
; %bb.1534:
	s_cmp_gt_i32 s22, 0
	s_cbranch_scc0 .LBB30_1536
; %bb.1535:
	global_load_sbyte v6, v[0:1], off
	s_movk_i32 s0, 0x7fff
	s_waitcnt vmcnt(0)
	v_cvt_f32_i32_e32 v6, v6
	v_bfe_u32 v7, v6, 16, 1
	v_add3_u32 v6, v6, v7, s0
	v_lshrrev_b32_e32 v6, 16, v6
	s_mov_b64 s[0:1], 0
	s_branch .LBB30_1537
.LBB30_1536:
	s_mov_b64 s[0:1], -1
                                        ; implicit-def: $vgpr6
.LBB30_1537:
	s_andn2_b64 vcc, exec, s[0:1]
	s_cbranch_vccnz .LBB30_1539
; %bb.1538:
	global_load_ubyte v0, v[0:1], off
	s_movk_i32 s0, 0x7fff
	s_waitcnt vmcnt(0)
	v_cvt_f32_ubyte0_e32 v0, v0
	v_bfe_u32 v1, v0, 16, 1
	v_add3_u32 v0, v0, v1, s0
	v_lshrrev_b32_e32 v6, 16, v0
.LBB30_1539:
	s_mov_b64 s[10:11], -1
.LBB30_1540:
	s_andn2_b64 vcc, exec, s[10:11]
	s_cbranch_vccnz .LBB30_1974
; %bb.1541:
	s_lshl_b32 s21, s42, 16
	s_xor_b32 s0, s21, 0x80000000
	s_bfe_u32 s1, s0, 0x10010
	s_add_i32 s0, s0, s1
	s_addk_i32 s0, 0x7fff
	s_and_b32 s0, s0, 0xffff0000
	v_mov_b32_e32 v0, 0x7fc00000
	v_mov_b32_e32 v1, s0
	v_cmp_o_f32_e64 vcc, s21, s21
	v_mul_lo_u32 v2, s2, v2
	v_cndmask_b32_e32 v7, v0, v1, vcc
	s_waitcnt vmcnt(0)
	v_lshlrev_b32_e32 v0, 16, v3
	v_cmp_nle_f32_e32 vcc, v7, v0
	v_cmp_nge_f32_e64 s[0:1], s21, v0
	s_or_b64 vcc, s[0:1], vcc
	v_cndmask_b32_e32 v3, 0, v3, vcc
	v_ashrrev_i32_e32 v1, 31, v2
	v_mov_b32_e32 v8, s9
	s_and_b32 s20, s33, 0xff
	v_add_co_u32_e32 v0, vcc, s8, v2
	s_cmp_lt_i32 s20, 11
	v_addc_co_u32_e32 v1, vcc, v8, v1, vcc
	s_cbranch_scc1 .LBB30_1619
; %bb.1542:
	s_and_b32 s3, 0xffff, s20
	s_mov_b64 s[16:17], -1
	s_mov_b64 s[4:5], 0
	s_cmp_gt_i32 s3, 25
	s_mov_b64 s[10:11], 0
	s_mov_b64 s[0:1], 0
	s_cbranch_scc0 .LBB30_1575
; %bb.1543:
	s_cmp_gt_i32 s3, 28
	s_cbranch_scc0 .LBB30_1558
; %bb.1544:
	s_cmp_gt_i32 s3, 43
	;; [unrolled: 3-line block ×3, first 2 shown]
	s_cbranch_scc0 .LBB30_1548
; %bb.1546:
	s_mov_b64 s[0:1], -1
	s_mov_b64 s[16:17], 0
	s_cmp_eq_u32 s3, 46
	s_cbranch_scc0 .LBB30_1548
; %bb.1547:
	v_and_b32_e32 v8, 0xffff, v3
	global_store_dword v[0:1], v8, off
	s_mov_b64 s[0:1], 0
	s_mov_b64 s[10:11], -1
.LBB30_1548:
	s_and_b64 vcc, exec, s[16:17]
	s_cbranch_vccz .LBB30_1553
; %bb.1549:
	s_cmp_eq_u32 s3, 44
	s_mov_b64 s[0:1], -1
	s_cbranch_scc0 .LBB30_1553
; %bb.1550:
	v_and_b32_e32 v9, 0xffff, v3
	v_bfe_u32 v8, v9, 7, 8
	s_movk_i32 s0, 0xff
	v_cmp_ne_u32_e32 vcc, s0, v8
	v_mov_b32_e32 v10, 0xff
	s_and_saveexec_b64 s[10:11], vcc
	s_cbranch_execz .LBB30_1552
; %bb.1551:
	v_lshlrev_b32_e32 v11, 16, v9
	s_mov_b32 s0, 0x3f0000
	v_lshrrev_b32_e32 v10, 7, v9
	v_and_b32_e32 v9, 64, v9
	v_and_or_b32 v8, v11, s0, v8
	v_cmp_ne_u32_e32 vcc, 0, v9
	v_cmp_ne_u32_e64 s[0:1], 0, v8
	s_and_b64 s[0:1], vcc, s[0:1]
	v_cndmask_b32_e64 v8, 0, 1, s[0:1]
	v_add_u32_e32 v10, v10, v8
.LBB30_1552:
	s_or_b64 exec, exec, s[10:11]
	s_mov_b64 s[0:1], 0
	s_mov_b64 s[10:11], -1
	global_store_byte v[0:1], v10, off
.LBB30_1553:
	s_mov_b64 s[16:17], 0
.LBB30_1554:
	s_and_b64 vcc, exec, s[16:17]
	s_cbranch_vccz .LBB30_1557
; %bb.1555:
	s_cmp_eq_u32 s3, 29
	s_mov_b64 s[0:1], -1
	s_cbranch_scc0 .LBB30_1557
; %bb.1556:
	v_lshlrev_b32_e32 v8, 16, v3
	v_trunc_f32_e32 v8, v8
	v_mul_f32_e32 v9, 0x2f800000, v8
	v_floor_f32_e32 v10, v9
	v_fmac_f32_e32 v8, 0xcf800000, v10
	v_cvt_u32_f32_e32 v9, v10
	v_cvt_u32_f32_e32 v8, v8
	s_mov_b64 s[0:1], 0
	s_mov_b64 s[10:11], -1
	global_store_dwordx2 v[0:1], v[8:9], off
.LBB30_1557:
	s_mov_b64 s[16:17], 0
.LBB30_1558:
	s_and_b64 vcc, exec, s[16:17]
	s_cbranch_vccz .LBB30_1574
; %bb.1559:
	s_cmp_lt_i32 s3, 27
	s_mov_b64 s[10:11], -1
	s_cbranch_scc1 .LBB30_1565
; %bb.1560:
	s_cmp_gt_i32 s3, 27
	s_cbranch_scc0 .LBB30_1562
; %bb.1561:
	v_lshlrev_b32_e32 v8, 16, v3
	v_cvt_u32_f32_e32 v8, v8
	s_mov_b64 s[10:11], 0
	global_store_dword v[0:1], v8, off
.LBB30_1562:
	s_andn2_b64 vcc, exec, s[10:11]
	s_cbranch_vccnz .LBB30_1564
; %bb.1563:
	v_lshlrev_b32_e32 v8, 16, v3
	v_cvt_u32_f32_e32 v8, v8
	global_store_short v[0:1], v8, off
.LBB30_1564:
	s_mov_b64 s[10:11], 0
.LBB30_1565:
	s_andn2_b64 vcc, exec, s[10:11]
	s_cbranch_vccnz .LBB30_1573
; %bb.1566:
	v_lshlrev_b32_e32 v10, 16, v3
	v_and_b32_e32 v9, 0x7fffffff, v10
	s_mov_b32 s10, 0x43800000
	v_cmp_gt_u32_e32 vcc, s10, v9
	v_mov_b32_e32 v11, 0x80
	s_and_saveexec_b64 s[10:11], vcc
	s_cbranch_execz .LBB30_1572
; %bb.1567:
	s_mov_b32 s16, 0x3bffffff
	v_and_b32_e32 v8, 0xffff, v3
	v_cmp_lt_u32_e32 vcc, s16, v9
	s_mov_b64 s[16:17], 0
                                        ; implicit-def: $vgpr9
	s_and_saveexec_b64 s[18:19], vcc
	s_xor_b64 s[18:19], exec, s[18:19]
	s_cbranch_execz .LBB30_2021
; %bb.1568:
	v_bfe_u32 v9, v8, 4, 1
	s_mov_b32 s22, 0x487ffff
	v_add3_u32 v9, v10, v9, s22
	s_mov_b64 s[16:17], exec
	v_lshrrev_b32_e32 v9, 20, v9
                                        ; implicit-def: $vgpr10
	s_andn2_saveexec_b64 s[18:19], s[18:19]
	s_cbranch_execnz .LBB30_2022
.LBB30_1569:
	s_or_b64 exec, exec, s[18:19]
	v_mov_b32_e32 v11, 0
	s_and_saveexec_b64 s[18:19], s[16:17]
.LBB30_1570:
	v_lshrrev_b32_e32 v8, 8, v8
	s_movk_i32 s16, 0x80
	v_and_or_b32 v11, v8, s16, v9
.LBB30_1571:
	s_or_b64 exec, exec, s[18:19]
.LBB30_1572:
	s_or_b64 exec, exec, s[10:11]
	global_store_byte v[0:1], v11, off
.LBB30_1573:
	s_mov_b64 s[10:11], -1
.LBB30_1574:
	s_mov_b64 s[16:17], 0
.LBB30_1575:
	s_and_b64 vcc, exec, s[16:17]
	s_cbranch_vccz .LBB30_1615
; %bb.1576:
	s_cmp_gt_i32 s3, 22
	s_mov_b64 s[4:5], -1
	s_cbranch_scc0 .LBB30_1608
; %bb.1577:
	s_cmp_lt_i32 s3, 24
	s_cbranch_scc1 .LBB30_1597
; %bb.1578:
	s_cmp_gt_i32 s3, 24
	s_cbranch_scc0 .LBB30_1586
; %bb.1579:
	v_lshlrev_b32_e32 v10, 16, v3
	v_and_b32_e32 v9, 0x7fffffff, v10
	s_mov_b32 s4, 0x47800000
	v_cmp_gt_u32_e32 vcc, s4, v9
	v_mov_b32_e32 v11, 0x80
	s_and_saveexec_b64 s[4:5], vcc
	s_cbranch_execz .LBB30_1585
; %bb.1580:
	s_mov_b32 s10, 0x37ffffff
	v_and_b32_e32 v8, 0xffff, v3
	v_cmp_lt_u32_e32 vcc, s10, v9
	s_mov_b64 s[10:11], 0
                                        ; implicit-def: $vgpr9
	s_and_saveexec_b64 s[16:17], vcc
	s_xor_b64 s[16:17], exec, s[16:17]
	s_cbranch_execz .LBB30_2024
; %bb.1581:
	v_bfe_u32 v9, v8, 5, 1
	s_mov_b32 s18, 0x88fffff
	v_add3_u32 v9, v10, v9, s18
	s_mov_b64 s[10:11], exec
	v_lshrrev_b32_e32 v9, 21, v9
                                        ; implicit-def: $vgpr10
	s_andn2_saveexec_b64 s[16:17], s[16:17]
	s_cbranch_execnz .LBB30_2025
.LBB30_1582:
	s_or_b64 exec, exec, s[16:17]
	v_mov_b32_e32 v11, 0
	s_and_saveexec_b64 s[16:17], s[10:11]
.LBB30_1583:
	v_lshrrev_b32_e32 v8, 8, v8
	s_movk_i32 s10, 0x80
	v_and_or_b32 v11, v8, s10, v9
.LBB30_1584:
	s_or_b64 exec, exec, s[16:17]
.LBB30_1585:
	s_or_b64 exec, exec, s[4:5]
	s_mov_b64 s[4:5], 0
	global_store_byte v[0:1], v11, off
.LBB30_1586:
	s_and_b64 vcc, exec, s[4:5]
	s_cbranch_vccz .LBB30_1596
; %bb.1587:
	v_lshlrev_b32_e32 v10, 16, v3
	v_and_b32_e32 v11, 0x7fffffff, v10
	s_mov_b32 s4, 0x43f00000
	v_and_b32_e32 v8, 0xffff, v3
	v_cmp_gt_u32_e32 vcc, s4, v11
                                        ; implicit-def: $vgpr9
	s_and_saveexec_b64 s[4:5], vcc
	s_xor_b64 s[4:5], exec, s[4:5]
	s_cbranch_execz .LBB30_1593
; %bb.1588:
	s_mov_b32 s10, 0x3c7fffff
	v_cmp_lt_u32_e32 vcc, s10, v11
                                        ; implicit-def: $vgpr9
	s_and_saveexec_b64 s[10:11], vcc
	s_xor_b64 s[10:11], exec, s[10:11]
; %bb.1589:
	v_bfe_u32 v9, v8, 4, 1
	s_mov_b32 s16, 0x407ffff
	v_add3_u32 v9, v10, v9, s16
	v_lshrrev_b32_e32 v10, 20, v9
	v_and_b32_e32 v9, 0xff00000, v9
	s_mov_b32 s16, 0x7f00000
	v_mov_b32_e32 v11, 0x7e
	v_cmp_ne_u32_e32 vcc, s16, v9
	v_cndmask_b32_e32 v9, v11, v10, vcc
                                        ; implicit-def: $vgpr10
; %bb.1590:
	s_andn2_saveexec_b64 s[10:11], s[10:11]
; %bb.1591:
	s_mov_b32 s16, 0x46800000
	v_add_f32_e64 v9, |v10|, s16
; %bb.1592:
	s_or_b64 exec, exec, s[10:11]
                                        ; implicit-def: $vgpr11
.LBB30_1593:
	s_andn2_saveexec_b64 s[4:5], s[4:5]
; %bb.1594:
	s_mov_b32 s10, 0x7f800000
	v_mov_b32_e32 v9, 0x7e
	v_mov_b32_e32 v10, 0x7f
	v_cmp_lt_u32_e32 vcc, s10, v11
	v_cndmask_b32_e32 v9, v9, v10, vcc
; %bb.1595:
	s_or_b64 exec, exec, s[4:5]
	v_lshrrev_b32_e32 v8, 8, v8
	s_movk_i32 s4, 0x80
	v_and_or_b32 v8, v8, s4, v9
	global_store_byte v[0:1], v8, off
.LBB30_1596:
	s_mov_b64 s[4:5], 0
.LBB30_1597:
	s_andn2_b64 vcc, exec, s[4:5]
	s_cbranch_vccnz .LBB30_1607
; %bb.1598:
	v_lshlrev_b32_e32 v10, 16, v3
	v_and_b32_e32 v11, 0x7fffffff, v10
	s_mov_b32 s4, 0x47800000
	v_and_b32_e32 v8, 0xffff, v3
	v_cmp_gt_u32_e32 vcc, s4, v11
                                        ; implicit-def: $vgpr9
	s_and_saveexec_b64 s[4:5], vcc
	s_xor_b64 s[4:5], exec, s[4:5]
	s_cbranch_execz .LBB30_1604
; %bb.1599:
	s_mov_b32 s10, 0x387fffff
	v_cmp_lt_u32_e32 vcc, s10, v11
                                        ; implicit-def: $vgpr9
	s_and_saveexec_b64 s[10:11], vcc
	s_xor_b64 s[10:11], exec, s[10:11]
; %bb.1600:
	v_bfe_u32 v9, v8, 5, 1
	s_mov_b32 s16, 0x80fffff
	v_add3_u32 v9, v10, v9, s16
	v_lshrrev_b32_e32 v9, 21, v9
                                        ; implicit-def: $vgpr10
; %bb.1601:
	s_andn2_saveexec_b64 s[10:11], s[10:11]
; %bb.1602:
	s_mov_b32 s16, 0x43000000
	v_add_f32_e64 v9, |v10|, s16
; %bb.1603:
	s_or_b64 exec, exec, s[10:11]
                                        ; implicit-def: $vgpr11
.LBB30_1604:
	s_andn2_saveexec_b64 s[4:5], s[4:5]
; %bb.1605:
	s_mov_b32 s10, 0x7f800000
	v_mov_b32_e32 v9, 0x7c
	v_mov_b32_e32 v10, 0x7f
	v_cmp_lt_u32_e32 vcc, s10, v11
	v_cndmask_b32_e32 v9, v9, v10, vcc
; %bb.1606:
	s_or_b64 exec, exec, s[4:5]
	v_lshrrev_b32_e32 v8, 8, v8
	s_movk_i32 s4, 0x80
	v_and_or_b32 v8, v8, s4, v9
	global_store_byte v[0:1], v8, off
.LBB30_1607:
	s_mov_b64 s[4:5], 0
	s_mov_b64 s[10:11], -1
.LBB30_1608:
	s_andn2_b64 vcc, exec, s[4:5]
	s_mov_b64 s[4:5], 0
	s_cbranch_vccnz .LBB30_1615
; %bb.1609:
	s_cmp_gt_i32 s3, 14
	s_mov_b64 s[16:17], -1
	s_cbranch_scc0 .LBB30_1613
; %bb.1610:
	s_cmp_eq_u32 s3, 15
	s_mov_b64 s[0:1], -1
	s_cbranch_scc0 .LBB30_1612
; %bb.1611:
	global_store_short v[0:1], v3, off
	s_mov_b64 s[0:1], 0
	s_mov_b64 s[10:11], -1
.LBB30_1612:
	s_mov_b64 s[16:17], 0
.LBB30_1613:
	s_and_b64 vcc, exec, s[16:17]
	s_cbranch_vccz .LBB30_1615
; %bb.1614:
	s_cmp_lg_u32 s3, 11
	s_mov_b64 s[4:5], -1
	s_cselect_b64 s[0:1], -1, 0
.LBB30_1615:
	s_and_b64 vcc, exec, s[0:1]
	s_cbranch_vccnz .LBB30_2023
; %bb.1616:
	s_andn2_b64 vcc, exec, s[4:5]
	s_cbranch_vccnz .LBB30_1618
.LBB30_1617:
	v_and_b32_e32 v8, 0x7fff, v3
	v_cmp_ne_u16_e32 vcc, 0, v8
	v_cndmask_b32_e64 v8, 0, 1, vcc
	s_mov_b64 s[10:11], -1
	global_store_byte v[0:1], v8, off
.LBB30_1618:
	s_mov_b64 s[0:1], 0
	s_branch .LBB30_1620
.LBB30_1619:
	s_mov_b64 s[0:1], -1
	s_mov_b64 s[10:11], 0
.LBB30_1620:
	s_and_b64 vcc, exec, s[0:1]
	s_cbranch_vccz .LBB30_1659
; %bb.1621:
	s_and_b32 s3, 0xffff, s20
	s_cmp_lt_i32 s3, 5
	s_mov_b64 s[0:1], -1
	s_cbranch_scc1 .LBB30_1642
; %bb.1622:
	s_cmp_lt_i32 s3, 8
	s_cbranch_scc1 .LBB30_1632
; %bb.1623:
	s_cmp_lt_i32 s3, 9
	s_cbranch_scc1 .LBB30_1629
; %bb.1624:
	s_cmp_gt_i32 s3, 9
	s_cbranch_scc0 .LBB30_1626
; %bb.1625:
	v_lshlrev_b32_e32 v8, 16, v3
	v_cvt_f64_f32_e32 v[8:9], v8
	v_mov_b32_e32 v10, 0
	v_mov_b32_e32 v11, v10
	s_mov_b64 s[0:1], 0
	global_store_dwordx4 v[0:1], v[8:11], off
.LBB30_1626:
	s_andn2_b64 vcc, exec, s[0:1]
	s_cbranch_vccnz .LBB30_1628
; %bb.1627:
	v_lshlrev_b32_e32 v8, 16, v3
	v_mov_b32_e32 v9, 0
	global_store_dwordx2 v[0:1], v[8:9], off
.LBB30_1628:
	s_mov_b64 s[0:1], 0
.LBB30_1629:
	s_andn2_b64 vcc, exec, s[0:1]
	s_cbranch_vccnz .LBB30_1631
; %bb.1630:
	v_lshlrev_b32_e32 v8, 16, v3
	v_cvt_f16_f32_e32 v8, v8
	global_store_dword v[0:1], v8, off
.LBB30_1631:
	s_mov_b64 s[0:1], 0
.LBB30_1632:
	s_andn2_b64 vcc, exec, s[0:1]
	s_cbranch_vccnz .LBB30_1641
; %bb.1633:
	s_cmp_lt_i32 s3, 6
	s_mov_b64 s[0:1], -1
	s_cbranch_scc1 .LBB30_1639
; %bb.1634:
	s_cmp_gt_i32 s3, 6
	s_cbranch_scc0 .LBB30_1636
; %bb.1635:
	v_lshlrev_b32_e32 v8, 16, v3
	v_cvt_f64_f32_e32 v[8:9], v8
	s_mov_b64 s[0:1], 0
	global_store_dwordx2 v[0:1], v[8:9], off
.LBB30_1636:
	s_andn2_b64 vcc, exec, s[0:1]
	s_cbranch_vccnz .LBB30_1638
; %bb.1637:
	v_lshlrev_b32_e32 v8, 16, v3
	global_store_dword v[0:1], v8, off
.LBB30_1638:
	s_mov_b64 s[0:1], 0
.LBB30_1639:
	s_andn2_b64 vcc, exec, s[0:1]
	s_cbranch_vccnz .LBB30_1641
; %bb.1640:
	v_lshlrev_b32_e32 v8, 16, v3
	v_cvt_f16_f32_e32 v8, v8
	global_store_short v[0:1], v8, off
.LBB30_1641:
	s_mov_b64 s[0:1], 0
.LBB30_1642:
	s_andn2_b64 vcc, exec, s[0:1]
	s_cbranch_vccnz .LBB30_1658
; %bb.1643:
	s_cmp_lt_i32 s3, 2
	s_mov_b64 s[0:1], -1
	s_cbranch_scc1 .LBB30_1653
; %bb.1644:
	s_cmp_lt_i32 s3, 3
	s_cbranch_scc1 .LBB30_1650
; %bb.1645:
	s_cmp_gt_i32 s3, 3
	s_cbranch_scc0 .LBB30_1647
; %bb.1646:
	v_lshlrev_b32_e32 v8, 16, v3
	v_trunc_f32_e32 v8, v8
	s_mov_b32 s0, 0x2f800000
	v_mul_f32_e64 v9, |v8|, s0
	v_floor_f32_e32 v9, v9
	s_mov_b32 s0, 0xcf800000
	v_cvt_u32_f32_e32 v10, v9
	v_fma_f32 v9, v9, s0, |v8|
	v_cvt_u32_f32_e32 v9, v9
	v_ashrrev_i32_e32 v11, 31, v8
	v_xor_b32_e32 v10, v10, v11
	s_mov_b64 s[0:1], 0
	v_xor_b32_e32 v8, v9, v11
	v_sub_co_u32_e32 v8, vcc, v8, v11
	v_subb_co_u32_e32 v9, vcc, v10, v11, vcc
	global_store_dwordx2 v[0:1], v[8:9], off
.LBB30_1647:
	s_andn2_b64 vcc, exec, s[0:1]
	s_cbranch_vccnz .LBB30_1649
; %bb.1648:
	v_lshlrev_b32_e32 v8, 16, v3
	v_cvt_i32_f32_e32 v8, v8
	global_store_dword v[0:1], v8, off
.LBB30_1649:
	s_mov_b64 s[0:1], 0
.LBB30_1650:
	s_andn2_b64 vcc, exec, s[0:1]
	s_cbranch_vccnz .LBB30_1652
; %bb.1651:
	v_lshlrev_b32_e32 v8, 16, v3
	v_cvt_i32_f32_e32 v8, v8
	global_store_short v[0:1], v8, off
.LBB30_1652:
	s_mov_b64 s[0:1], 0
.LBB30_1653:
	s_andn2_b64 vcc, exec, s[0:1]
	s_cbranch_vccnz .LBB30_1658
; %bb.1654:
	s_mov_b64 s[0:1], -1
	s_cmp_gt_i32 s3, 0
	v_lshlrev_b32_e32 v3, 16, v3
	s_cbranch_scc0 .LBB30_1656
; %bb.1655:
	v_cvt_i32_f32_e32 v8, v3
	s_mov_b64 s[0:1], 0
	global_store_byte v[0:1], v8, off
.LBB30_1656:
	s_andn2_b64 vcc, exec, s[0:1]
	s_cbranch_vccnz .LBB30_1658
; %bb.1657:
	v_trunc_f32_e32 v3, v3
	s_mov_b32 s0, 0x2f800000
	v_mul_f32_e64 v8, |v3|, s0
	v_floor_f32_e32 v8, v8
	s_mov_b32 s0, 0xcf800000
	v_fma_f32 v8, v8, s0, |v3|
	v_cvt_u32_f32_e32 v8, v8
	v_ashrrev_i32_e32 v3, 31, v3
	v_xor_b32_e32 v8, v8, v3
	v_sub_u32_e32 v3, v8, v3
	global_store_byte v[0:1], v3, off
.LBB30_1658:
	s_mov_b64 s[10:11], -1
.LBB30_1659:
	s_andn2_b64 vcc, exec, s[10:11]
	s_cbranch_vccnz .LBB30_1974
; %bb.1660:
	v_lshlrev_b32_e32 v0, 16, v4
	v_cmp_nle_f32_e32 vcc, v7, v0
	v_cmp_nge_f32_e64 s[0:1], s21, v0
	s_lshl_b32 s18, s2, 7
	s_or_b64 vcc, s[0:1], vcc
	v_add_u32_e32 v2, s18, v2
	v_cndmask_b32_e32 v3, 0, v4, vcc
	v_ashrrev_i32_e32 v1, 31, v2
	v_mov_b32_e32 v4, s9
	v_add_co_u32_e32 v0, vcc, s8, v2
	s_cmp_lt_i32 s20, 11
	v_addc_co_u32_e32 v1, vcc, v4, v1, vcc
	s_cbranch_scc1 .LBB30_1738
; %bb.1661:
	s_and_b32 s19, 0xffff, s20
	s_mov_b64 s[10:11], -1
	s_mov_b64 s[2:3], 0
	s_cmp_gt_i32 s19, 25
	s_mov_b64 s[4:5], 0
	s_mov_b64 s[0:1], 0
	s_cbranch_scc0 .LBB30_1694
; %bb.1662:
	s_cmp_gt_i32 s19, 28
	s_cbranch_scc0 .LBB30_1677
; %bb.1663:
	s_cmp_gt_i32 s19, 43
	;; [unrolled: 3-line block ×3, first 2 shown]
	s_cbranch_scc0 .LBB30_1667
; %bb.1665:
	s_mov_b64 s[0:1], -1
	s_mov_b64 s[10:11], 0
	s_cmp_eq_u32 s19, 46
	s_cbranch_scc0 .LBB30_1667
; %bb.1666:
	v_and_b32_e32 v4, 0xffff, v3
	global_store_dword v[0:1], v4, off
	s_mov_b64 s[0:1], 0
	s_mov_b64 s[4:5], -1
.LBB30_1667:
	s_and_b64 vcc, exec, s[10:11]
	s_cbranch_vccz .LBB30_1672
; %bb.1668:
	s_cmp_eq_u32 s19, 44
	s_mov_b64 s[0:1], -1
	s_cbranch_scc0 .LBB30_1672
; %bb.1669:
	v_and_b32_e32 v8, 0xffff, v3
	v_bfe_u32 v4, v8, 7, 8
	s_movk_i32 s0, 0xff
	v_cmp_ne_u32_e32 vcc, s0, v4
	v_mov_b32_e32 v9, 0xff
	s_and_saveexec_b64 s[4:5], vcc
	s_cbranch_execz .LBB30_1671
; %bb.1670:
	v_lshlrev_b32_e32 v10, 16, v8
	s_mov_b32 s0, 0x3f0000
	v_lshrrev_b32_e32 v9, 7, v8
	v_and_b32_e32 v8, 64, v8
	v_and_or_b32 v4, v10, s0, v4
	v_cmp_ne_u32_e32 vcc, 0, v8
	v_cmp_ne_u32_e64 s[0:1], 0, v4
	s_and_b64 s[0:1], vcc, s[0:1]
	v_cndmask_b32_e64 v4, 0, 1, s[0:1]
	v_add_u32_e32 v9, v9, v4
.LBB30_1671:
	s_or_b64 exec, exec, s[4:5]
	s_mov_b64 s[0:1], 0
	s_mov_b64 s[4:5], -1
	global_store_byte v[0:1], v9, off
.LBB30_1672:
	s_mov_b64 s[10:11], 0
.LBB30_1673:
	s_and_b64 vcc, exec, s[10:11]
	s_cbranch_vccz .LBB30_1676
; %bb.1674:
	s_cmp_eq_u32 s19, 29
	s_mov_b64 s[0:1], -1
	s_cbranch_scc0 .LBB30_1676
; %bb.1675:
	v_lshlrev_b32_e32 v4, 16, v3
	v_trunc_f32_e32 v4, v4
	v_mul_f32_e32 v8, 0x2f800000, v4
	v_floor_f32_e32 v8, v8
	v_fmac_f32_e32 v4, 0xcf800000, v8
	v_cvt_u32_f32_e32 v9, v8
	v_cvt_u32_f32_e32 v8, v4
	s_mov_b64 s[0:1], 0
	s_mov_b64 s[4:5], -1
	global_store_dwordx2 v[0:1], v[8:9], off
.LBB30_1676:
	s_mov_b64 s[10:11], 0
.LBB30_1677:
	s_and_b64 vcc, exec, s[10:11]
	s_cbranch_vccz .LBB30_1693
; %bb.1678:
	s_cmp_lt_i32 s19, 27
	s_mov_b64 s[4:5], -1
	s_cbranch_scc1 .LBB30_1684
; %bb.1679:
	s_cmp_gt_i32 s19, 27
	s_cbranch_scc0 .LBB30_1681
; %bb.1680:
	v_lshlrev_b32_e32 v4, 16, v3
	v_cvt_u32_f32_e32 v4, v4
	s_mov_b64 s[4:5], 0
	global_store_dword v[0:1], v4, off
.LBB30_1681:
	s_andn2_b64 vcc, exec, s[4:5]
	s_cbranch_vccnz .LBB30_1683
; %bb.1682:
	v_lshlrev_b32_e32 v4, 16, v3
	v_cvt_u32_f32_e32 v4, v4
	global_store_short v[0:1], v4, off
.LBB30_1683:
	s_mov_b64 s[4:5], 0
.LBB30_1684:
	s_andn2_b64 vcc, exec, s[4:5]
	s_cbranch_vccnz .LBB30_1692
; %bb.1685:
	v_lshlrev_b32_e32 v9, 16, v3
	v_and_b32_e32 v8, 0x7fffffff, v9
	s_mov_b32 s4, 0x43800000
	v_cmp_gt_u32_e32 vcc, s4, v8
	v_mov_b32_e32 v10, 0x80
	s_and_saveexec_b64 s[4:5], vcc
	s_cbranch_execz .LBB30_1691
; %bb.1686:
	s_mov_b32 s10, 0x3bffffff
	v_and_b32_e32 v4, 0xffff, v3
	v_cmp_lt_u32_e32 vcc, s10, v8
	s_mov_b64 s[10:11], 0
                                        ; implicit-def: $vgpr8
	s_and_saveexec_b64 s[16:17], vcc
	s_xor_b64 s[16:17], exec, s[16:17]
	s_cbranch_execz .LBB30_2026
; %bb.1687:
	v_bfe_u32 v8, v4, 4, 1
	s_mov_b32 s22, 0x487ffff
	v_add3_u32 v8, v9, v8, s22
	s_mov_b64 s[10:11], exec
	v_lshrrev_b32_e32 v8, 20, v8
                                        ; implicit-def: $vgpr9
	s_andn2_saveexec_b64 s[16:17], s[16:17]
	s_cbranch_execnz .LBB30_2027
.LBB30_1688:
	s_or_b64 exec, exec, s[16:17]
	v_mov_b32_e32 v10, 0
	s_and_saveexec_b64 s[16:17], s[10:11]
.LBB30_1689:
	v_lshrrev_b32_e32 v4, 8, v4
	s_movk_i32 s10, 0x80
	v_and_or_b32 v10, v4, s10, v8
.LBB30_1690:
	s_or_b64 exec, exec, s[16:17]
.LBB30_1691:
	s_or_b64 exec, exec, s[4:5]
	global_store_byte v[0:1], v10, off
.LBB30_1692:
	s_mov_b64 s[4:5], -1
.LBB30_1693:
	s_mov_b64 s[10:11], 0
.LBB30_1694:
	s_and_b64 vcc, exec, s[10:11]
	s_cbranch_vccz .LBB30_1734
; %bb.1695:
	s_cmp_gt_i32 s19, 22
	s_mov_b64 s[2:3], -1
	s_cbranch_scc0 .LBB30_1727
; %bb.1696:
	s_cmp_lt_i32 s19, 24
	s_cbranch_scc1 .LBB30_1716
; %bb.1697:
	s_cmp_gt_i32 s19, 24
	s_cbranch_scc0 .LBB30_1705
; %bb.1698:
	v_lshlrev_b32_e32 v9, 16, v3
	v_and_b32_e32 v8, 0x7fffffff, v9
	s_mov_b32 s2, 0x47800000
	v_cmp_gt_u32_e32 vcc, s2, v8
	v_mov_b32_e32 v10, 0x80
	s_and_saveexec_b64 s[2:3], vcc
	s_cbranch_execz .LBB30_1704
; %bb.1699:
	s_mov_b32 s4, 0x37ffffff
	v_and_b32_e32 v4, 0xffff, v3
	v_cmp_lt_u32_e32 vcc, s4, v8
	s_mov_b64 s[4:5], 0
                                        ; implicit-def: $vgpr8
	s_and_saveexec_b64 s[10:11], vcc
	s_xor_b64 s[10:11], exec, s[10:11]
	s_cbranch_execz .LBB30_2029
; %bb.1700:
	v_bfe_u32 v8, v4, 5, 1
	s_mov_b32 s16, 0x88fffff
	v_add3_u32 v8, v9, v8, s16
	s_mov_b64 s[4:5], exec
	v_lshrrev_b32_e32 v8, 21, v8
                                        ; implicit-def: $vgpr9
	s_andn2_saveexec_b64 s[10:11], s[10:11]
	s_cbranch_execnz .LBB30_2030
.LBB30_1701:
	s_or_b64 exec, exec, s[10:11]
	v_mov_b32_e32 v10, 0
	s_and_saveexec_b64 s[10:11], s[4:5]
.LBB30_1702:
	v_lshrrev_b32_e32 v4, 8, v4
	s_movk_i32 s4, 0x80
	v_and_or_b32 v10, v4, s4, v8
.LBB30_1703:
	s_or_b64 exec, exec, s[10:11]
.LBB30_1704:
	s_or_b64 exec, exec, s[2:3]
	s_mov_b64 s[2:3], 0
	global_store_byte v[0:1], v10, off
.LBB30_1705:
	s_and_b64 vcc, exec, s[2:3]
	s_cbranch_vccz .LBB30_1715
; %bb.1706:
	v_lshlrev_b32_e32 v9, 16, v3
	v_and_b32_e32 v10, 0x7fffffff, v9
	s_mov_b32 s2, 0x43f00000
	v_and_b32_e32 v4, 0xffff, v3
	v_cmp_gt_u32_e32 vcc, s2, v10
                                        ; implicit-def: $vgpr8
	s_and_saveexec_b64 s[2:3], vcc
	s_xor_b64 s[2:3], exec, s[2:3]
	s_cbranch_execz .LBB30_1712
; %bb.1707:
	s_mov_b32 s4, 0x3c7fffff
	v_cmp_lt_u32_e32 vcc, s4, v10
                                        ; implicit-def: $vgpr8
	s_and_saveexec_b64 s[4:5], vcc
	s_xor_b64 s[4:5], exec, s[4:5]
; %bb.1708:
	v_bfe_u32 v8, v4, 4, 1
	s_mov_b32 s10, 0x407ffff
	v_add3_u32 v8, v9, v8, s10
	v_lshrrev_b32_e32 v9, 20, v8
	v_and_b32_e32 v8, 0xff00000, v8
	s_mov_b32 s10, 0x7f00000
	v_mov_b32_e32 v10, 0x7e
	v_cmp_ne_u32_e32 vcc, s10, v8
	v_cndmask_b32_e32 v8, v10, v9, vcc
                                        ; implicit-def: $vgpr9
; %bb.1709:
	s_andn2_saveexec_b64 s[4:5], s[4:5]
; %bb.1710:
	s_mov_b32 s10, 0x46800000
	v_add_f32_e64 v8, |v9|, s10
; %bb.1711:
	s_or_b64 exec, exec, s[4:5]
                                        ; implicit-def: $vgpr10
.LBB30_1712:
	s_andn2_saveexec_b64 s[2:3], s[2:3]
; %bb.1713:
	s_mov_b32 s4, 0x7f800000
	v_mov_b32_e32 v8, 0x7e
	v_mov_b32_e32 v9, 0x7f
	v_cmp_lt_u32_e32 vcc, s4, v10
	v_cndmask_b32_e32 v8, v8, v9, vcc
; %bb.1714:
	s_or_b64 exec, exec, s[2:3]
	v_lshrrev_b32_e32 v4, 8, v4
	s_movk_i32 s2, 0x80
	v_and_or_b32 v4, v4, s2, v8
	global_store_byte v[0:1], v4, off
.LBB30_1715:
	s_mov_b64 s[2:3], 0
.LBB30_1716:
	s_andn2_b64 vcc, exec, s[2:3]
	s_cbranch_vccnz .LBB30_1726
; %bb.1717:
	v_lshlrev_b32_e32 v9, 16, v3
	v_and_b32_e32 v10, 0x7fffffff, v9
	s_mov_b32 s2, 0x47800000
	v_and_b32_e32 v4, 0xffff, v3
	v_cmp_gt_u32_e32 vcc, s2, v10
                                        ; implicit-def: $vgpr8
	s_and_saveexec_b64 s[2:3], vcc
	s_xor_b64 s[2:3], exec, s[2:3]
	s_cbranch_execz .LBB30_1723
; %bb.1718:
	s_mov_b32 s4, 0x387fffff
	v_cmp_lt_u32_e32 vcc, s4, v10
                                        ; implicit-def: $vgpr8
	s_and_saveexec_b64 s[4:5], vcc
	s_xor_b64 s[4:5], exec, s[4:5]
; %bb.1719:
	v_bfe_u32 v8, v4, 5, 1
	s_mov_b32 s10, 0x80fffff
	v_add3_u32 v8, v9, v8, s10
	v_lshrrev_b32_e32 v8, 21, v8
                                        ; implicit-def: $vgpr9
; %bb.1720:
	s_andn2_saveexec_b64 s[4:5], s[4:5]
; %bb.1721:
	s_mov_b32 s10, 0x43000000
	v_add_f32_e64 v8, |v9|, s10
; %bb.1722:
	s_or_b64 exec, exec, s[4:5]
                                        ; implicit-def: $vgpr10
.LBB30_1723:
	s_andn2_saveexec_b64 s[2:3], s[2:3]
; %bb.1724:
	s_mov_b32 s4, 0x7f800000
	v_mov_b32_e32 v8, 0x7c
	v_mov_b32_e32 v9, 0x7f
	v_cmp_lt_u32_e32 vcc, s4, v10
	v_cndmask_b32_e32 v8, v8, v9, vcc
; %bb.1725:
	s_or_b64 exec, exec, s[2:3]
	v_lshrrev_b32_e32 v4, 8, v4
	s_movk_i32 s2, 0x80
	v_and_or_b32 v4, v4, s2, v8
	global_store_byte v[0:1], v4, off
.LBB30_1726:
	s_mov_b64 s[2:3], 0
	s_mov_b64 s[4:5], -1
.LBB30_1727:
	s_andn2_b64 vcc, exec, s[2:3]
	s_mov_b64 s[2:3], 0
	s_cbranch_vccnz .LBB30_1734
; %bb.1728:
	s_cmp_gt_i32 s19, 14
	s_mov_b64 s[10:11], -1
	s_cbranch_scc0 .LBB30_1732
; %bb.1729:
	s_cmp_eq_u32 s19, 15
	s_mov_b64 s[0:1], -1
	s_cbranch_scc0 .LBB30_1731
; %bb.1730:
	global_store_short v[0:1], v3, off
	s_mov_b64 s[0:1], 0
	s_mov_b64 s[4:5], -1
.LBB30_1731:
	s_mov_b64 s[10:11], 0
.LBB30_1732:
	s_and_b64 vcc, exec, s[10:11]
	s_cbranch_vccz .LBB30_1734
; %bb.1733:
	s_cmp_lg_u32 s19, 11
	s_mov_b64 s[2:3], -1
	s_cselect_b64 s[0:1], -1, 0
.LBB30_1734:
	s_and_b64 vcc, exec, s[0:1]
	s_cbranch_vccnz .LBB30_2028
; %bb.1735:
	s_andn2_b64 vcc, exec, s[2:3]
	s_cbranch_vccnz .LBB30_1737
.LBB30_1736:
	v_and_b32_e32 v4, 0x7fff, v3
	v_cmp_ne_u16_e32 vcc, 0, v4
	v_cndmask_b32_e64 v4, 0, 1, vcc
	s_mov_b64 s[4:5], -1
	global_store_byte v[0:1], v4, off
.LBB30_1737:
	s_mov_b64 s[0:1], 0
	s_branch .LBB30_1739
.LBB30_1738:
	s_mov_b64 s[0:1], -1
	s_mov_b64 s[4:5], 0
.LBB30_1739:
	s_and_b64 vcc, exec, s[0:1]
	s_cbranch_vccz .LBB30_1778
; %bb.1740:
	s_and_b32 s2, 0xffff, s20
	s_cmp_lt_i32 s2, 5
	s_mov_b64 s[0:1], -1
	s_cbranch_scc1 .LBB30_1761
; %bb.1741:
	s_cmp_lt_i32 s2, 8
	s_cbranch_scc1 .LBB30_1751
; %bb.1742:
	s_cmp_lt_i32 s2, 9
	s_cbranch_scc1 .LBB30_1748
; %bb.1743:
	s_cmp_gt_i32 s2, 9
	s_cbranch_scc0 .LBB30_1745
; %bb.1744:
	v_lshlrev_b32_e32 v4, 16, v3
	v_cvt_f64_f32_e32 v[8:9], v4
	v_mov_b32_e32 v10, 0
	v_mov_b32_e32 v11, v10
	s_mov_b64 s[0:1], 0
	global_store_dwordx4 v[0:1], v[8:11], off
.LBB30_1745:
	s_andn2_b64 vcc, exec, s[0:1]
	s_cbranch_vccnz .LBB30_1747
; %bb.1746:
	v_lshlrev_b32_e32 v8, 16, v3
	v_mov_b32_e32 v9, 0
	global_store_dwordx2 v[0:1], v[8:9], off
.LBB30_1747:
	s_mov_b64 s[0:1], 0
.LBB30_1748:
	s_andn2_b64 vcc, exec, s[0:1]
	s_cbranch_vccnz .LBB30_1750
; %bb.1749:
	v_lshlrev_b32_e32 v4, 16, v3
	v_cvt_f16_f32_e32 v4, v4
	global_store_dword v[0:1], v4, off
.LBB30_1750:
	s_mov_b64 s[0:1], 0
.LBB30_1751:
	s_andn2_b64 vcc, exec, s[0:1]
	s_cbranch_vccnz .LBB30_1760
; %bb.1752:
	s_cmp_lt_i32 s2, 6
	s_mov_b64 s[0:1], -1
	s_cbranch_scc1 .LBB30_1758
; %bb.1753:
	s_cmp_gt_i32 s2, 6
	s_cbranch_scc0 .LBB30_1755
; %bb.1754:
	v_lshlrev_b32_e32 v4, 16, v3
	v_cvt_f64_f32_e32 v[8:9], v4
	s_mov_b64 s[0:1], 0
	global_store_dwordx2 v[0:1], v[8:9], off
.LBB30_1755:
	s_andn2_b64 vcc, exec, s[0:1]
	s_cbranch_vccnz .LBB30_1757
; %bb.1756:
	v_lshlrev_b32_e32 v4, 16, v3
	global_store_dword v[0:1], v4, off
.LBB30_1757:
	s_mov_b64 s[0:1], 0
.LBB30_1758:
	s_andn2_b64 vcc, exec, s[0:1]
	s_cbranch_vccnz .LBB30_1760
; %bb.1759:
	v_lshlrev_b32_e32 v4, 16, v3
	v_cvt_f16_f32_e32 v4, v4
	global_store_short v[0:1], v4, off
.LBB30_1760:
	s_mov_b64 s[0:1], 0
.LBB30_1761:
	s_andn2_b64 vcc, exec, s[0:1]
	s_cbranch_vccnz .LBB30_1777
; %bb.1762:
	s_cmp_lt_i32 s2, 2
	s_mov_b64 s[0:1], -1
	s_cbranch_scc1 .LBB30_1772
; %bb.1763:
	s_cmp_lt_i32 s2, 3
	s_cbranch_scc1 .LBB30_1769
; %bb.1764:
	s_cmp_gt_i32 s2, 3
	s_cbranch_scc0 .LBB30_1766
; %bb.1765:
	v_lshlrev_b32_e32 v4, 16, v3
	v_trunc_f32_e32 v4, v4
	s_mov_b32 s0, 0x2f800000
	v_mul_f32_e64 v8, |v4|, s0
	v_floor_f32_e32 v8, v8
	s_mov_b32 s0, 0xcf800000
	v_cvt_u32_f32_e32 v9, v8
	v_fma_f32 v8, v8, s0, |v4|
	v_cvt_u32_f32_e32 v8, v8
	v_ashrrev_i32_e32 v4, 31, v4
	v_xor_b32_e32 v9, v9, v4
	s_mov_b64 s[0:1], 0
	v_xor_b32_e32 v8, v8, v4
	v_sub_co_u32_e32 v8, vcc, v8, v4
	v_subb_co_u32_e32 v9, vcc, v9, v4, vcc
	global_store_dwordx2 v[0:1], v[8:9], off
.LBB30_1766:
	s_andn2_b64 vcc, exec, s[0:1]
	s_cbranch_vccnz .LBB30_1768
; %bb.1767:
	v_lshlrev_b32_e32 v4, 16, v3
	v_cvt_i32_f32_e32 v4, v4
	global_store_dword v[0:1], v4, off
.LBB30_1768:
	s_mov_b64 s[0:1], 0
.LBB30_1769:
	s_andn2_b64 vcc, exec, s[0:1]
	s_cbranch_vccnz .LBB30_1771
; %bb.1770:
	v_lshlrev_b32_e32 v4, 16, v3
	v_cvt_i32_f32_e32 v4, v4
	global_store_short v[0:1], v4, off
.LBB30_1771:
	s_mov_b64 s[0:1], 0
.LBB30_1772:
	s_andn2_b64 vcc, exec, s[0:1]
	s_cbranch_vccnz .LBB30_1777
; %bb.1773:
	s_mov_b64 s[0:1], -1
	s_cmp_gt_i32 s2, 0
	v_lshlrev_b32_e32 v3, 16, v3
	s_cbranch_scc0 .LBB30_1775
; %bb.1774:
	v_cvt_i32_f32_e32 v4, v3
	s_mov_b64 s[0:1], 0
	global_store_byte v[0:1], v4, off
.LBB30_1775:
	s_andn2_b64 vcc, exec, s[0:1]
	s_cbranch_vccnz .LBB30_1777
; %bb.1776:
	v_trunc_f32_e32 v3, v3
	s_mov_b32 s0, 0x2f800000
	v_mul_f32_e64 v4, |v3|, s0
	v_floor_f32_e32 v4, v4
	s_mov_b32 s0, 0xcf800000
	v_fma_f32 v4, v4, s0, |v3|
	v_cvt_u32_f32_e32 v4, v4
	v_ashrrev_i32_e32 v3, 31, v3
	v_xor_b32_e32 v4, v4, v3
	v_sub_u32_e32 v3, v4, v3
	global_store_byte v[0:1], v3, off
.LBB30_1777:
	s_mov_b64 s[4:5], -1
.LBB30_1778:
	s_andn2_b64 vcc, exec, s[4:5]
	s_cbranch_vccnz .LBB30_1974
; %bb.1779:
	v_lshlrev_b32_e32 v0, 16, v5
	v_cmp_nle_f32_e32 vcc, v7, v0
	v_cmp_nge_f32_e64 s[0:1], s21, v0
	s_or_b64 vcc, s[0:1], vcc
	v_add_u32_e32 v2, s18, v2
	v_cndmask_b32_e32 v3, 0, v5, vcc
	v_ashrrev_i32_e32 v1, 31, v2
	v_mov_b32_e32 v4, s9
	v_add_co_u32_e32 v0, vcc, s8, v2
	s_cmp_lt_i32 s20, 11
	v_addc_co_u32_e32 v1, vcc, v4, v1, vcc
	s_cbranch_scc1 .LBB30_1857
; %bb.1780:
	s_and_b32 s19, 0xffff, s20
	s_mov_b64 s[10:11], -1
	s_mov_b64 s[2:3], 0
	s_cmp_gt_i32 s19, 25
	s_mov_b64 s[4:5], 0
	s_mov_b64 s[0:1], 0
	s_cbranch_scc0 .LBB30_1813
; %bb.1781:
	s_cmp_gt_i32 s19, 28
	s_cbranch_scc0 .LBB30_1796
; %bb.1782:
	s_cmp_gt_i32 s19, 43
	;; [unrolled: 3-line block ×3, first 2 shown]
	s_cbranch_scc0 .LBB30_1786
; %bb.1784:
	s_mov_b64 s[0:1], -1
	s_mov_b64 s[10:11], 0
	s_cmp_eq_u32 s19, 46
	s_cbranch_scc0 .LBB30_1786
; %bb.1785:
	v_and_b32_e32 v4, 0xffff, v3
	global_store_dword v[0:1], v4, off
	s_mov_b64 s[0:1], 0
	s_mov_b64 s[4:5], -1
.LBB30_1786:
	s_and_b64 vcc, exec, s[10:11]
	s_cbranch_vccz .LBB30_1791
; %bb.1787:
	s_cmp_eq_u32 s19, 44
	s_mov_b64 s[0:1], -1
	s_cbranch_scc0 .LBB30_1791
; %bb.1788:
	v_and_b32_e32 v5, 0xffff, v3
	v_bfe_u32 v4, v5, 7, 8
	s_movk_i32 s0, 0xff
	v_cmp_ne_u32_e32 vcc, s0, v4
	v_mov_b32_e32 v8, 0xff
	s_and_saveexec_b64 s[4:5], vcc
	s_cbranch_execz .LBB30_1790
; %bb.1789:
	v_lshlrev_b32_e32 v9, 16, v5
	s_mov_b32 s0, 0x3f0000
	v_lshrrev_b32_e32 v8, 7, v5
	v_and_b32_e32 v5, 64, v5
	v_and_or_b32 v4, v9, s0, v4
	v_cmp_ne_u32_e32 vcc, 0, v5
	v_cmp_ne_u32_e64 s[0:1], 0, v4
	s_and_b64 s[0:1], vcc, s[0:1]
	v_cndmask_b32_e64 v4, 0, 1, s[0:1]
	v_add_u32_e32 v8, v8, v4
.LBB30_1790:
	s_or_b64 exec, exec, s[4:5]
	s_mov_b64 s[0:1], 0
	s_mov_b64 s[4:5], -1
	global_store_byte v[0:1], v8, off
.LBB30_1791:
	s_mov_b64 s[10:11], 0
.LBB30_1792:
	s_and_b64 vcc, exec, s[10:11]
	s_cbranch_vccz .LBB30_1795
; %bb.1793:
	s_cmp_eq_u32 s19, 29
	s_mov_b64 s[0:1], -1
	s_cbranch_scc0 .LBB30_1795
; %bb.1794:
	v_lshlrev_b32_e32 v4, 16, v3
	v_trunc_f32_e32 v4, v4
	v_mul_f32_e32 v5, 0x2f800000, v4
	v_floor_f32_e32 v8, v5
	v_fmac_f32_e32 v4, 0xcf800000, v8
	v_cvt_u32_f32_e32 v5, v8
	v_cvt_u32_f32_e32 v4, v4
	s_mov_b64 s[0:1], 0
	s_mov_b64 s[4:5], -1
	global_store_dwordx2 v[0:1], v[4:5], off
.LBB30_1795:
	s_mov_b64 s[10:11], 0
.LBB30_1796:
	s_and_b64 vcc, exec, s[10:11]
	s_cbranch_vccz .LBB30_1812
; %bb.1797:
	s_cmp_lt_i32 s19, 27
	s_mov_b64 s[4:5], -1
	s_cbranch_scc1 .LBB30_1803
; %bb.1798:
	s_cmp_gt_i32 s19, 27
	s_cbranch_scc0 .LBB30_1800
; %bb.1799:
	v_lshlrev_b32_e32 v4, 16, v3
	v_cvt_u32_f32_e32 v4, v4
	s_mov_b64 s[4:5], 0
	global_store_dword v[0:1], v4, off
.LBB30_1800:
	s_andn2_b64 vcc, exec, s[4:5]
	s_cbranch_vccnz .LBB30_1802
; %bb.1801:
	v_lshlrev_b32_e32 v4, 16, v3
	v_cvt_u32_f32_e32 v4, v4
	global_store_short v[0:1], v4, off
.LBB30_1802:
	s_mov_b64 s[4:5], 0
.LBB30_1803:
	s_andn2_b64 vcc, exec, s[4:5]
	s_cbranch_vccnz .LBB30_1811
; %bb.1804:
	v_lshlrev_b32_e32 v8, 16, v3
	v_and_b32_e32 v5, 0x7fffffff, v8
	s_mov_b32 s4, 0x43800000
	v_cmp_gt_u32_e32 vcc, s4, v5
	v_mov_b32_e32 v9, 0x80
	s_and_saveexec_b64 s[4:5], vcc
	s_cbranch_execz .LBB30_1810
; %bb.1805:
	s_mov_b32 s10, 0x3bffffff
	v_and_b32_e32 v4, 0xffff, v3
	v_cmp_lt_u32_e32 vcc, s10, v5
	s_mov_b64 s[10:11], 0
                                        ; implicit-def: $vgpr5
	s_and_saveexec_b64 s[16:17], vcc
	s_xor_b64 s[16:17], exec, s[16:17]
	s_cbranch_execz .LBB30_2031
; %bb.1806:
	v_bfe_u32 v5, v4, 4, 1
	s_mov_b32 s22, 0x487ffff
	v_add3_u32 v5, v8, v5, s22
	s_mov_b64 s[10:11], exec
	v_lshrrev_b32_e32 v5, 20, v5
                                        ; implicit-def: $vgpr8
	s_andn2_saveexec_b64 s[16:17], s[16:17]
	s_cbranch_execnz .LBB30_2032
.LBB30_1807:
	s_or_b64 exec, exec, s[16:17]
	v_mov_b32_e32 v9, 0
	s_and_saveexec_b64 s[16:17], s[10:11]
.LBB30_1808:
	v_lshrrev_b32_e32 v4, 8, v4
	s_movk_i32 s10, 0x80
	v_and_or_b32 v9, v4, s10, v5
.LBB30_1809:
	s_or_b64 exec, exec, s[16:17]
.LBB30_1810:
	s_or_b64 exec, exec, s[4:5]
	global_store_byte v[0:1], v9, off
.LBB30_1811:
	s_mov_b64 s[4:5], -1
.LBB30_1812:
	s_mov_b64 s[10:11], 0
.LBB30_1813:
	s_and_b64 vcc, exec, s[10:11]
	s_cbranch_vccz .LBB30_1853
; %bb.1814:
	s_cmp_gt_i32 s19, 22
	s_mov_b64 s[2:3], -1
	s_cbranch_scc0 .LBB30_1846
; %bb.1815:
	s_cmp_lt_i32 s19, 24
	s_cbranch_scc1 .LBB30_1835
; %bb.1816:
	s_cmp_gt_i32 s19, 24
	s_cbranch_scc0 .LBB30_1824
; %bb.1817:
	v_lshlrev_b32_e32 v8, 16, v3
	v_and_b32_e32 v5, 0x7fffffff, v8
	s_mov_b32 s2, 0x47800000
	v_cmp_gt_u32_e32 vcc, s2, v5
	v_mov_b32_e32 v9, 0x80
	s_and_saveexec_b64 s[2:3], vcc
	s_cbranch_execz .LBB30_1823
; %bb.1818:
	s_mov_b32 s4, 0x37ffffff
	v_and_b32_e32 v4, 0xffff, v3
	v_cmp_lt_u32_e32 vcc, s4, v5
	s_mov_b64 s[4:5], 0
                                        ; implicit-def: $vgpr5
	s_and_saveexec_b64 s[10:11], vcc
	s_xor_b64 s[10:11], exec, s[10:11]
	s_cbranch_execz .LBB30_2034
; %bb.1819:
	v_bfe_u32 v5, v4, 5, 1
	s_mov_b32 s16, 0x88fffff
	v_add3_u32 v5, v8, v5, s16
	s_mov_b64 s[4:5], exec
	v_lshrrev_b32_e32 v5, 21, v5
                                        ; implicit-def: $vgpr8
	s_andn2_saveexec_b64 s[10:11], s[10:11]
	s_cbranch_execnz .LBB30_2035
.LBB30_1820:
	s_or_b64 exec, exec, s[10:11]
	v_mov_b32_e32 v9, 0
	s_and_saveexec_b64 s[10:11], s[4:5]
.LBB30_1821:
	v_lshrrev_b32_e32 v4, 8, v4
	s_movk_i32 s4, 0x80
	v_and_or_b32 v9, v4, s4, v5
.LBB30_1822:
	s_or_b64 exec, exec, s[10:11]
.LBB30_1823:
	s_or_b64 exec, exec, s[2:3]
	s_mov_b64 s[2:3], 0
	global_store_byte v[0:1], v9, off
.LBB30_1824:
	s_and_b64 vcc, exec, s[2:3]
	s_cbranch_vccz .LBB30_1834
; %bb.1825:
	v_lshlrev_b32_e32 v8, 16, v3
	v_and_b32_e32 v9, 0x7fffffff, v8
	s_mov_b32 s2, 0x43f00000
	v_and_b32_e32 v4, 0xffff, v3
	v_cmp_gt_u32_e32 vcc, s2, v9
                                        ; implicit-def: $vgpr5
	s_and_saveexec_b64 s[2:3], vcc
	s_xor_b64 s[2:3], exec, s[2:3]
	s_cbranch_execz .LBB30_1831
; %bb.1826:
	s_mov_b32 s4, 0x3c7fffff
	v_cmp_lt_u32_e32 vcc, s4, v9
                                        ; implicit-def: $vgpr5
	s_and_saveexec_b64 s[4:5], vcc
	s_xor_b64 s[4:5], exec, s[4:5]
; %bb.1827:
	v_bfe_u32 v5, v4, 4, 1
	s_mov_b32 s10, 0x407ffff
	v_add3_u32 v5, v8, v5, s10
	v_lshrrev_b32_e32 v8, 20, v5
	v_and_b32_e32 v5, 0xff00000, v5
	s_mov_b32 s10, 0x7f00000
	v_mov_b32_e32 v9, 0x7e
	v_cmp_ne_u32_e32 vcc, s10, v5
	v_cndmask_b32_e32 v5, v9, v8, vcc
                                        ; implicit-def: $vgpr8
; %bb.1828:
	s_andn2_saveexec_b64 s[4:5], s[4:5]
; %bb.1829:
	s_mov_b32 s10, 0x46800000
	v_add_f32_e64 v5, |v8|, s10
; %bb.1830:
	s_or_b64 exec, exec, s[4:5]
                                        ; implicit-def: $vgpr9
.LBB30_1831:
	s_andn2_saveexec_b64 s[2:3], s[2:3]
; %bb.1832:
	s_mov_b32 s4, 0x7f800000
	v_mov_b32_e32 v5, 0x7e
	v_mov_b32_e32 v8, 0x7f
	v_cmp_lt_u32_e32 vcc, s4, v9
	v_cndmask_b32_e32 v5, v5, v8, vcc
; %bb.1833:
	s_or_b64 exec, exec, s[2:3]
	v_lshrrev_b32_e32 v4, 8, v4
	s_movk_i32 s2, 0x80
	v_and_or_b32 v4, v4, s2, v5
	global_store_byte v[0:1], v4, off
.LBB30_1834:
	s_mov_b64 s[2:3], 0
.LBB30_1835:
	s_andn2_b64 vcc, exec, s[2:3]
	s_cbranch_vccnz .LBB30_1845
; %bb.1836:
	v_lshlrev_b32_e32 v8, 16, v3
	v_and_b32_e32 v9, 0x7fffffff, v8
	s_mov_b32 s2, 0x47800000
	v_and_b32_e32 v4, 0xffff, v3
	v_cmp_gt_u32_e32 vcc, s2, v9
                                        ; implicit-def: $vgpr5
	s_and_saveexec_b64 s[2:3], vcc
	s_xor_b64 s[2:3], exec, s[2:3]
	s_cbranch_execz .LBB30_1842
; %bb.1837:
	s_mov_b32 s4, 0x387fffff
	v_cmp_lt_u32_e32 vcc, s4, v9
                                        ; implicit-def: $vgpr5
	s_and_saveexec_b64 s[4:5], vcc
	s_xor_b64 s[4:5], exec, s[4:5]
; %bb.1838:
	v_bfe_u32 v5, v4, 5, 1
	s_mov_b32 s10, 0x80fffff
	v_add3_u32 v5, v8, v5, s10
	v_lshrrev_b32_e32 v5, 21, v5
                                        ; implicit-def: $vgpr8
; %bb.1839:
	s_andn2_saveexec_b64 s[4:5], s[4:5]
; %bb.1840:
	s_mov_b32 s10, 0x43000000
	v_add_f32_e64 v5, |v8|, s10
; %bb.1841:
	s_or_b64 exec, exec, s[4:5]
                                        ; implicit-def: $vgpr9
.LBB30_1842:
	s_andn2_saveexec_b64 s[2:3], s[2:3]
; %bb.1843:
	s_mov_b32 s4, 0x7f800000
	v_mov_b32_e32 v5, 0x7c
	v_mov_b32_e32 v8, 0x7f
	v_cmp_lt_u32_e32 vcc, s4, v9
	v_cndmask_b32_e32 v5, v5, v8, vcc
; %bb.1844:
	s_or_b64 exec, exec, s[2:3]
	v_lshrrev_b32_e32 v4, 8, v4
	s_movk_i32 s2, 0x80
	v_and_or_b32 v4, v4, s2, v5
	global_store_byte v[0:1], v4, off
.LBB30_1845:
	s_mov_b64 s[2:3], 0
	s_mov_b64 s[4:5], -1
.LBB30_1846:
	s_andn2_b64 vcc, exec, s[2:3]
	s_mov_b64 s[2:3], 0
	s_cbranch_vccnz .LBB30_1853
; %bb.1847:
	s_cmp_gt_i32 s19, 14
	s_mov_b64 s[10:11], -1
	s_cbranch_scc0 .LBB30_1851
; %bb.1848:
	s_cmp_eq_u32 s19, 15
	s_mov_b64 s[0:1], -1
	s_cbranch_scc0 .LBB30_1850
; %bb.1849:
	global_store_short v[0:1], v3, off
	s_mov_b64 s[0:1], 0
	s_mov_b64 s[4:5], -1
.LBB30_1850:
	s_mov_b64 s[10:11], 0
.LBB30_1851:
	s_and_b64 vcc, exec, s[10:11]
	s_cbranch_vccz .LBB30_1853
; %bb.1852:
	s_cmp_lg_u32 s19, 11
	s_mov_b64 s[2:3], -1
	s_cselect_b64 s[0:1], -1, 0
.LBB30_1853:
	s_and_b64 vcc, exec, s[0:1]
	s_cbranch_vccnz .LBB30_2033
; %bb.1854:
	s_andn2_b64 vcc, exec, s[2:3]
	s_cbranch_vccnz .LBB30_1856
.LBB30_1855:
	v_and_b32_e32 v4, 0x7fff, v3
	v_cmp_ne_u16_e32 vcc, 0, v4
	v_cndmask_b32_e64 v4, 0, 1, vcc
	s_mov_b64 s[4:5], -1
	global_store_byte v[0:1], v4, off
.LBB30_1856:
	s_mov_b64 s[0:1], 0
	s_branch .LBB30_1858
.LBB30_1857:
	s_mov_b64 s[0:1], -1
	s_mov_b64 s[4:5], 0
.LBB30_1858:
	s_and_b64 vcc, exec, s[0:1]
	s_cbranch_vccz .LBB30_1897
; %bb.1859:
	s_and_b32 s2, 0xffff, s20
	s_cmp_lt_i32 s2, 5
	s_mov_b64 s[0:1], -1
	s_cbranch_scc1 .LBB30_1880
; %bb.1860:
	s_cmp_lt_i32 s2, 8
	s_cbranch_scc1 .LBB30_1870
; %bb.1861:
	s_cmp_lt_i32 s2, 9
	s_cbranch_scc1 .LBB30_1867
; %bb.1862:
	s_cmp_gt_i32 s2, 9
	s_cbranch_scc0 .LBB30_1864
; %bb.1863:
	v_lshlrev_b32_e32 v4, 16, v3
	v_cvt_f64_f32_e32 v[8:9], v4
	v_mov_b32_e32 v10, 0
	v_mov_b32_e32 v11, v10
	s_mov_b64 s[0:1], 0
	global_store_dwordx4 v[0:1], v[8:11], off
.LBB30_1864:
	s_andn2_b64 vcc, exec, s[0:1]
	s_cbranch_vccnz .LBB30_1866
; %bb.1865:
	v_lshlrev_b32_e32 v4, 16, v3
	v_mov_b32_e32 v5, 0
	global_store_dwordx2 v[0:1], v[4:5], off
.LBB30_1866:
	s_mov_b64 s[0:1], 0
.LBB30_1867:
	s_andn2_b64 vcc, exec, s[0:1]
	s_cbranch_vccnz .LBB30_1869
; %bb.1868:
	v_lshlrev_b32_e32 v4, 16, v3
	v_cvt_f16_f32_e32 v4, v4
	global_store_dword v[0:1], v4, off
.LBB30_1869:
	s_mov_b64 s[0:1], 0
.LBB30_1870:
	s_andn2_b64 vcc, exec, s[0:1]
	s_cbranch_vccnz .LBB30_1879
; %bb.1871:
	s_cmp_lt_i32 s2, 6
	s_mov_b64 s[0:1], -1
	s_cbranch_scc1 .LBB30_1877
; %bb.1872:
	s_cmp_gt_i32 s2, 6
	s_cbranch_scc0 .LBB30_1874
; %bb.1873:
	v_lshlrev_b32_e32 v4, 16, v3
	v_cvt_f64_f32_e32 v[4:5], v4
	s_mov_b64 s[0:1], 0
	global_store_dwordx2 v[0:1], v[4:5], off
.LBB30_1874:
	s_andn2_b64 vcc, exec, s[0:1]
	s_cbranch_vccnz .LBB30_1876
; %bb.1875:
	v_lshlrev_b32_e32 v4, 16, v3
	global_store_dword v[0:1], v4, off
.LBB30_1876:
	s_mov_b64 s[0:1], 0
.LBB30_1877:
	s_andn2_b64 vcc, exec, s[0:1]
	s_cbranch_vccnz .LBB30_1879
; %bb.1878:
	v_lshlrev_b32_e32 v4, 16, v3
	v_cvt_f16_f32_e32 v4, v4
	global_store_short v[0:1], v4, off
.LBB30_1879:
	s_mov_b64 s[0:1], 0
.LBB30_1880:
	s_andn2_b64 vcc, exec, s[0:1]
	s_cbranch_vccnz .LBB30_1896
; %bb.1881:
	s_cmp_lt_i32 s2, 2
	s_mov_b64 s[0:1], -1
	s_cbranch_scc1 .LBB30_1891
; %bb.1882:
	s_cmp_lt_i32 s2, 3
	s_cbranch_scc1 .LBB30_1888
; %bb.1883:
	s_cmp_gt_i32 s2, 3
	s_cbranch_scc0 .LBB30_1885
; %bb.1884:
	v_lshlrev_b32_e32 v4, 16, v3
	v_trunc_f32_e32 v4, v4
	s_mov_b32 s0, 0x2f800000
	v_mul_f32_e64 v5, |v4|, s0
	v_floor_f32_e32 v5, v5
	s_mov_b32 s0, 0xcf800000
	v_cvt_u32_f32_e32 v8, v5
	v_fma_f32 v5, v5, s0, |v4|
	v_cvt_u32_f32_e32 v5, v5
	v_ashrrev_i32_e32 v9, 31, v4
	v_xor_b32_e32 v8, v8, v9
	s_mov_b64 s[0:1], 0
	v_xor_b32_e32 v4, v5, v9
	v_sub_co_u32_e32 v4, vcc, v4, v9
	v_subb_co_u32_e32 v5, vcc, v8, v9, vcc
	global_store_dwordx2 v[0:1], v[4:5], off
.LBB30_1885:
	s_andn2_b64 vcc, exec, s[0:1]
	s_cbranch_vccnz .LBB30_1887
; %bb.1886:
	v_lshlrev_b32_e32 v4, 16, v3
	v_cvt_i32_f32_e32 v4, v4
	global_store_dword v[0:1], v4, off
.LBB30_1887:
	s_mov_b64 s[0:1], 0
.LBB30_1888:
	s_andn2_b64 vcc, exec, s[0:1]
	s_cbranch_vccnz .LBB30_1890
; %bb.1889:
	v_lshlrev_b32_e32 v4, 16, v3
	v_cvt_i32_f32_e32 v4, v4
	global_store_short v[0:1], v4, off
.LBB30_1890:
	s_mov_b64 s[0:1], 0
.LBB30_1891:
	s_andn2_b64 vcc, exec, s[0:1]
	s_cbranch_vccnz .LBB30_1896
; %bb.1892:
	s_mov_b64 s[0:1], -1
	s_cmp_gt_i32 s2, 0
	v_lshlrev_b32_e32 v3, 16, v3
	s_cbranch_scc0 .LBB30_1894
; %bb.1893:
	v_cvt_i32_f32_e32 v4, v3
	s_mov_b64 s[0:1], 0
	global_store_byte v[0:1], v4, off
.LBB30_1894:
	s_andn2_b64 vcc, exec, s[0:1]
	s_cbranch_vccnz .LBB30_1896
; %bb.1895:
	v_trunc_f32_e32 v3, v3
	s_mov_b32 s0, 0x2f800000
	v_mul_f32_e64 v4, |v3|, s0
	v_floor_f32_e32 v4, v4
	s_mov_b32 s0, 0xcf800000
	v_fma_f32 v4, v4, s0, |v3|
	v_cvt_u32_f32_e32 v4, v4
	v_ashrrev_i32_e32 v3, 31, v3
	v_xor_b32_e32 v4, v4, v3
	v_sub_u32_e32 v3, v4, v3
	global_store_byte v[0:1], v3, off
.LBB30_1896:
	s_mov_b64 s[4:5], -1
.LBB30_1897:
	s_andn2_b64 vcc, exec, s[4:5]
	s_cbranch_vccnz .LBB30_1974
; %bb.1898:
	v_lshlrev_b32_e32 v0, 16, v6
	v_cmp_nle_f32_e32 vcc, v7, v0
	v_cmp_nge_f32_e64 s[0:1], s21, v0
	s_or_b64 vcc, s[0:1], vcc
	v_add_u32_e32 v0, s18, v2
	v_cndmask_b32_e32 v3, 0, v6, vcc
	v_ashrrev_i32_e32 v1, 31, v0
	v_mov_b32_e32 v2, s9
	v_add_co_u32_e32 v0, vcc, s8, v0
	s_cmp_lt_i32 s20, 11
	v_addc_co_u32_e32 v1, vcc, v2, v1, vcc
	s_cbranch_scc1 .LBB30_2019
; %bb.1899:
	s_and_b32 s16, 0xffff, s20
	s_mov_b64 s[4:5], -1
	s_mov_b64 s[2:3], 0
	s_cmp_gt_i32 s16, 25
	s_mov_b64 s[0:1], 0
	s_cbranch_scc0 .LBB30_1932
; %bb.1900:
	s_cmp_gt_i32 s16, 28
	s_cbranch_scc0 .LBB30_1916
; %bb.1901:
	s_cmp_gt_i32 s16, 43
	;; [unrolled: 3-line block ×3, first 2 shown]
	s_cbranch_scc0 .LBB30_1906
; %bb.1903:
	s_cmp_eq_u32 s16, 46
	s_mov_b64 s[0:1], -1
	s_cbranch_scc0 .LBB30_1905
; %bb.1904:
	v_and_b32_e32 v2, 0xffff, v3
	global_store_dword v[0:1], v2, off
	s_mov_b64 s[0:1], 0
.LBB30_1905:
	s_mov_b64 s[4:5], 0
.LBB30_1906:
	s_and_b64 vcc, exec, s[4:5]
	s_cbranch_vccz .LBB30_1911
; %bb.1907:
	s_cmp_eq_u32 s16, 44
	s_mov_b64 s[0:1], -1
	s_cbranch_scc0 .LBB30_1911
; %bb.1908:
	v_and_b32_e32 v4, 0xffff, v3
	v_bfe_u32 v2, v4, 7, 8
	s_movk_i32 s0, 0xff
	v_cmp_ne_u32_e32 vcc, s0, v2
	v_mov_b32_e32 v5, 0xff
	s_and_saveexec_b64 s[4:5], vcc
	s_cbranch_execz .LBB30_1910
; %bb.1909:
	v_lshlrev_b32_e32 v6, 16, v4
	s_mov_b32 s0, 0x3f0000
	v_lshrrev_b32_e32 v5, 7, v4
	v_and_b32_e32 v4, 64, v4
	v_and_or_b32 v2, v6, s0, v2
	v_cmp_ne_u32_e32 vcc, 0, v4
	v_cmp_ne_u32_e64 s[0:1], 0, v2
	s_and_b64 s[0:1], vcc, s[0:1]
	v_cndmask_b32_e64 v2, 0, 1, s[0:1]
	v_add_u32_e32 v5, v5, v2
.LBB30_1910:
	s_or_b64 exec, exec, s[4:5]
	s_mov_b64 s[0:1], 0
	global_store_byte v[0:1], v5, off
.LBB30_1911:
	s_mov_b64 s[4:5], 0
.LBB30_1912:
	s_and_b64 vcc, exec, s[4:5]
	s_cbranch_vccz .LBB30_1915
; %bb.1913:
	s_cmp_eq_u32 s16, 29
	s_mov_b64 s[0:1], -1
	s_cbranch_scc0 .LBB30_1915
; %bb.1914:
	v_lshlrev_b32_e32 v2, 16, v3
	v_trunc_f32_e32 v2, v2
	v_mul_f32_e32 v4, 0x2f800000, v2
	v_floor_f32_e32 v4, v4
	v_fmac_f32_e32 v2, 0xcf800000, v4
	v_cvt_u32_f32_e32 v5, v4
	v_cvt_u32_f32_e32 v4, v2
	s_mov_b64 s[0:1], 0
	global_store_dwordx2 v[0:1], v[4:5], off
.LBB30_1915:
	s_mov_b64 s[4:5], 0
.LBB30_1916:
	s_and_b64 vcc, exec, s[4:5]
	s_cbranch_vccz .LBB30_1931
; %bb.1917:
	s_cmp_lt_i32 s16, 27
	s_mov_b64 s[4:5], -1
	s_cbranch_scc1 .LBB30_1923
; %bb.1918:
	s_cmp_gt_i32 s16, 27
	s_cbranch_scc0 .LBB30_1920
; %bb.1919:
	v_lshlrev_b32_e32 v2, 16, v3
	v_cvt_u32_f32_e32 v2, v2
	s_mov_b64 s[4:5], 0
	global_store_dword v[0:1], v2, off
.LBB30_1920:
	s_andn2_b64 vcc, exec, s[4:5]
	s_cbranch_vccnz .LBB30_1922
; %bb.1921:
	v_lshlrev_b32_e32 v2, 16, v3
	v_cvt_u32_f32_e32 v2, v2
	global_store_short v[0:1], v2, off
.LBB30_1922:
	s_mov_b64 s[4:5], 0
.LBB30_1923:
	s_andn2_b64 vcc, exec, s[4:5]
	s_cbranch_vccnz .LBB30_1931
; %bb.1924:
	v_lshlrev_b32_e32 v5, 16, v3
	v_and_b32_e32 v4, 0x7fffffff, v5
	s_mov_b32 s4, 0x43800000
	v_cmp_gt_u32_e32 vcc, s4, v4
	v_mov_b32_e32 v6, 0x80
	s_and_saveexec_b64 s[4:5], vcc
	s_cbranch_execz .LBB30_1930
; %bb.1925:
	s_mov_b32 s8, 0x3bffffff
	v_and_b32_e32 v2, 0xffff, v3
	v_cmp_lt_u32_e32 vcc, s8, v4
	s_mov_b64 s[8:9], 0
                                        ; implicit-def: $vgpr4
	s_and_saveexec_b64 s[10:11], vcc
	s_xor_b64 s[10:11], exec, s[10:11]
	s_cbranch_execz .LBB30_2036
; %bb.1926:
	v_bfe_u32 v4, v2, 4, 1
	s_mov_b32 s17, 0x487ffff
	v_add3_u32 v4, v5, v4, s17
	s_mov_b64 s[8:9], exec
	v_lshrrev_b32_e32 v4, 20, v4
                                        ; implicit-def: $vgpr5
	s_andn2_saveexec_b64 s[10:11], s[10:11]
	s_cbranch_execnz .LBB30_2037
.LBB30_1927:
	s_or_b64 exec, exec, s[10:11]
	v_mov_b32_e32 v6, 0
	s_and_saveexec_b64 s[10:11], s[8:9]
.LBB30_1928:
	v_lshrrev_b32_e32 v2, 8, v2
	s_movk_i32 s8, 0x80
	v_and_or_b32 v6, v2, s8, v4
.LBB30_1929:
	s_or_b64 exec, exec, s[10:11]
.LBB30_1930:
	s_or_b64 exec, exec, s[4:5]
	global_store_byte v[0:1], v6, off
.LBB30_1931:
	s_mov_b64 s[4:5], 0
.LBB30_1932:
	s_and_b64 vcc, exec, s[4:5]
	s_cbranch_vccz .LBB30_1972
; %bb.1933:
	s_cmp_gt_i32 s16, 22
	s_mov_b64 s[2:3], -1
	s_cbranch_scc0 .LBB30_1965
; %bb.1934:
	s_cmp_lt_i32 s16, 24
	s_cbranch_scc1 .LBB30_1954
; %bb.1935:
	s_cmp_gt_i32 s16, 24
	s_cbranch_scc0 .LBB30_1943
; %bb.1936:
	v_lshlrev_b32_e32 v5, 16, v3
	v_and_b32_e32 v4, 0x7fffffff, v5
	s_mov_b32 s2, 0x47800000
	v_cmp_gt_u32_e32 vcc, s2, v4
	v_mov_b32_e32 v6, 0x80
	s_and_saveexec_b64 s[2:3], vcc
	s_cbranch_execz .LBB30_1942
; %bb.1937:
	s_mov_b32 s4, 0x37ffffff
	v_and_b32_e32 v2, 0xffff, v3
	v_cmp_lt_u32_e32 vcc, s4, v4
	s_mov_b64 s[4:5], 0
                                        ; implicit-def: $vgpr4
	s_and_saveexec_b64 s[8:9], vcc
	s_xor_b64 s[8:9], exec, s[8:9]
	s_cbranch_execz .LBB30_2039
; %bb.1938:
	v_bfe_u32 v4, v2, 5, 1
	s_mov_b32 s10, 0x88fffff
	v_add3_u32 v4, v5, v4, s10
	s_mov_b64 s[4:5], exec
	v_lshrrev_b32_e32 v4, 21, v4
                                        ; implicit-def: $vgpr5
	s_andn2_saveexec_b64 s[8:9], s[8:9]
	s_cbranch_execnz .LBB30_2040
.LBB30_1939:
	s_or_b64 exec, exec, s[8:9]
	v_mov_b32_e32 v6, 0
	s_and_saveexec_b64 s[8:9], s[4:5]
.LBB30_1940:
	v_lshrrev_b32_e32 v2, 8, v2
	s_movk_i32 s4, 0x80
	v_and_or_b32 v6, v2, s4, v4
.LBB30_1941:
	s_or_b64 exec, exec, s[8:9]
.LBB30_1942:
	s_or_b64 exec, exec, s[2:3]
	s_mov_b64 s[2:3], 0
	global_store_byte v[0:1], v6, off
.LBB30_1943:
	s_and_b64 vcc, exec, s[2:3]
	s_cbranch_vccz .LBB30_1953
; %bb.1944:
	v_lshlrev_b32_e32 v5, 16, v3
	v_and_b32_e32 v6, 0x7fffffff, v5
	s_mov_b32 s2, 0x43f00000
	v_and_b32_e32 v2, 0xffff, v3
	v_cmp_gt_u32_e32 vcc, s2, v6
                                        ; implicit-def: $vgpr4
	s_and_saveexec_b64 s[2:3], vcc
	s_xor_b64 s[2:3], exec, s[2:3]
	s_cbranch_execz .LBB30_1950
; %bb.1945:
	s_mov_b32 s4, 0x3c7fffff
	v_cmp_lt_u32_e32 vcc, s4, v6
                                        ; implicit-def: $vgpr4
	s_and_saveexec_b64 s[4:5], vcc
	s_xor_b64 s[4:5], exec, s[4:5]
; %bb.1946:
	v_bfe_u32 v4, v2, 4, 1
	s_mov_b32 s8, 0x407ffff
	v_add3_u32 v4, v5, v4, s8
	v_lshrrev_b32_e32 v5, 20, v4
	v_and_b32_e32 v4, 0xff00000, v4
	s_mov_b32 s8, 0x7f00000
	v_mov_b32_e32 v6, 0x7e
	v_cmp_ne_u32_e32 vcc, s8, v4
	v_cndmask_b32_e32 v4, v6, v5, vcc
                                        ; implicit-def: $vgpr5
; %bb.1947:
	s_andn2_saveexec_b64 s[4:5], s[4:5]
; %bb.1948:
	s_mov_b32 s8, 0x46800000
	v_add_f32_e64 v4, |v5|, s8
; %bb.1949:
	s_or_b64 exec, exec, s[4:5]
                                        ; implicit-def: $vgpr6
.LBB30_1950:
	s_andn2_saveexec_b64 s[2:3], s[2:3]
; %bb.1951:
	s_mov_b32 s4, 0x7f800000
	v_mov_b32_e32 v4, 0x7e
	v_mov_b32_e32 v5, 0x7f
	v_cmp_lt_u32_e32 vcc, s4, v6
	v_cndmask_b32_e32 v4, v4, v5, vcc
; %bb.1952:
	s_or_b64 exec, exec, s[2:3]
	v_lshrrev_b32_e32 v2, 8, v2
	s_movk_i32 s2, 0x80
	v_and_or_b32 v2, v2, s2, v4
	global_store_byte v[0:1], v2, off
.LBB30_1953:
	s_mov_b64 s[2:3], 0
.LBB30_1954:
	s_andn2_b64 vcc, exec, s[2:3]
	s_cbranch_vccnz .LBB30_1964
; %bb.1955:
	v_lshlrev_b32_e32 v5, 16, v3
	v_and_b32_e32 v6, 0x7fffffff, v5
	s_mov_b32 s2, 0x47800000
	v_and_b32_e32 v2, 0xffff, v3
	v_cmp_gt_u32_e32 vcc, s2, v6
                                        ; implicit-def: $vgpr4
	s_and_saveexec_b64 s[2:3], vcc
	s_xor_b64 s[2:3], exec, s[2:3]
	s_cbranch_execz .LBB30_1961
; %bb.1956:
	s_mov_b32 s4, 0x387fffff
	v_cmp_lt_u32_e32 vcc, s4, v6
                                        ; implicit-def: $vgpr4
	s_and_saveexec_b64 s[4:5], vcc
	s_xor_b64 s[4:5], exec, s[4:5]
; %bb.1957:
	v_bfe_u32 v4, v2, 5, 1
	s_mov_b32 s8, 0x80fffff
	v_add3_u32 v4, v5, v4, s8
	v_lshrrev_b32_e32 v4, 21, v4
                                        ; implicit-def: $vgpr5
; %bb.1958:
	s_andn2_saveexec_b64 s[4:5], s[4:5]
; %bb.1959:
	s_mov_b32 s8, 0x43000000
	v_add_f32_e64 v4, |v5|, s8
; %bb.1960:
	s_or_b64 exec, exec, s[4:5]
                                        ; implicit-def: $vgpr6
.LBB30_1961:
	s_andn2_saveexec_b64 s[2:3], s[2:3]
; %bb.1962:
	s_mov_b32 s4, 0x7f800000
	v_mov_b32_e32 v4, 0x7c
	v_mov_b32_e32 v5, 0x7f
	v_cmp_lt_u32_e32 vcc, s4, v6
	v_cndmask_b32_e32 v4, v4, v5, vcc
; %bb.1963:
	s_or_b64 exec, exec, s[2:3]
	v_lshrrev_b32_e32 v2, 8, v2
	s_movk_i32 s2, 0x80
	v_and_or_b32 v2, v2, s2, v4
	global_store_byte v[0:1], v2, off
.LBB30_1964:
	s_mov_b64 s[2:3], 0
.LBB30_1965:
	s_andn2_b64 vcc, exec, s[2:3]
	s_mov_b64 s[2:3], 0
	s_cbranch_vccnz .LBB30_1972
; %bb.1966:
	s_cmp_gt_i32 s16, 14
	s_mov_b64 s[4:5], -1
	s_cbranch_scc0 .LBB30_1970
; %bb.1967:
	s_cmp_eq_u32 s16, 15
	s_mov_b64 s[0:1], -1
	s_cbranch_scc0 .LBB30_1969
; %bb.1968:
	global_store_short v[0:1], v3, off
	s_mov_b64 s[0:1], 0
.LBB30_1969:
	s_mov_b64 s[4:5], 0
.LBB30_1970:
	s_and_b64 vcc, exec, s[4:5]
	s_cbranch_vccz .LBB30_1972
; %bb.1971:
	s_cmp_lg_u32 s16, 11
	s_mov_b64 s[2:3], -1
	s_cselect_b64 s[0:1], -1, 0
.LBB30_1972:
	s_and_b64 vcc, exec, s[0:1]
	s_cbranch_vccnz .LBB30_2038
.LBB30_1973:
	s_mov_b64 s[0:1], 0
	s_branch .LBB30_1975
.LBB30_1974:
	s_mov_b64 s[0:1], 0
	s_mov_b64 s[2:3], 0
                                        ; implicit-def: $sgpr20
                                        ; implicit-def: $vgpr0_vgpr1
                                        ; implicit-def: $vgpr3
.LBB30_1975:
	s_and_b64 s[4:5], s[2:3], exec
	s_andn2_b64 s[2:3], s[12:13], exec
	s_and_b64 s[8:9], s[14:15], exec
	s_and_b64 s[0:1], s[0:1], exec
	s_or_b64 s[12:13], s[2:3], s[8:9]
.LBB30_1976:
	s_or_b64 exec, exec, s[6:7]
	s_and_saveexec_b64 s[2:3], s[12:13]
	s_cbranch_execz .LBB30_1979
; %bb.1977:
	; divergent unreachable
	s_or_b64 exec, exec, s[2:3]
	s_and_saveexec_b64 s[2:3], s[4:5]
	s_xor_b64 s[2:3], exec, s[2:3]
	s_cbranch_execnz .LBB30_1980
.LBB30_1978:
	s_or_b64 exec, exec, s[2:3]
	s_and_saveexec_b64 s[2:3], s[0:1]
	s_cbranch_execnz .LBB30_1981
	s_branch .LBB30_2018
.LBB30_1979:
	s_or_b64 exec, exec, s[2:3]
	s_and_saveexec_b64 s[2:3], s[4:5]
	s_xor_b64 s[2:3], exec, s[2:3]
	s_cbranch_execz .LBB30_1978
.LBB30_1980:
	s_waitcnt vmcnt(0)
	v_and_b32_e32 v2, 0x7fff, v3
	v_cmp_ne_u16_e32 vcc, 0, v2
	v_cndmask_b32_e64 v2, 0, 1, vcc
	global_store_byte v[0:1], v2, off
	s_or_b64 exec, exec, s[2:3]
	s_and_saveexec_b64 s[2:3], s[0:1]
	s_cbranch_execz .LBB30_2018
.LBB30_1981:
	s_sext_i32_i16 s2, s20
	s_cmp_lt_i32 s2, 5
	s_mov_b64 s[0:1], -1
	s_cbranch_scc1 .LBB30_2002
; %bb.1982:
	s_cmp_lt_i32 s2, 8
	s_cbranch_scc1 .LBB30_1992
; %bb.1983:
	s_cmp_lt_i32 s2, 9
	s_cbranch_scc1 .LBB30_1989
; %bb.1984:
	s_cmp_gt_i32 s2, 9
	s_cbranch_scc0 .LBB30_1986
; %bb.1985:
	s_waitcnt vmcnt(0)
	v_lshlrev_b32_e32 v2, 16, v3
	v_cvt_f64_f32_e32 v[4:5], v2
	v_mov_b32_e32 v6, 0
	v_mov_b32_e32 v7, v6
	s_mov_b64 s[0:1], 0
	global_store_dwordx4 v[0:1], v[4:7], off
.LBB30_1986:
	s_andn2_b64 vcc, exec, s[0:1]
	s_cbranch_vccnz .LBB30_1988
; %bb.1987:
	s_waitcnt vmcnt(0)
	v_lshlrev_b32_e32 v4, 16, v3
	v_mov_b32_e32 v5, 0
	global_store_dwordx2 v[0:1], v[4:5], off
.LBB30_1988:
	s_mov_b64 s[0:1], 0
.LBB30_1989:
	s_andn2_b64 vcc, exec, s[0:1]
	s_cbranch_vccnz .LBB30_1991
; %bb.1990:
	s_waitcnt vmcnt(0)
	v_lshlrev_b32_e32 v2, 16, v3
	v_cvt_f16_f32_e32 v2, v2
	global_store_dword v[0:1], v2, off
.LBB30_1991:
	s_mov_b64 s[0:1], 0
.LBB30_1992:
	s_andn2_b64 vcc, exec, s[0:1]
	s_cbranch_vccnz .LBB30_2001
; %bb.1993:
	s_sext_i32_i16 s2, s20
	s_cmp_lt_i32 s2, 6
	s_mov_b64 s[0:1], -1
	s_cbranch_scc1 .LBB30_1999
; %bb.1994:
	s_cmp_gt_i32 s2, 6
	s_cbranch_scc0 .LBB30_1996
; %bb.1995:
	s_waitcnt vmcnt(0)
	v_lshlrev_b32_e32 v2, 16, v3
	v_cvt_f64_f32_e32 v[4:5], v2
	s_mov_b64 s[0:1], 0
	global_store_dwordx2 v[0:1], v[4:5], off
.LBB30_1996:
	s_andn2_b64 vcc, exec, s[0:1]
	s_cbranch_vccnz .LBB30_1998
; %bb.1997:
	s_waitcnt vmcnt(0)
	v_lshlrev_b32_e32 v2, 16, v3
	global_store_dword v[0:1], v2, off
.LBB30_1998:
	s_mov_b64 s[0:1], 0
.LBB30_1999:
	s_andn2_b64 vcc, exec, s[0:1]
	s_cbranch_vccnz .LBB30_2001
; %bb.2000:
	s_waitcnt vmcnt(0)
	v_lshlrev_b32_e32 v2, 16, v3
	v_cvt_f16_f32_e32 v2, v2
	global_store_short v[0:1], v2, off
.LBB30_2001:
	s_mov_b64 s[0:1], 0
.LBB30_2002:
	s_andn2_b64 vcc, exec, s[0:1]
	s_cbranch_vccnz .LBB30_2018
; %bb.2003:
	s_sext_i32_i16 s2, s20
	s_cmp_lt_i32 s2, 2
	s_mov_b64 s[0:1], -1
	s_cbranch_scc1 .LBB30_2013
; %bb.2004:
	s_cmp_lt_i32 s2, 3
	s_cbranch_scc1 .LBB30_2010
; %bb.2005:
	s_cmp_gt_i32 s2, 3
	s_cbranch_scc0 .LBB30_2007
; %bb.2006:
	s_waitcnt vmcnt(0)
	v_lshlrev_b32_e32 v2, 16, v3
	v_trunc_f32_e32 v2, v2
	s_mov_b32 s0, 0x2f800000
	v_mul_f32_e64 v4, |v2|, s0
	v_floor_f32_e32 v4, v4
	s_mov_b32 s0, 0xcf800000
	v_cvt_u32_f32_e32 v5, v4
	v_fma_f32 v4, v4, s0, |v2|
	v_cvt_u32_f32_e32 v4, v4
	v_ashrrev_i32_e32 v2, 31, v2
	v_xor_b32_e32 v5, v5, v2
	s_mov_b64 s[0:1], 0
	v_xor_b32_e32 v4, v4, v2
	v_sub_co_u32_e32 v4, vcc, v4, v2
	v_subb_co_u32_e32 v5, vcc, v5, v2, vcc
	global_store_dwordx2 v[0:1], v[4:5], off
.LBB30_2007:
	s_andn2_b64 vcc, exec, s[0:1]
	s_cbranch_vccnz .LBB30_2009
; %bb.2008:
	s_waitcnt vmcnt(0)
	v_lshlrev_b32_e32 v2, 16, v3
	v_cvt_i32_f32_e32 v2, v2
	global_store_dword v[0:1], v2, off
.LBB30_2009:
	s_mov_b64 s[0:1], 0
.LBB30_2010:
	s_andn2_b64 vcc, exec, s[0:1]
	s_cbranch_vccnz .LBB30_2012
; %bb.2011:
	s_waitcnt vmcnt(0)
	v_lshlrev_b32_e32 v2, 16, v3
	v_cvt_i32_f32_e32 v2, v2
	global_store_short v[0:1], v2, off
.LBB30_2012:
	s_mov_b64 s[0:1], 0
.LBB30_2013:
	s_andn2_b64 vcc, exec, s[0:1]
	s_cbranch_vccnz .LBB30_2018
; %bb.2014:
	s_sext_i32_i16 s2, s20
	s_mov_b64 s[0:1], -1
	s_cmp_gt_i32 s2, 0
	s_waitcnt vmcnt(0)
	v_lshlrev_b32_e32 v2, 16, v3
	s_cbranch_scc0 .LBB30_2016
; %bb.2015:
	v_cvt_i32_f32_e32 v3, v2
	s_mov_b64 s[0:1], 0
	global_store_byte v[0:1], v3, off
.LBB30_2016:
	s_andn2_b64 vcc, exec, s[0:1]
	s_cbranch_vccnz .LBB30_2018
; %bb.2017:
	v_trunc_f32_e32 v2, v2
	s_mov_b32 s0, 0x2f800000
	v_mul_f32_e64 v3, |v2|, s0
	v_floor_f32_e32 v3, v3
	s_mov_b32 s0, 0xcf800000
	v_fma_f32 v3, v3, s0, |v2|
	v_cvt_u32_f32_e32 v3, v3
	v_ashrrev_i32_e32 v2, 31, v2
	v_xor_b32_e32 v3, v3, v2
	v_sub_u32_e32 v2, v3, v2
	global_store_byte v[0:1], v2, off
	s_endpgm
.LBB30_2018:
	s_endpgm
.LBB30_2019:
	s_mov_b64 s[2:3], 0
	s_mov_b64 s[0:1], -1
	s_branch .LBB30_1975
.LBB30_2020:
	s_trap 2
	s_or_b64 s[14:15], s[14:15], exec
	s_cbranch_execz .LBB30_1489
	s_branch .LBB30_1490
.LBB30_2021:
	s_andn2_saveexec_b64 s[18:19], s[18:19]
	s_cbranch_execz .LBB30_1569
.LBB30_2022:
	s_mov_b32 s22, 0x46000000
	v_add_f32_e64 v9, |v10|, s22
	v_and_b32_e32 v9, 0xff, v9
	v_cmp_ne_u32_e32 vcc, 0, v9
	s_andn2_b64 s[16:17], s[16:17], exec
	s_and_b64 s[22:23], vcc, exec
	s_or_b64 s[16:17], s[16:17], s[22:23]
	s_or_b64 exec, exec, s[18:19]
	v_mov_b32_e32 v11, 0
	s_and_saveexec_b64 s[18:19], s[16:17]
	s_cbranch_execnz .LBB30_1570
	s_branch .LBB30_1571
.LBB30_2023:
	s_trap 2
	s_or_b64 s[14:15], s[14:15], exec
	s_cbranch_execz .LBB30_1617
	s_branch .LBB30_1618
.LBB30_2024:
	s_andn2_saveexec_b64 s[16:17], s[16:17]
	s_cbranch_execz .LBB30_1582
.LBB30_2025:
	s_mov_b32 s18, 0x42800000
	v_add_f32_e64 v9, |v10|, s18
	v_and_b32_e32 v9, 0xff, v9
	v_cmp_ne_u32_e32 vcc, 0, v9
	s_andn2_b64 s[10:11], s[10:11], exec
	s_and_b64 s[18:19], vcc, exec
	s_or_b64 s[10:11], s[10:11], s[18:19]
	s_or_b64 exec, exec, s[16:17]
	v_mov_b32_e32 v11, 0
	s_and_saveexec_b64 s[16:17], s[10:11]
	s_cbranch_execnz .LBB30_1583
	s_branch .LBB30_1584
.LBB30_2026:
	s_andn2_saveexec_b64 s[16:17], s[16:17]
	s_cbranch_execz .LBB30_1688
.LBB30_2027:
	s_mov_b32 s22, 0x46000000
	v_add_f32_e64 v8, |v9|, s22
	v_and_b32_e32 v8, 0xff, v8
	v_cmp_ne_u32_e32 vcc, 0, v8
	s_andn2_b64 s[10:11], s[10:11], exec
	s_and_b64 s[22:23], vcc, exec
	s_or_b64 s[10:11], s[10:11], s[22:23]
	s_or_b64 exec, exec, s[16:17]
	v_mov_b32_e32 v10, 0
	s_and_saveexec_b64 s[16:17], s[10:11]
	s_cbranch_execnz .LBB30_1689
	s_branch .LBB30_1690
.LBB30_2028:
	s_trap 2
	s_or_b64 s[14:15], s[14:15], exec
	s_cbranch_execz .LBB30_1736
	s_branch .LBB30_1737
.LBB30_2029:
	s_andn2_saveexec_b64 s[10:11], s[10:11]
	s_cbranch_execz .LBB30_1701
.LBB30_2030:
	s_mov_b32 s16, 0x42800000
	v_add_f32_e64 v8, |v9|, s16
	v_and_b32_e32 v8, 0xff, v8
	v_cmp_ne_u32_e32 vcc, 0, v8
	s_andn2_b64 s[4:5], s[4:5], exec
	s_and_b64 s[16:17], vcc, exec
	s_or_b64 s[4:5], s[4:5], s[16:17]
	s_or_b64 exec, exec, s[10:11]
	v_mov_b32_e32 v10, 0
	s_and_saveexec_b64 s[10:11], s[4:5]
	s_cbranch_execnz .LBB30_1702
	s_branch .LBB30_1703
.LBB30_2031:
	s_andn2_saveexec_b64 s[16:17], s[16:17]
	s_cbranch_execz .LBB30_1807
.LBB30_2032:
	s_mov_b32 s22, 0x46000000
	v_add_f32_e64 v5, |v8|, s22
	v_and_b32_e32 v5, 0xff, v5
	v_cmp_ne_u32_e32 vcc, 0, v5
	s_andn2_b64 s[10:11], s[10:11], exec
	s_and_b64 s[22:23], vcc, exec
	s_or_b64 s[10:11], s[10:11], s[22:23]
	s_or_b64 exec, exec, s[16:17]
	v_mov_b32_e32 v9, 0
	s_and_saveexec_b64 s[16:17], s[10:11]
	s_cbranch_execnz .LBB30_1808
	s_branch .LBB30_1809
.LBB30_2033:
	s_trap 2
	s_or_b64 s[14:15], s[14:15], exec
	s_cbranch_execz .LBB30_1855
	s_branch .LBB30_1856
.LBB30_2034:
	s_andn2_saveexec_b64 s[10:11], s[10:11]
	s_cbranch_execz .LBB30_1820
.LBB30_2035:
	s_mov_b32 s16, 0x42800000
	v_add_f32_e64 v5, |v8|, s16
	v_and_b32_e32 v5, 0xff, v5
	v_cmp_ne_u32_e32 vcc, 0, v5
	s_andn2_b64 s[4:5], s[4:5], exec
	s_and_b64 s[16:17], vcc, exec
	s_or_b64 s[4:5], s[4:5], s[16:17]
	s_or_b64 exec, exec, s[10:11]
	v_mov_b32_e32 v9, 0
	s_and_saveexec_b64 s[10:11], s[4:5]
	s_cbranch_execnz .LBB30_1821
	s_branch .LBB30_1822
.LBB30_2036:
	s_andn2_saveexec_b64 s[10:11], s[10:11]
	s_cbranch_execz .LBB30_1927
.LBB30_2037:
	s_mov_b32 s17, 0x46000000
	v_add_f32_e64 v4, |v5|, s17
	v_and_b32_e32 v4, 0xff, v4
	v_cmp_ne_u32_e32 vcc, 0, v4
	s_andn2_b64 s[8:9], s[8:9], exec
	s_and_b64 s[18:19], vcc, exec
	s_or_b64 s[8:9], s[8:9], s[18:19]
	s_or_b64 exec, exec, s[10:11]
	v_mov_b32_e32 v6, 0
	s_and_saveexec_b64 s[10:11], s[8:9]
	s_cbranch_execnz .LBB30_1928
	s_branch .LBB30_1929
.LBB30_2038:
	s_mov_b64 s[2:3], 0
	s_or_b64 s[14:15], s[14:15], exec
	s_trap 2
	s_branch .LBB30_1973
.LBB30_2039:
	s_andn2_saveexec_b64 s[8:9], s[8:9]
	s_cbranch_execz .LBB30_1939
.LBB30_2040:
	s_mov_b32 s10, 0x42800000
	v_add_f32_e64 v4, |v5|, s10
	v_and_b32_e32 v4, 0xff, v4
	v_cmp_ne_u32_e32 vcc, 0, v4
	s_andn2_b64 s[4:5], s[4:5], exec
	s_and_b64 s[10:11], vcc, exec
	s_or_b64 s[4:5], s[4:5], s[10:11]
	s_or_b64 exec, exec, s[8:9]
	v_mov_b32_e32 v6, 0
	s_and_saveexec_b64 s[8:9], s[4:5]
	s_cbranch_execnz .LBB30_1940
	s_branch .LBB30_1941
	.section	.rodata,"a",@progbits
	.p2align	6, 0x0
	.amdhsa_kernel _ZN2at6native32elementwise_kernel_manual_unrollILi128ELi4EZNS0_15gpu_kernel_implIZZZNS0_12_GLOBAL__N_117hardshrink_kernelERNS_18TensorIteratorBaseERKN3c106ScalarEENKUlvE_clEvENKUlvE2_clEvEUlNS6_8BFloat16EE_EEvS5_RKT_EUlibE_EEviT1_
		.amdhsa_group_segment_fixed_size 0
		.amdhsa_private_segment_fixed_size 0
		.amdhsa_kernarg_size 40
		.amdhsa_user_sgpr_count 6
		.amdhsa_user_sgpr_private_segment_buffer 1
		.amdhsa_user_sgpr_dispatch_ptr 0
		.amdhsa_user_sgpr_queue_ptr 0
		.amdhsa_user_sgpr_kernarg_segment_ptr 1
		.amdhsa_user_sgpr_dispatch_id 0
		.amdhsa_user_sgpr_flat_scratch_init 0
		.amdhsa_user_sgpr_private_segment_size 0
		.amdhsa_uses_dynamic_stack 0
		.amdhsa_system_sgpr_private_segment_wavefront_offset 0
		.amdhsa_system_sgpr_workgroup_id_x 1
		.amdhsa_system_sgpr_workgroup_id_y 0
		.amdhsa_system_sgpr_workgroup_id_z 0
		.amdhsa_system_sgpr_workgroup_info 0
		.amdhsa_system_vgpr_workitem_id 0
		.amdhsa_next_free_vgpr 12
		.amdhsa_next_free_sgpr 46
		.amdhsa_reserve_vcc 1
		.amdhsa_reserve_flat_scratch 0
		.amdhsa_float_round_mode_32 0
		.amdhsa_float_round_mode_16_64 0
		.amdhsa_float_denorm_mode_32 3
		.amdhsa_float_denorm_mode_16_64 3
		.amdhsa_dx10_clamp 1
		.amdhsa_ieee_mode 1
		.amdhsa_fp16_overflow 0
		.amdhsa_exception_fp_ieee_invalid_op 0
		.amdhsa_exception_fp_denorm_src 0
		.amdhsa_exception_fp_ieee_div_zero 0
		.amdhsa_exception_fp_ieee_overflow 0
		.amdhsa_exception_fp_ieee_underflow 0
		.amdhsa_exception_fp_ieee_inexact 0
		.amdhsa_exception_int_div_zero 0
	.end_amdhsa_kernel
	.section	.text._ZN2at6native32elementwise_kernel_manual_unrollILi128ELi4EZNS0_15gpu_kernel_implIZZZNS0_12_GLOBAL__N_117hardshrink_kernelERNS_18TensorIteratorBaseERKN3c106ScalarEENKUlvE_clEvENKUlvE2_clEvEUlNS6_8BFloat16EE_EEvS5_RKT_EUlibE_EEviT1_,"axG",@progbits,_ZN2at6native32elementwise_kernel_manual_unrollILi128ELi4EZNS0_15gpu_kernel_implIZZZNS0_12_GLOBAL__N_117hardshrink_kernelERNS_18TensorIteratorBaseERKN3c106ScalarEENKUlvE_clEvENKUlvE2_clEvEUlNS6_8BFloat16EE_EEvS5_RKT_EUlibE_EEviT1_,comdat
.Lfunc_end30:
	.size	_ZN2at6native32elementwise_kernel_manual_unrollILi128ELi4EZNS0_15gpu_kernel_implIZZZNS0_12_GLOBAL__N_117hardshrink_kernelERNS_18TensorIteratorBaseERKN3c106ScalarEENKUlvE_clEvENKUlvE2_clEvEUlNS6_8BFloat16EE_EEvS5_RKT_EUlibE_EEviT1_, .Lfunc_end30-_ZN2at6native32elementwise_kernel_manual_unrollILi128ELi4EZNS0_15gpu_kernel_implIZZZNS0_12_GLOBAL__N_117hardshrink_kernelERNS_18TensorIteratorBaseERKN3c106ScalarEENKUlvE_clEvENKUlvE2_clEvEUlNS6_8BFloat16EE_EEvS5_RKT_EUlibE_EEviT1_
                                        ; -- End function
	.set _ZN2at6native32elementwise_kernel_manual_unrollILi128ELi4EZNS0_15gpu_kernel_implIZZZNS0_12_GLOBAL__N_117hardshrink_kernelERNS_18TensorIteratorBaseERKN3c106ScalarEENKUlvE_clEvENKUlvE2_clEvEUlNS6_8BFloat16EE_EEvS5_RKT_EUlibE_EEviT1_.num_vgpr, 12
	.set _ZN2at6native32elementwise_kernel_manual_unrollILi128ELi4EZNS0_15gpu_kernel_implIZZZNS0_12_GLOBAL__N_117hardshrink_kernelERNS_18TensorIteratorBaseERKN3c106ScalarEENKUlvE_clEvENKUlvE2_clEvEUlNS6_8BFloat16EE_EEvS5_RKT_EUlibE_EEviT1_.num_agpr, 0
	.set _ZN2at6native32elementwise_kernel_manual_unrollILi128ELi4EZNS0_15gpu_kernel_implIZZZNS0_12_GLOBAL__N_117hardshrink_kernelERNS_18TensorIteratorBaseERKN3c106ScalarEENKUlvE_clEvENKUlvE2_clEvEUlNS6_8BFloat16EE_EEvS5_RKT_EUlibE_EEviT1_.numbered_sgpr, 46
	.set _ZN2at6native32elementwise_kernel_manual_unrollILi128ELi4EZNS0_15gpu_kernel_implIZZZNS0_12_GLOBAL__N_117hardshrink_kernelERNS_18TensorIteratorBaseERKN3c106ScalarEENKUlvE_clEvENKUlvE2_clEvEUlNS6_8BFloat16EE_EEvS5_RKT_EUlibE_EEviT1_.num_named_barrier, 0
	.set _ZN2at6native32elementwise_kernel_manual_unrollILi128ELi4EZNS0_15gpu_kernel_implIZZZNS0_12_GLOBAL__N_117hardshrink_kernelERNS_18TensorIteratorBaseERKN3c106ScalarEENKUlvE_clEvENKUlvE2_clEvEUlNS6_8BFloat16EE_EEvS5_RKT_EUlibE_EEviT1_.private_seg_size, 0
	.set _ZN2at6native32elementwise_kernel_manual_unrollILi128ELi4EZNS0_15gpu_kernel_implIZZZNS0_12_GLOBAL__N_117hardshrink_kernelERNS_18TensorIteratorBaseERKN3c106ScalarEENKUlvE_clEvENKUlvE2_clEvEUlNS6_8BFloat16EE_EEvS5_RKT_EUlibE_EEviT1_.uses_vcc, 1
	.set _ZN2at6native32elementwise_kernel_manual_unrollILi128ELi4EZNS0_15gpu_kernel_implIZZZNS0_12_GLOBAL__N_117hardshrink_kernelERNS_18TensorIteratorBaseERKN3c106ScalarEENKUlvE_clEvENKUlvE2_clEvEUlNS6_8BFloat16EE_EEvS5_RKT_EUlibE_EEviT1_.uses_flat_scratch, 0
	.set _ZN2at6native32elementwise_kernel_manual_unrollILi128ELi4EZNS0_15gpu_kernel_implIZZZNS0_12_GLOBAL__N_117hardshrink_kernelERNS_18TensorIteratorBaseERKN3c106ScalarEENKUlvE_clEvENKUlvE2_clEvEUlNS6_8BFloat16EE_EEvS5_RKT_EUlibE_EEviT1_.has_dyn_sized_stack, 0
	.set _ZN2at6native32elementwise_kernel_manual_unrollILi128ELi4EZNS0_15gpu_kernel_implIZZZNS0_12_GLOBAL__N_117hardshrink_kernelERNS_18TensorIteratorBaseERKN3c106ScalarEENKUlvE_clEvENKUlvE2_clEvEUlNS6_8BFloat16EE_EEvS5_RKT_EUlibE_EEviT1_.has_recursion, 0
	.set _ZN2at6native32elementwise_kernel_manual_unrollILi128ELi4EZNS0_15gpu_kernel_implIZZZNS0_12_GLOBAL__N_117hardshrink_kernelERNS_18TensorIteratorBaseERKN3c106ScalarEENKUlvE_clEvENKUlvE2_clEvEUlNS6_8BFloat16EE_EEvS5_RKT_EUlibE_EEviT1_.has_indirect_call, 0
	.section	.AMDGPU.csdata,"",@progbits
; Kernel info:
; codeLenInByte = 37820
; TotalNumSgprs: 50
; NumVgprs: 12
; ScratchSize: 0
; MemoryBound: 0
; FloatMode: 240
; IeeeMode: 1
; LDSByteSize: 0 bytes/workgroup (compile time only)
; SGPRBlocks: 6
; VGPRBlocks: 2
; NumSGPRsForWavesPerEU: 50
; NumVGPRsForWavesPerEU: 12
; Occupancy: 10
; WaveLimiterHint : 0
; COMPUTE_PGM_RSRC2:SCRATCH_EN: 0
; COMPUTE_PGM_RSRC2:USER_SGPR: 6
; COMPUTE_PGM_RSRC2:TRAP_HANDLER: 0
; COMPUTE_PGM_RSRC2:TGID_X_EN: 1
; COMPUTE_PGM_RSRC2:TGID_Y_EN: 0
; COMPUTE_PGM_RSRC2:TGID_Z_EN: 0
; COMPUTE_PGM_RSRC2:TIDIG_COMP_CNT: 0
	.section	.text._ZN2at6native32elementwise_kernel_manual_unrollILi128ELi4EZNS0_15gpu_kernel_implIZZZNS0_12_GLOBAL__N_117hardshrink_kernelERNS_18TensorIteratorBaseERKN3c106ScalarEENKUlvE_clEvENKUlvE2_clEvEUlNS6_8BFloat16EE_EEvS5_RKT_EUlibE0_EEviT1_,"axG",@progbits,_ZN2at6native32elementwise_kernel_manual_unrollILi128ELi4EZNS0_15gpu_kernel_implIZZZNS0_12_GLOBAL__N_117hardshrink_kernelERNS_18TensorIteratorBaseERKN3c106ScalarEENKUlvE_clEvENKUlvE2_clEvEUlNS6_8BFloat16EE_EEvS5_RKT_EUlibE0_EEviT1_,comdat
	.globl	_ZN2at6native32elementwise_kernel_manual_unrollILi128ELi4EZNS0_15gpu_kernel_implIZZZNS0_12_GLOBAL__N_117hardshrink_kernelERNS_18TensorIteratorBaseERKN3c106ScalarEENKUlvE_clEvENKUlvE2_clEvEUlNS6_8BFloat16EE_EEvS5_RKT_EUlibE0_EEviT1_ ; -- Begin function _ZN2at6native32elementwise_kernel_manual_unrollILi128ELi4EZNS0_15gpu_kernel_implIZZZNS0_12_GLOBAL__N_117hardshrink_kernelERNS_18TensorIteratorBaseERKN3c106ScalarEENKUlvE_clEvENKUlvE2_clEvEUlNS6_8BFloat16EE_EEvS5_RKT_EUlibE0_EEviT1_
	.p2align	8
	.type	_ZN2at6native32elementwise_kernel_manual_unrollILi128ELi4EZNS0_15gpu_kernel_implIZZZNS0_12_GLOBAL__N_117hardshrink_kernelERNS_18TensorIteratorBaseERKN3c106ScalarEENKUlvE_clEvENKUlvE2_clEvEUlNS6_8BFloat16EE_EEvS5_RKT_EUlibE0_EEviT1_,@function
_ZN2at6native32elementwise_kernel_manual_unrollILi128ELi4EZNS0_15gpu_kernel_implIZZZNS0_12_GLOBAL__N_117hardshrink_kernelERNS_18TensorIteratorBaseERKN3c106ScalarEENKUlvE_clEvENKUlvE2_clEvEUlNS6_8BFloat16EE_EEvS5_RKT_EUlibE0_EEviT1_: ; @_ZN2at6native32elementwise_kernel_manual_unrollILi128ELi4EZNS0_15gpu_kernel_implIZZZNS0_12_GLOBAL__N_117hardshrink_kernelERNS_18TensorIteratorBaseERKN3c106ScalarEENKUlvE_clEvENKUlvE2_clEvEUlNS6_8BFloat16EE_EEvS5_RKT_EUlibE0_EEviT1_
; %bb.0:
	s_load_dword s70, s[4:5], 0x0
	s_load_dword s33, s[4:5], 0x8
	s_add_u32 s34, s4, 8
	s_addc_u32 s35, s5, 0
	v_lshl_or_b32 v8, s6, 9, v0
	v_or_b32_e32 v15, 0x180, v8
	s_waitcnt lgkmcnt(0)
	s_add_i32 s72, s33, -1
	s_cmp_gt_u32 s72, 1
	v_cmp_le_i32_e32 vcc, s70, v15
	s_cselect_b64 s[40:41], -1, 0
	s_mov_b64 s[6:7], 0
	s_mov_b64 s[28:29], 0
	s_and_saveexec_b64 s[0:1], vcc
	s_xor_b64 s[42:43], exec, s[0:1]
	s_cbranch_execz .LBB31_1086
; %bb.1:
	s_cmp_lg_u32 s33, 0
	s_load_dword s0, s[4:5], 0x160
	s_cselect_b64 s[50:51], -1, 0
	s_add_u32 s48, s34, 0xc4
	s_load_dwordx4 s[28:31], s[34:35], 0x4
	s_load_dwordx2 s[44:45], s[34:35], 0x14
	s_load_dword s1, s[34:35], 0x158
	s_load_dwordx4 s[36:39], s[34:35], 0xc4
	s_load_dwordx4 s[24:27], s[34:35], 0x148
	s_addc_u32 s49, s35, 0
	s_min_u32 s76, s72, 15
	s_cmp_gt_u32 s33, 1
	s_cselect_b64 s[46:47], -1, 0
	s_waitcnt lgkmcnt(0)
	s_lshl_b32 s74, s1, 16
	s_lshr_b32 s73, s0, 16
	s_lshr_b32 s75, s0, 24
	s_xor_b32 s0, s74, 0x80000000
	s_bfe_u32 s1, s0, 0x10010
	s_add_i32 s0, s0, s1
	s_addk_i32 s0, 0x7fff
	s_and_b32 s0, s0, 0xffff0000
	v_mov_b32_e32 v0, 0x7fc00000
	v_mov_b32_e32 v1, s0
	v_cmp_o_f32_e64 vcc, s74, s74
	v_cndmask_b32_e32 v4, v0, v1, vcc
	v_cmp_gt_i32_e32 vcc, s70, v8
	s_mov_b64 s[2:3], -1
	s_mov_b64 s[60:61], 0
	s_mov_b64 s[54:55], 0
	s_mov_b64 s[52:53], 0
	s_and_saveexec_b64 s[56:57], vcc
	s_cbranch_execz .LBB31_266
; %bb.2:
	s_andn2_b64 vcc, exec, s[40:41]
	s_cbranch_vccnz .LBB31_7
; %bb.3:
	s_andn2_b64 vcc, exec, s[50:51]
	s_cbranch_vccnz .LBB31_8
; %bb.4:
	s_add_i32 s59, s76, 1
	s_cmp_eq_u32 s72, 2
	s_cbranch_scc1 .LBB31_9
; %bb.5:
	s_and_b32 s58, s59, 28
	v_mov_b32_e32 v2, 0
	s_mov_b32 s62, 0
	s_mov_b64 s[52:53], s[34:35]
	s_mov_b64 s[54:55], s[48:49]
	v_mov_b32_e32 v0, 0
	v_mov_b32_e32 v1, v8
.LBB31_6:                               ; =>This Inner Loop Header: Depth=1
	s_load_dwordx8 s[16:23], s[52:53], 0x4
	s_load_dwordx4 s[0:3], s[52:53], 0x24
	s_load_dwordx8 s[8:15], s[54:55], 0x0
	s_add_u32 s52, s52, 48
	s_addc_u32 s53, s53, 0
	s_waitcnt lgkmcnt(0)
	v_mul_hi_u32 v3, s17, v1
	s_add_i32 s62, s62, 4
	s_add_u32 s54, s54, 32
	s_addc_u32 s55, s55, 0
	v_add_u32_e32 v3, v1, v3
	v_lshrrev_b32_e32 v3, s18, v3
	v_mul_lo_u32 v5, v3, s16
	v_mul_hi_u32 v6, s20, v3
	s_cmp_lg_u32 s58, s62
	v_sub_u32_e32 v1, v1, v5
	v_add_u32_e32 v5, v3, v6
	v_mul_lo_u32 v6, v1, s8
	v_mul_lo_u32 v7, v1, s9
	v_lshrrev_b32_e32 v1, s21, v5
	v_mul_lo_u32 v5, v1, s19
	v_mul_hi_u32 v9, s23, v1
	v_sub_u32_e32 v3, v3, v5
	v_add_u32_e32 v5, v1, v9
	v_lshrrev_b32_e32 v5, s0, v5
	v_mul_hi_u32 v10, s2, v5
	v_mul_lo_u32 v11, v5, s22
	v_mul_lo_u32 v9, v3, s10
	;; [unrolled: 1-line block ×3, first 2 shown]
	v_sub_u32_e32 v11, v1, v11
	v_add_u32_e32 v1, v5, v10
	v_lshrrev_b32_e32 v1, s3, v1
	v_mul_lo_u32 v10, v1, s1
	v_mul_lo_u32 v12, v11, s12
	;; [unrolled: 1-line block ×3, first 2 shown]
	v_add3_u32 v0, v6, v0, v9
	v_sub_u32_e32 v5, v5, v10
	v_mul_lo_u32 v10, v5, s14
	v_mul_lo_u32 v5, v5, s15
	v_add3_u32 v2, v7, v2, v3
	v_add3_u32 v0, v12, v0, v10
	;; [unrolled: 1-line block ×3, first 2 shown]
	s_cbranch_scc1 .LBB31_6
	s_branch .LBB31_10
.LBB31_7:
                                        ; implicit-def: $vgpr0
                                        ; implicit-def: $vgpr2
	s_branch .LBB31_14
.LBB31_8:
	v_mov_b32_e32 v0, 0
	v_mov_b32_e32 v2, 0
	s_branch .LBB31_13
.LBB31_9:
	s_mov_b32 s58, 0
	v_mov_b32_e32 v0, 0
	v_mov_b32_e32 v2, 0
	;; [unrolled: 1-line block ×3, first 2 shown]
.LBB31_10:
	s_and_b32 s8, s59, 3
	s_cmp_eq_u32 s8, 0
	s_cbranch_scc1 .LBB31_13
; %bb.11:
	s_lshl_b32 s0, s58, 3
	s_add_u32 s0, s34, s0
	s_addc_u32 s1, s35, 0
	s_add_u32 s0, s0, 0xc4
	s_addc_u32 s1, s1, 0
	s_mul_i32 s2, s58, 12
	s_add_u32 s2, s34, s2
	s_addc_u32 s3, s35, 0
.LBB31_12:                              ; =>This Inner Loop Header: Depth=1
	s_load_dwordx2 s[10:11], s[2:3], 0x4
	s_load_dword s9, s[2:3], 0xc
	s_load_dwordx2 s[12:13], s[0:1], 0x0
	s_add_u32 s2, s2, 12
	s_addc_u32 s3, s3, 0
	s_waitcnt lgkmcnt(0)
	v_mul_hi_u32 v3, s11, v1
	s_add_u32 s0, s0, 8
	s_addc_u32 s1, s1, 0
	s_add_i32 s8, s8, -1
	v_add_u32_e32 v3, v1, v3
	v_lshrrev_b32_e32 v5, s9, v3
	v_mul_lo_u32 v3, v5, s10
	s_cmp_lg_u32 s8, 0
	v_sub_u32_e32 v3, v1, v3
	v_mad_u64_u32 v[0:1], s[10:11], v3, s12, v[0:1]
	v_mad_u64_u32 v[2:3], s[10:11], v3, s13, v[2:3]
	v_mov_b32_e32 v1, v5
	s_cbranch_scc1 .LBB31_12
.LBB31_13:
	s_cbranch_execnz .LBB31_16
.LBB31_14:
	v_mul_hi_u32 v0, s29, v8
	s_andn2_b64 vcc, exec, s[46:47]
	v_add_u32_e32 v0, v8, v0
	v_lshrrev_b32_e32 v1, s30, v0
	v_mul_lo_u32 v0, v1, s28
	v_sub_u32_e32 v2, v8, v0
	v_mul_lo_u32 v0, v2, s36
	v_mul_lo_u32 v2, v2, s37
	s_cbranch_vccnz .LBB31_16
; %bb.15:
	v_mul_hi_u32 v3, s44, v1
	v_add_u32_e32 v3, v1, v3
	v_lshrrev_b32_e32 v3, s45, v3
	v_mul_lo_u32 v3, v3, s31
	v_sub_u32_e32 v3, v1, v3
	v_mad_u64_u32 v[0:1], s[0:1], v3, s38, v[0:1]
	v_mad_u64_u32 v[2:3], s[0:1], v3, s39, v[2:3]
.LBB31_16:
	v_mov_b32_e32 v3, s27
	s_and_b32 s12, 0xffff, s75
	v_add_co_u32_e32 v1, vcc, s26, v2
	s_cmp_lt_i32 s12, 11
	v_addc_co_u32_e32 v2, vcc, 0, v3, vcc
	s_cbranch_scc1 .LBB31_23
; %bb.17:
	s_cmp_gt_i32 s12, 25
	s_cbranch_scc0 .LBB31_32
; %bb.18:
	s_cmp_gt_i32 s12, 28
	s_cbranch_scc0 .LBB31_35
	;; [unrolled: 3-line block ×4, first 2 shown]
; %bb.21:
	s_cmp_eq_u32 s12, 46
	s_mov_b64 s[8:9], 0
	s_cbranch_scc0 .LBB31_41
; %bb.22:
	global_load_dword v3, v[1:2], off
	s_mov_b64 s[0:1], -1
	s_mov_b64 s[2:3], 0
	s_branch .LBB31_43
.LBB31_23:
	s_mov_b64 s[2:3], 0
                                        ; implicit-def: $vgpr3
	s_mov_b64 s[0:1], 0
	s_cbranch_execnz .LBB31_216
.LBB31_24:
	s_andn2_b64 vcc, exec, s[0:1]
	s_cbranch_vccnz .LBB31_263
.LBB31_25:
	s_waitcnt vmcnt(0)
	v_lshlrev_b32_e32 v1, 16, v3
	v_cmp_nle_f32_e32 vcc, v4, v1
	v_cmp_nge_f32_e64 s[0:1], s74, v1
	s_or_b64 vcc, s[0:1], vcc
	v_cndmask_b32_e32 v2, 0, v3, vcc
	v_mov_b32_e32 v1, s25
	s_and_b32 s14, s73, 0xff
	v_add_co_u32_e32 v0, vcc, s24, v0
	s_cmp_lt_i32 s14, 11
	v_addc_co_u32_e32 v1, vcc, 0, v1, vcc
	s_cbranch_scc1 .LBB31_33
; %bb.26:
	s_and_b32 s15, 0xffff, s14
	s_cmp_gt_i32 s15, 25
	s_cbranch_scc0 .LBB31_36
; %bb.27:
	s_cmp_gt_i32 s15, 28
	s_cbranch_scc0 .LBB31_38
; %bb.28:
	;; [unrolled: 3-line block ×4, first 2 shown]
	s_mov_b64 s[10:11], 0
	s_mov_b64 s[0:1], -1
	s_cmp_eq_u32 s15, 46
	s_mov_b64 s[8:9], 0
	s_cbranch_scc0 .LBB31_47
; %bb.31:
	v_and_b32_e32 v3, 0xffff, v2
	global_store_dword v[0:1], v3, off
	s_mov_b64 s[8:9], -1
	s_mov_b64 s[0:1], 0
	s_branch .LBB31_47
.LBB31_32:
	s_mov_b64 s[2:3], 0
	s_mov_b64 s[0:1], 0
                                        ; implicit-def: $vgpr3
	s_cbranch_execnz .LBB31_181
	s_branch .LBB31_215
.LBB31_33:
	s_mov_b64 s[0:1], 0
	s_mov_b64 s[8:9], 0
	s_cbranch_execnz .LBB31_116
.LBB31_34:
	s_andn2_b64 vcc, exec, s[8:9]
	s_cbranch_vccnz .LBB31_264
	s_branch .LBB31_154
.LBB31_35:
	s_mov_b64 s[8:9], -1
	s_mov_b64 s[2:3], 0
	s_mov_b64 s[0:1], 0
                                        ; implicit-def: $vgpr3
	s_branch .LBB31_162
.LBB31_36:
	s_mov_b64 s[10:11], -1
	s_mov_b64 s[0:1], 0
	s_mov_b64 s[8:9], 0
	s_branch .LBB31_74
.LBB31_37:
	s_mov_b64 s[8:9], -1
	s_mov_b64 s[2:3], 0
	s_mov_b64 s[0:1], 0
                                        ; implicit-def: $vgpr3
	s_branch .LBB31_157
.LBB31_38:
	s_mov_b64 s[10:11], -1
	s_mov_b64 s[0:1], 0
	s_mov_b64 s[8:9], 0
	s_branch .LBB31_57
.LBB31_39:
	s_mov_b64 s[8:9], -1
	s_mov_b64 s[2:3], 0
	s_branch .LBB31_42
.LBB31_40:
	s_mov_b64 s[10:11], -1
	s_mov_b64 s[0:1], 0
	s_mov_b64 s[8:9], 0
	s_branch .LBB31_53
.LBB31_41:
	s_mov_b64 s[2:3], -1
.LBB31_42:
	s_mov_b64 s[0:1], 0
                                        ; implicit-def: $vgpr3
.LBB31_43:
	s_and_b64 vcc, exec, s[8:9]
	s_cbranch_vccz .LBB31_156
; %bb.44:
	s_cmp_eq_u32 s12, 44
	s_cbranch_scc0 .LBB31_155
; %bb.45:
	global_load_ubyte v3, v[1:2], off
	s_movk_i32 s2, 0xff
	v_mov_b32_e32 v5, 0x7f800001
	v_mov_b32_e32 v6, 0x400000
	;; [unrolled: 1-line block ×3, first 2 shown]
	s_mov_b64 s[0:1], -1
	s_waitcnt vmcnt(0)
	v_lshlrev_b32_e32 v9, 23, v3
	v_cmp_ne_u32_e32 vcc, s2, v3
	v_cndmask_b32_e32 v5, v5, v9, vcc
	v_cmp_ne_u32_e32 vcc, 0, v3
	v_cndmask_b32_e32 v3, v6, v5, vcc
	v_add_u32_e32 v5, 0x7fff, v3
	v_cmp_o_f32_e32 vcc, v3, v3
	v_cndmask_b32_sdwa v3, v7, v5, vcc dst_sel:DWORD dst_unused:UNUSED_PAD src0_sel:DWORD src1_sel:WORD_1
	s_mov_b64 s[2:3], 0
	s_branch .LBB31_156
.LBB31_46:
	s_mov_b64 s[10:11], -1
	s_mov_b64 s[0:1], 0
	s_mov_b64 s[8:9], 0
.LBB31_47:
	s_and_b64 vcc, exec, s[10:11]
	s_cbranch_vccz .LBB31_52
; %bb.48:
	s_cmp_eq_u32 s15, 44
	s_mov_b64 s[0:1], -1
	s_cbranch_scc0 .LBB31_52
; %bb.49:
	v_and_b32_e32 v5, 0xffff, v2
	v_bfe_u32 v3, v5, 7, 8
	s_movk_i32 s0, 0xff
	v_cmp_ne_u32_e32 vcc, s0, v3
	v_mov_b32_e32 v6, 0xff
	s_and_saveexec_b64 s[8:9], vcc
	s_cbranch_execz .LBB31_51
; %bb.50:
	v_lshlrev_b32_e32 v7, 16, v5
	s_mov_b32 s0, 0x3f0000
	v_lshrrev_b32_e32 v6, 7, v5
	v_and_b32_e32 v5, 64, v5
	v_and_or_b32 v3, v7, s0, v3
	v_cmp_ne_u32_e32 vcc, 0, v5
	v_cmp_ne_u32_e64 s[0:1], 0, v3
	s_and_b64 s[0:1], vcc, s[0:1]
	v_cndmask_b32_e64 v3, 0, 1, s[0:1]
	v_add_u32_e32 v6, v6, v3
.LBB31_51:
	s_or_b64 exec, exec, s[8:9]
	s_mov_b64 s[8:9], -1
	s_mov_b64 s[0:1], 0
	global_store_byte v[0:1], v6, off
.LBB31_52:
	s_mov_b64 s[10:11], 0
.LBB31_53:
	s_and_b64 vcc, exec, s[10:11]
	s_cbranch_vccz .LBB31_56
; %bb.54:
	s_cmp_eq_u32 s15, 29
	s_mov_b64 s[0:1], -1
	s_cbranch_scc0 .LBB31_56
; %bb.55:
	v_lshlrev_b32_e32 v3, 16, v2
	v_trunc_f32_e32 v3, v3
	v_mul_f32_e32 v5, 0x2f800000, v3
	v_floor_f32_e32 v5, v5
	v_fmac_f32_e32 v3, 0xcf800000, v5
	v_cvt_u32_f32_e32 v6, v5
	v_cvt_u32_f32_e32 v5, v3
	s_mov_b64 s[8:9], -1
	s_mov_b64 s[0:1], 0
	s_mov_b64 s[10:11], 0
	global_store_dwordx2 v[0:1], v[5:6], off
	s_branch .LBB31_57
.LBB31_56:
	s_mov_b64 s[10:11], 0
.LBB31_57:
	s_and_b64 vcc, exec, s[10:11]
	s_cbranch_vccz .LBB31_73
; %bb.58:
	s_cmp_lt_i32 s15, 27
	s_mov_b64 s[8:9], -1
	s_cbranch_scc1 .LBB31_64
; %bb.59:
	s_cmp_gt_i32 s15, 27
	s_cbranch_scc0 .LBB31_61
; %bb.60:
	v_lshlrev_b32_e32 v3, 16, v2
	v_cvt_u32_f32_e32 v3, v3
	s_mov_b64 s[8:9], 0
	global_store_dword v[0:1], v3, off
.LBB31_61:
	s_andn2_b64 vcc, exec, s[8:9]
	s_cbranch_vccnz .LBB31_63
; %bb.62:
	v_lshlrev_b32_e32 v3, 16, v2
	v_cvt_u32_f32_e32 v3, v3
	global_store_short v[0:1], v3, off
.LBB31_63:
	s_mov_b64 s[8:9], 0
.LBB31_64:
	s_andn2_b64 vcc, exec, s[8:9]
	s_cbranch_vccnz .LBB31_72
; %bb.65:
	v_lshlrev_b32_e32 v6, 16, v2
	v_and_b32_e32 v5, 0x7fffffff, v6
	s_mov_b32 s8, 0x43800000
	v_cmp_gt_u32_e32 vcc, s8, v5
	v_mov_b32_e32 v7, 0x80
	s_and_saveexec_b64 s[8:9], vcc
	s_cbranch_execz .LBB31_71
; %bb.66:
	s_mov_b32 s10, 0x3bffffff
	v_and_b32_e32 v3, 0xffff, v2
	v_cmp_lt_u32_e32 vcc, s10, v5
	s_mov_b64 s[10:11], 0
                                        ; implicit-def: $vgpr5
	s_and_saveexec_b64 s[12:13], vcc
	s_xor_b64 s[12:13], exec, s[12:13]
	s_cbranch_execz .LBB31_307
; %bb.67:
	v_bfe_u32 v5, v3, 4, 1
	s_mov_b32 s16, 0x487ffff
	v_add3_u32 v5, v6, v5, s16
	s_mov_b64 s[10:11], exec
	v_lshrrev_b32_e32 v5, 20, v5
                                        ; implicit-def: $vgpr6
	s_andn2_saveexec_b64 s[12:13], s[12:13]
	s_cbranch_execnz .LBB31_308
.LBB31_68:
	s_or_b64 exec, exec, s[12:13]
	v_mov_b32_e32 v7, 0
	s_and_saveexec_b64 s[12:13], s[10:11]
.LBB31_69:
	v_lshrrev_b32_e32 v3, 8, v3
	s_movk_i32 s10, 0x80
	v_and_or_b32 v7, v3, s10, v5
.LBB31_70:
	s_or_b64 exec, exec, s[12:13]
.LBB31_71:
	s_or_b64 exec, exec, s[8:9]
	global_store_byte v[0:1], v7, off
.LBB31_72:
	s_mov_b64 s[8:9], -1
.LBB31_73:
	s_mov_b64 s[10:11], 0
.LBB31_74:
	s_and_b64 vcc, exec, s[10:11]
	s_cbranch_vccz .LBB31_115
; %bb.75:
	s_cmp_gt_i32 s15, 22
	s_mov_b64 s[10:11], -1
	s_cbranch_scc0 .LBB31_107
; %bb.76:
	s_cmp_lt_i32 s15, 24
	s_mov_b64 s[8:9], -1
	s_cbranch_scc1 .LBB31_96
; %bb.77:
	s_cmp_gt_i32 s15, 24
	s_cbranch_scc0 .LBB31_85
; %bb.78:
	v_lshlrev_b32_e32 v6, 16, v2
	v_and_b32_e32 v5, 0x7fffffff, v6
	s_mov_b32 s8, 0x47800000
	v_cmp_gt_u32_e32 vcc, s8, v5
	v_mov_b32_e32 v7, 0x80
	s_and_saveexec_b64 s[8:9], vcc
	s_cbranch_execz .LBB31_84
; %bb.79:
	s_mov_b32 s10, 0x37ffffff
	v_and_b32_e32 v3, 0xffff, v2
	v_cmp_lt_u32_e32 vcc, s10, v5
	s_mov_b64 s[10:11], 0
                                        ; implicit-def: $vgpr5
	s_and_saveexec_b64 s[12:13], vcc
	s_xor_b64 s[12:13], exec, s[12:13]
	s_cbranch_execz .LBB31_311
; %bb.80:
	v_bfe_u32 v5, v3, 5, 1
	s_mov_b32 s16, 0x88fffff
	v_add3_u32 v5, v6, v5, s16
	s_mov_b64 s[10:11], exec
	v_lshrrev_b32_e32 v5, 21, v5
                                        ; implicit-def: $vgpr6
	s_andn2_saveexec_b64 s[12:13], s[12:13]
	s_cbranch_execnz .LBB31_312
.LBB31_81:
	s_or_b64 exec, exec, s[12:13]
	v_mov_b32_e32 v7, 0
	s_and_saveexec_b64 s[12:13], s[10:11]
.LBB31_82:
	v_lshrrev_b32_e32 v3, 8, v3
	s_movk_i32 s10, 0x80
	v_and_or_b32 v7, v3, s10, v5
.LBB31_83:
	s_or_b64 exec, exec, s[12:13]
.LBB31_84:
	s_or_b64 exec, exec, s[8:9]
	s_mov_b64 s[8:9], 0
	global_store_byte v[0:1], v7, off
.LBB31_85:
	s_and_b64 vcc, exec, s[8:9]
	s_cbranch_vccz .LBB31_95
; %bb.86:
	v_lshlrev_b32_e32 v6, 16, v2
	v_and_b32_e32 v7, 0x7fffffff, v6
	s_mov_b32 s8, 0x43f00000
	v_and_b32_e32 v3, 0xffff, v2
	v_cmp_gt_u32_e32 vcc, s8, v7
                                        ; implicit-def: $vgpr5
	s_and_saveexec_b64 s[8:9], vcc
	s_xor_b64 s[8:9], exec, s[8:9]
	s_cbranch_execz .LBB31_92
; %bb.87:
	s_mov_b32 s10, 0x3c7fffff
	v_cmp_lt_u32_e32 vcc, s10, v7
                                        ; implicit-def: $vgpr5
	s_and_saveexec_b64 s[10:11], vcc
	s_xor_b64 s[10:11], exec, s[10:11]
; %bb.88:
	v_bfe_u32 v5, v3, 4, 1
	s_mov_b32 s12, 0x407ffff
	v_add3_u32 v5, v6, v5, s12
	v_lshrrev_b32_e32 v6, 20, v5
	v_and_b32_e32 v5, 0xff00000, v5
	s_mov_b32 s12, 0x7f00000
	v_mov_b32_e32 v7, 0x7e
	v_cmp_ne_u32_e32 vcc, s12, v5
	v_cndmask_b32_e32 v5, v7, v6, vcc
                                        ; implicit-def: $vgpr6
; %bb.89:
	s_andn2_saveexec_b64 s[10:11], s[10:11]
; %bb.90:
	s_mov_b32 s12, 0x46800000
	v_add_f32_e64 v5, |v6|, s12
; %bb.91:
	s_or_b64 exec, exec, s[10:11]
                                        ; implicit-def: $vgpr7
.LBB31_92:
	s_andn2_saveexec_b64 s[8:9], s[8:9]
; %bb.93:
	s_mov_b32 s10, 0x7f800000
	v_mov_b32_e32 v5, 0x7e
	v_mov_b32_e32 v6, 0x7f
	v_cmp_lt_u32_e32 vcc, s10, v7
	v_cndmask_b32_e32 v5, v5, v6, vcc
; %bb.94:
	s_or_b64 exec, exec, s[8:9]
	v_lshrrev_b32_e32 v3, 8, v3
	s_movk_i32 s8, 0x80
	v_and_or_b32 v3, v3, s8, v5
	global_store_byte v[0:1], v3, off
.LBB31_95:
	s_mov_b64 s[8:9], 0
.LBB31_96:
	s_andn2_b64 vcc, exec, s[8:9]
	s_cbranch_vccnz .LBB31_106
; %bb.97:
	v_lshlrev_b32_e32 v6, 16, v2
	v_and_b32_e32 v7, 0x7fffffff, v6
	s_mov_b32 s8, 0x47800000
	v_and_b32_e32 v3, 0xffff, v2
	v_cmp_gt_u32_e32 vcc, s8, v7
                                        ; implicit-def: $vgpr5
	s_and_saveexec_b64 s[8:9], vcc
	s_xor_b64 s[8:9], exec, s[8:9]
	s_cbranch_execz .LBB31_103
; %bb.98:
	s_mov_b32 s10, 0x387fffff
	v_cmp_lt_u32_e32 vcc, s10, v7
                                        ; implicit-def: $vgpr5
	s_and_saveexec_b64 s[10:11], vcc
	s_xor_b64 s[10:11], exec, s[10:11]
; %bb.99:
	v_bfe_u32 v5, v3, 5, 1
	s_mov_b32 s12, 0x80fffff
	v_add3_u32 v5, v6, v5, s12
	v_lshrrev_b32_e32 v5, 21, v5
                                        ; implicit-def: $vgpr6
; %bb.100:
	s_andn2_saveexec_b64 s[10:11], s[10:11]
; %bb.101:
	s_mov_b32 s12, 0x43000000
	v_add_f32_e64 v5, |v6|, s12
; %bb.102:
	s_or_b64 exec, exec, s[10:11]
                                        ; implicit-def: $vgpr7
.LBB31_103:
	s_andn2_saveexec_b64 s[8:9], s[8:9]
; %bb.104:
	s_mov_b32 s10, 0x7f800000
	v_mov_b32_e32 v5, 0x7c
	v_mov_b32_e32 v6, 0x7f
	v_cmp_lt_u32_e32 vcc, s10, v7
	v_cndmask_b32_e32 v5, v5, v6, vcc
; %bb.105:
	s_or_b64 exec, exec, s[8:9]
	v_lshrrev_b32_e32 v3, 8, v3
	s_movk_i32 s8, 0x80
	v_and_or_b32 v3, v3, s8, v5
	global_store_byte v[0:1], v3, off
.LBB31_106:
	s_mov_b64 s[10:11], 0
	s_mov_b64 s[8:9], -1
.LBB31_107:
	s_andn2_b64 vcc, exec, s[10:11]
	s_cbranch_vccnz .LBB31_115
; %bb.108:
	s_cmp_gt_i32 s15, 14
	s_mov_b64 s[10:11], -1
	s_cbranch_scc0 .LBB31_112
; %bb.109:
	s_cmp_eq_u32 s15, 15
	s_mov_b64 s[0:1], -1
	s_cbranch_scc0 .LBB31_111
; %bb.110:
	global_store_short v[0:1], v2, off
	s_mov_b64 s[8:9], -1
	s_mov_b64 s[0:1], 0
.LBB31_111:
	s_mov_b64 s[10:11], 0
.LBB31_112:
	s_and_b64 vcc, exec, s[10:11]
	s_cbranch_vccz .LBB31_115
; %bb.113:
	s_cmp_eq_u32 s15, 11
	s_mov_b64 s[0:1], -1
	s_cbranch_scc0 .LBB31_115
; %bb.114:
	v_and_b32_e32 v3, 0x7fff, v2
	v_cmp_ne_u16_e32 vcc, 0, v3
	v_cndmask_b32_e64 v3, 0, 1, vcc
	s_mov_b64 s[8:9], -1
	s_mov_b64 s[0:1], 0
	global_store_byte v[0:1], v3, off
.LBB31_115:
	s_branch .LBB31_34
.LBB31_116:
	s_and_b32 s10, 0xffff, s14
	s_cmp_lt_i32 s10, 5
	s_mov_b64 s[8:9], -1
	s_cbranch_scc1 .LBB31_137
; %bb.117:
	s_cmp_lt_i32 s10, 8
	s_cbranch_scc1 .LBB31_127
; %bb.118:
	s_cmp_lt_i32 s10, 9
	s_cbranch_scc1 .LBB31_124
; %bb.119:
	s_cmp_gt_i32 s10, 9
	s_cbranch_scc0 .LBB31_121
; %bb.120:
	v_lshlrev_b32_e32 v3, 16, v2
	v_cvt_f64_f32_e32 v[9:10], v3
	v_mov_b32_e32 v11, 0
	v_mov_b32_e32 v12, v11
	s_mov_b64 s[8:9], 0
	global_store_dwordx4 v[0:1], v[9:12], off
.LBB31_121:
	s_andn2_b64 vcc, exec, s[8:9]
	s_cbranch_vccnz .LBB31_123
; %bb.122:
	v_lshlrev_b32_e32 v5, 16, v2
	v_mov_b32_e32 v6, 0
	global_store_dwordx2 v[0:1], v[5:6], off
.LBB31_123:
	s_mov_b64 s[8:9], 0
.LBB31_124:
	s_andn2_b64 vcc, exec, s[8:9]
	s_cbranch_vccnz .LBB31_126
; %bb.125:
	v_lshlrev_b32_e32 v3, 16, v2
	v_cvt_f16_f32_e32 v3, v3
	global_store_dword v[0:1], v3, off
.LBB31_126:
	s_mov_b64 s[8:9], 0
.LBB31_127:
	s_andn2_b64 vcc, exec, s[8:9]
	s_cbranch_vccnz .LBB31_136
; %bb.128:
	s_cmp_lt_i32 s10, 6
	s_mov_b64 s[8:9], -1
	s_cbranch_scc1 .LBB31_134
; %bb.129:
	s_cmp_gt_i32 s10, 6
	s_cbranch_scc0 .LBB31_131
; %bb.130:
	v_lshlrev_b32_e32 v3, 16, v2
	v_cvt_f64_f32_e32 v[5:6], v3
	s_mov_b64 s[8:9], 0
	global_store_dwordx2 v[0:1], v[5:6], off
.LBB31_131:
	s_andn2_b64 vcc, exec, s[8:9]
	s_cbranch_vccnz .LBB31_133
; %bb.132:
	v_lshlrev_b32_e32 v3, 16, v2
	global_store_dword v[0:1], v3, off
.LBB31_133:
	s_mov_b64 s[8:9], 0
.LBB31_134:
	s_andn2_b64 vcc, exec, s[8:9]
	s_cbranch_vccnz .LBB31_136
; %bb.135:
	v_lshlrev_b32_e32 v3, 16, v2
	v_cvt_f16_f32_e32 v3, v3
	global_store_short v[0:1], v3, off
.LBB31_136:
	s_mov_b64 s[8:9], 0
.LBB31_137:
	s_andn2_b64 vcc, exec, s[8:9]
	s_cbranch_vccnz .LBB31_153
; %bb.138:
	s_cmp_lt_i32 s10, 2
	s_mov_b64 s[8:9], -1
	s_cbranch_scc1 .LBB31_148
; %bb.139:
	s_cmp_lt_i32 s10, 3
	s_cbranch_scc1 .LBB31_145
; %bb.140:
	s_cmp_gt_i32 s10, 3
	s_cbranch_scc0 .LBB31_142
; %bb.141:
	v_lshlrev_b32_e32 v3, 16, v2
	v_trunc_f32_e32 v3, v3
	s_mov_b32 s8, 0x2f800000
	v_mul_f32_e64 v5, |v3|, s8
	v_floor_f32_e32 v5, v5
	s_mov_b32 s8, 0xcf800000
	v_cvt_u32_f32_e32 v6, v5
	v_fma_f32 v5, v5, s8, |v3|
	v_cvt_u32_f32_e32 v5, v5
	v_ashrrev_i32_e32 v3, 31, v3
	v_xor_b32_e32 v6, v6, v3
	s_mov_b64 s[8:9], 0
	v_xor_b32_e32 v5, v5, v3
	v_sub_co_u32_e32 v5, vcc, v5, v3
	v_subb_co_u32_e32 v6, vcc, v6, v3, vcc
	global_store_dwordx2 v[0:1], v[5:6], off
.LBB31_142:
	s_andn2_b64 vcc, exec, s[8:9]
	s_cbranch_vccnz .LBB31_144
; %bb.143:
	v_lshlrev_b32_e32 v3, 16, v2
	v_cvt_i32_f32_e32 v3, v3
	global_store_dword v[0:1], v3, off
.LBB31_144:
	s_mov_b64 s[8:9], 0
.LBB31_145:
	s_andn2_b64 vcc, exec, s[8:9]
	s_cbranch_vccnz .LBB31_147
; %bb.146:
	v_lshlrev_b32_e32 v3, 16, v2
	v_cvt_i32_f32_e32 v3, v3
	global_store_short v[0:1], v3, off
.LBB31_147:
	s_mov_b64 s[8:9], 0
.LBB31_148:
	s_andn2_b64 vcc, exec, s[8:9]
	s_cbranch_vccnz .LBB31_153
; %bb.149:
	s_cmp_gt_i32 s10, 0
	s_mov_b64 s[8:9], -1
	s_cbranch_scc0 .LBB31_151
; %bb.150:
	v_lshlrev_b32_e32 v3, 16, v2
	v_cvt_i32_f32_e32 v3, v3
	s_mov_b64 s[8:9], 0
	global_store_byte v[0:1], v3, off
.LBB31_151:
	s_andn2_b64 vcc, exec, s[8:9]
	s_cbranch_vccnz .LBB31_153
; %bb.152:
	v_lshlrev_b32_e32 v2, 16, v2
	v_trunc_f32_e32 v2, v2
	s_mov_b32 s8, 0x2f800000
	v_mul_f32_e64 v3, |v2|, s8
	v_floor_f32_e32 v3, v3
	s_mov_b32 s8, 0xcf800000
	v_fma_f32 v3, v3, s8, |v2|
	v_cvt_u32_f32_e32 v3, v3
	v_ashrrev_i32_e32 v2, 31, v2
	v_xor_b32_e32 v3, v3, v2
	v_sub_u32_e32 v2, v3, v2
	global_store_byte v[0:1], v2, off
.LBB31_153:
.LBB31_154:
	v_add_u32_e32 v8, 0x80, v8
	s_mov_b64 s[8:9], -1
	s_branch .LBB31_265
.LBB31_155:
	s_mov_b64 s[2:3], -1
                                        ; implicit-def: $vgpr3
.LBB31_156:
	s_mov_b64 s[8:9], 0
.LBB31_157:
	s_and_b64 vcc, exec, s[8:9]
	s_cbranch_vccz .LBB31_161
; %bb.158:
	s_cmp_eq_u32 s12, 29
	s_cbranch_scc0 .LBB31_160
; %bb.159:
	global_load_dwordx2 v[5:6], v[1:2], off
	s_movk_i32 s2, 0x7fff
	s_mov_b64 s[0:1], -1
	s_mov_b64 s[8:9], 0
	s_waitcnt vmcnt(0)
	v_ffbh_u32_e32 v3, v6
	v_min_u32_e32 v3, 32, v3
	v_lshlrev_b64 v[5:6], v3, v[5:6]
	v_sub_u32_e32 v3, 32, v3
	v_min_u32_e32 v5, 1, v5
	v_or_b32_e32 v5, v6, v5
	v_cvt_f32_u32_e32 v5, v5
	v_ldexp_f32 v3, v5, v3
	v_bfe_u32 v5, v3, 16, 1
	v_add3_u32 v3, v3, v5, s2
	v_lshrrev_b32_e32 v3, 16, v3
	s_mov_b64 s[2:3], 0
	s_branch .LBB31_162
.LBB31_160:
	s_mov_b64 s[2:3], -1
                                        ; implicit-def: $vgpr3
.LBB31_161:
	s_mov_b64 s[8:9], 0
.LBB31_162:
	s_and_b64 vcc, exec, s[8:9]
	s_cbranch_vccz .LBB31_180
; %bb.163:
	s_cmp_lt_i32 s12, 27
	s_cbranch_scc1 .LBB31_166
; %bb.164:
	s_cmp_gt_i32 s12, 27
	s_cbranch_scc0 .LBB31_167
; %bb.165:
	global_load_dword v3, v[1:2], off
	s_movk_i32 s0, 0x7fff
	s_waitcnt vmcnt(0)
	v_cvt_f32_u32_e32 v3, v3
	v_bfe_u32 v5, v3, 16, 1
	v_add3_u32 v3, v3, v5, s0
	v_lshrrev_b32_e32 v3, 16, v3
	s_mov_b64 s[0:1], 0
	s_branch .LBB31_168
.LBB31_166:
	s_mov_b64 s[0:1], -1
                                        ; implicit-def: $vgpr3
	s_branch .LBB31_171
.LBB31_167:
	s_mov_b64 s[0:1], -1
                                        ; implicit-def: $vgpr3
.LBB31_168:
	s_andn2_b64 vcc, exec, s[0:1]
	s_cbranch_vccnz .LBB31_170
; %bb.169:
	global_load_ushort v3, v[1:2], off
	s_movk_i32 s0, 0x7fff
	s_waitcnt vmcnt(0)
	v_cvt_f32_u32_e32 v3, v3
	v_bfe_u32 v5, v3, 16, 1
	v_add3_u32 v3, v3, v5, s0
	v_lshrrev_b32_e32 v3, 16, v3
.LBB31_170:
	s_mov_b64 s[0:1], 0
.LBB31_171:
	s_andn2_b64 vcc, exec, s[0:1]
	s_cbranch_vccnz .LBB31_179
; %bb.172:
	global_load_ubyte v3, v[1:2], off
	s_movk_i32 s0, 0x7f
	s_waitcnt vmcnt(0)
	v_cmp_lt_i16_e32 vcc, s0, v3
	s_mov_b64 s[0:1], 0
	s_and_saveexec_b64 s[8:9], vcc
	s_xor_b64 s[8:9], exec, s[8:9]
	s_cbranch_execz .LBB31_192
; %bb.173:
	s_movk_i32 s0, 0x80
	v_cmp_eq_u16_e32 vcc, s0, v3
	s_mov_b64 s[0:1], -1
	s_and_saveexec_b64 s[10:11], vcc
; %bb.174:
	s_xor_b64 s[0:1], exec, -1
; %bb.175:
	s_or_b64 exec, exec, s[10:11]
	s_and_b64 s[0:1], s[0:1], exec
	s_or_saveexec_b64 s[8:9], s[8:9]
	v_mov_b32_e32 v5, 0x7f800001
	s_xor_b64 exec, exec, s[8:9]
	s_cbranch_execnz .LBB31_193
.LBB31_176:
	s_or_b64 exec, exec, s[8:9]
	s_and_saveexec_b64 s[8:9], s[0:1]
	s_cbranch_execz .LBB31_178
.LBB31_177:
	v_lshlrev_b32_e32 v5, 24, v3
	v_and_b32_e32 v3, 0xffff, v3
	v_and_b32_e32 v6, 7, v3
	v_ffbh_u32_e32 v9, v6
	v_min_u32_e32 v9, 32, v9
	v_subrev_u32_e32 v10, 28, v9
	v_bfe_u32 v7, v3, 3, 4
	v_lshlrev_b32_e32 v3, v10, v3
	v_sub_u32_e32 v9, 29, v9
	v_and_b32_e32 v3, 7, v3
	v_cmp_eq_u32_e32 vcc, 0, v7
	v_cndmask_b32_e32 v7, v7, v9, vcc
	v_cndmask_b32_e32 v3, v6, v3, vcc
	v_mov_b32_e32 v6, 0x3b800000
	v_lshlrev_b32_e32 v3, 20, v3
	v_and_b32_e32 v5, 0x80000000, v5
	v_lshl_add_u32 v6, v7, 23, v6
	v_or3_b32 v5, v5, v6, v3
.LBB31_178:
	s_or_b64 exec, exec, s[8:9]
	v_bfe_u32 v3, v5, 16, 1
	s_movk_i32 s0, 0x7fff
	v_add3_u32 v3, v5, v3, s0
	v_cmp_o_f32_e32 vcc, v5, v5
	v_mov_b32_e32 v5, 0x7fc0
	v_cndmask_b32_sdwa v3, v5, v3, vcc dst_sel:DWORD dst_unused:UNUSED_PAD src0_sel:DWORD src1_sel:WORD_1
.LBB31_179:
	s_mov_b64 s[0:1], -1
.LBB31_180:
	s_branch .LBB31_215
.LBB31_181:
	s_cmp_gt_i32 s12, 22
	s_cbranch_scc0 .LBB31_191
; %bb.182:
	s_cmp_lt_i32 s12, 24
	s_cbranch_scc1 .LBB31_194
; %bb.183:
	s_cmp_gt_i32 s12, 24
	s_cbranch_scc0 .LBB31_195
; %bb.184:
	global_load_ubyte v3, v[1:2], off
	s_movk_i32 s0, 0x7f
	s_waitcnt vmcnt(0)
	v_cmp_lt_i16_e32 vcc, s0, v3
	s_mov_b64 s[0:1], 0
	s_and_saveexec_b64 s[8:9], vcc
	s_xor_b64 s[8:9], exec, s[8:9]
	s_cbranch_execz .LBB31_207
; %bb.185:
	s_movk_i32 s0, 0x80
	v_cmp_eq_u16_e32 vcc, s0, v3
	s_mov_b64 s[0:1], -1
	s_and_saveexec_b64 s[10:11], vcc
; %bb.186:
	s_xor_b64 s[0:1], exec, -1
; %bb.187:
	s_or_b64 exec, exec, s[10:11]
	s_and_b64 s[0:1], s[0:1], exec
	s_or_saveexec_b64 s[8:9], s[8:9]
	v_mov_b32_e32 v5, 0x7f800001
	s_xor_b64 exec, exec, s[8:9]
	s_cbranch_execnz .LBB31_208
.LBB31_188:
	s_or_b64 exec, exec, s[8:9]
	s_and_saveexec_b64 s[8:9], s[0:1]
	s_cbranch_execz .LBB31_190
.LBB31_189:
	v_lshlrev_b32_e32 v5, 24, v3
	v_and_b32_e32 v3, 0xffff, v3
	v_and_b32_e32 v6, 3, v3
	v_ffbh_u32_e32 v9, v6
	v_min_u32_e32 v9, 32, v9
	v_subrev_u32_e32 v10, 29, v9
	v_bfe_u32 v7, v3, 2, 5
	v_lshlrev_b32_e32 v3, v10, v3
	v_sub_u32_e32 v9, 30, v9
	v_and_b32_e32 v3, 3, v3
	v_cmp_eq_u32_e32 vcc, 0, v7
	v_cndmask_b32_e32 v7, v7, v9, vcc
	v_cndmask_b32_e32 v3, v6, v3, vcc
	v_mov_b32_e32 v6, 0x37800000
	v_lshlrev_b32_e32 v3, 21, v3
	v_and_b32_e32 v5, 0x80000000, v5
	v_lshl_add_u32 v6, v7, 23, v6
	v_or3_b32 v5, v5, v6, v3
.LBB31_190:
	s_or_b64 exec, exec, s[8:9]
	v_bfe_u32 v3, v5, 16, 1
	s_movk_i32 s0, 0x7fff
	v_add3_u32 v3, v5, v3, s0
	v_cmp_o_f32_e32 vcc, v5, v5
	v_mov_b32_e32 v5, 0x7fc0
	v_cndmask_b32_sdwa v3, v5, v3, vcc dst_sel:DWORD dst_unused:UNUSED_PAD src0_sel:DWORD src1_sel:WORD_1
	s_mov_b64 s[0:1], 0
	s_branch .LBB31_196
.LBB31_191:
	s_mov_b64 s[8:9], -1
                                        ; implicit-def: $vgpr3
	s_branch .LBB31_202
.LBB31_192:
	s_or_saveexec_b64 s[8:9], s[8:9]
	v_mov_b32_e32 v5, 0x7f800001
	s_xor_b64 exec, exec, s[8:9]
	s_cbranch_execz .LBB31_176
.LBB31_193:
	v_cmp_ne_u16_e32 vcc, 0, v3
	s_andn2_b64 s[0:1], s[0:1], exec
	s_and_b64 s[10:11], vcc, exec
	v_mov_b32_e32 v5, 0
	s_or_b64 s[0:1], s[0:1], s[10:11]
	s_or_b64 exec, exec, s[8:9]
	s_and_saveexec_b64 s[8:9], s[0:1]
	s_cbranch_execnz .LBB31_177
	s_branch .LBB31_178
.LBB31_194:
	s_mov_b64 s[0:1], -1
                                        ; implicit-def: $vgpr3
	s_branch .LBB31_199
.LBB31_195:
	s_mov_b64 s[0:1], -1
                                        ; implicit-def: $vgpr3
.LBB31_196:
	s_and_b64 vcc, exec, s[0:1]
	s_cbranch_vccz .LBB31_198
; %bb.197:
	global_load_ubyte v3, v[1:2], off
	s_mov_b32 s0, 0x7f800000
	s_brev_b32 s1, 1
	s_movk_i32 s8, 0x7fff
	s_waitcnt vmcnt(0)
	v_lshlrev_b32_e32 v3, 24, v3
	v_and_b32_e32 v5, 0x7f000000, v3
	v_ffbh_u32_e32 v6, v5
	v_min_u32_e32 v6, 32, v6
	v_sub_u32_e64 v6, v6, 4 clamp
	v_lshlrev_b32_e32 v9, v6, v5
	v_lshlrev_b32_e32 v6, 23, v6
	v_lshrrev_b32_e32 v9, 4, v9
	v_add_u32_e32 v7, 0x1000000, v5
	v_sub_u32_e32 v6, v9, v6
	v_ashrrev_i32_e32 v7, 8, v7
	v_add_u32_e32 v6, 0x3c000000, v6
	v_and_or_b32 v6, v7, s0, v6
	v_cmp_ne_u32_e32 vcc, 0, v5
	v_cndmask_b32_e32 v5, 0, v6, vcc
	v_and_or_b32 v3, v3, s1, v5
	v_bfe_u32 v5, v5, 16, 1
	v_add3_u32 v5, v3, v5, s8
	v_cmp_o_f32_e32 vcc, v3, v3
	v_mov_b32_e32 v3, 0x7fc0
	v_cndmask_b32_sdwa v3, v3, v5, vcc dst_sel:DWORD dst_unused:UNUSED_PAD src0_sel:DWORD src1_sel:WORD_1
.LBB31_198:
	s_mov_b64 s[0:1], 0
.LBB31_199:
	s_andn2_b64 vcc, exec, s[0:1]
	s_cbranch_vccnz .LBB31_201
; %bb.200:
	global_load_ubyte v3, v[1:2], off
	s_movk_i32 s0, 0x7f00
	s_brev_b32 s1, 16
	s_brev_b32 s8, 1
	s_movk_i32 s9, 0x7fff
	s_waitcnt vmcnt(0)
	v_lshlrev_b16_e32 v5, 8, v3
	v_lshlrev_b32_e32 v3, 25, v3
	v_lshrrev_b32_e32 v6, 4, v3
	v_and_or_b32 v7, v5, s0, 0.5
	v_or_b32_e32 v6, 0x70000000, v6
	v_add_f32_e32 v7, -0.5, v7
	v_mul_f32_e32 v6, 0x7800000, v6
	v_cmp_gt_u32_e32 vcc, s1, v3
	v_bfe_i32 v5, v5, 0, 16
	v_cndmask_b32_e32 v3, v6, v7, vcc
	v_and_or_b32 v5, v5, s8, v3
	v_bfe_u32 v3, v3, 16, 1
	v_add3_u32 v3, v5, v3, s9
	v_cmp_o_f32_e32 vcc, v5, v5
	v_mov_b32_e32 v5, 0x7fc0
	v_cndmask_b32_sdwa v3, v5, v3, vcc dst_sel:DWORD dst_unused:UNUSED_PAD src0_sel:DWORD src1_sel:WORD_1
.LBB31_201:
	s_mov_b64 s[8:9], 0
	s_mov_b64 s[0:1], -1
.LBB31_202:
	s_andn2_b64 vcc, exec, s[8:9]
	s_cbranch_vccnz .LBB31_215
; %bb.203:
	s_cmp_gt_i32 s12, 14
	s_cbranch_scc0 .LBB31_206
; %bb.204:
	s_cmp_eq_u32 s12, 15
	s_cbranch_scc0 .LBB31_209
; %bb.205:
	global_load_ushort v3, v[1:2], off
	s_mov_b64 s[0:1], -1
	s_mov_b64 s[2:3], 0
	s_branch .LBB31_210
.LBB31_206:
	s_mov_b64 s[8:9], -1
                                        ; implicit-def: $vgpr3
	s_branch .LBB31_211
.LBB31_207:
	s_or_saveexec_b64 s[8:9], s[8:9]
	v_mov_b32_e32 v5, 0x7f800001
	s_xor_b64 exec, exec, s[8:9]
	s_cbranch_execz .LBB31_188
.LBB31_208:
	v_cmp_ne_u16_e32 vcc, 0, v3
	s_andn2_b64 s[0:1], s[0:1], exec
	s_and_b64 s[10:11], vcc, exec
	v_mov_b32_e32 v5, 0
	s_or_b64 s[0:1], s[0:1], s[10:11]
	s_or_b64 exec, exec, s[8:9]
	s_and_saveexec_b64 s[8:9], s[0:1]
	s_cbranch_execnz .LBB31_189
	s_branch .LBB31_190
.LBB31_209:
	s_mov_b64 s[2:3], -1
                                        ; implicit-def: $vgpr3
.LBB31_210:
	s_mov_b64 s[8:9], 0
.LBB31_211:
	s_and_b64 vcc, exec, s[8:9]
	s_cbranch_vccz .LBB31_215
; %bb.212:
	s_cmp_eq_u32 s12, 11
	s_cbranch_scc0 .LBB31_214
; %bb.213:
	global_load_ubyte v3, v[1:2], off
	s_mov_b64 s[0:1], -1
	s_mov_b64 s[2:3], 0
	s_waitcnt vmcnt(0)
	v_cmp_ne_u16_e32 vcc, 0, v3
	v_cndmask_b32_e64 v3, 0, 1.0, vcc
	v_lshrrev_b32_e32 v3, 16, v3
	s_branch .LBB31_215
.LBB31_214:
	s_mov_b64 s[2:3], -1
                                        ; implicit-def: $vgpr3
.LBB31_215:
	s_branch .LBB31_24
.LBB31_216:
	s_cmp_lt_i32 s12, 5
	s_cbranch_scc1 .LBB31_221
; %bb.217:
	s_cmp_lt_i32 s12, 8
	s_cbranch_scc1 .LBB31_222
; %bb.218:
	;; [unrolled: 3-line block ×3, first 2 shown]
	s_cmp_gt_i32 s12, 9
	s_cbranch_scc0 .LBB31_224
; %bb.220:
	global_load_dwordx2 v[5:6], v[1:2], off
	s_movk_i32 s0, 0x7fff
	s_waitcnt vmcnt(0)
	v_cvt_f32_f64_e32 v3, v[5:6]
	v_mov_b32_e32 v5, 0x7fc0
	v_bfe_u32 v6, v3, 16, 1
	v_cmp_o_f32_e32 vcc, v3, v3
	v_add3_u32 v3, v3, v6, s0
	v_cndmask_b32_sdwa v3, v5, v3, vcc dst_sel:DWORD dst_unused:UNUSED_PAD src0_sel:DWORD src1_sel:WORD_1
	s_mov_b64 s[0:1], 0
	s_branch .LBB31_225
.LBB31_221:
                                        ; implicit-def: $vgpr3
	s_branch .LBB31_243
.LBB31_222:
	s_mov_b64 s[0:1], -1
                                        ; implicit-def: $vgpr3
	s_branch .LBB31_231
.LBB31_223:
	s_mov_b64 s[0:1], -1
                                        ; implicit-def: $vgpr3
	s_branch .LBB31_228
.LBB31_224:
	s_mov_b64 s[0:1], -1
                                        ; implicit-def: $vgpr3
.LBB31_225:
	s_andn2_b64 vcc, exec, s[0:1]
	s_cbranch_vccnz .LBB31_227
; %bb.226:
	global_load_dword v3, v[1:2], off
	s_movk_i32 s0, 0x7fff
	v_mov_b32_e32 v5, 0x7fc0
	s_waitcnt vmcnt(0)
	v_bfe_u32 v6, v3, 16, 1
	v_cmp_o_f32_e32 vcc, v3, v3
	v_add3_u32 v3, v3, v6, s0
	v_cndmask_b32_sdwa v3, v5, v3, vcc dst_sel:DWORD dst_unused:UNUSED_PAD src0_sel:DWORD src1_sel:WORD_1
.LBB31_227:
	s_mov_b64 s[0:1], 0
.LBB31_228:
	s_andn2_b64 vcc, exec, s[0:1]
	s_cbranch_vccnz .LBB31_230
; %bb.229:
	global_load_dword v3, v[1:2], off
	s_movk_i32 s0, 0x7fff
	v_mov_b32_e32 v6, 0x7fc0
	s_waitcnt vmcnt(0)
	v_cvt_f32_f16_e32 v5, v3
	v_cmp_o_f16_e32 vcc, v3, v3
	v_bfe_u32 v3, v5, 16, 1
	v_add3_u32 v3, v5, v3, s0
	v_cndmask_b32_sdwa v3, v6, v3, vcc dst_sel:DWORD dst_unused:UNUSED_PAD src0_sel:DWORD src1_sel:WORD_1
.LBB31_230:
	s_mov_b64 s[0:1], 0
.LBB31_231:
	s_andn2_b64 vcc, exec, s[0:1]
	s_cbranch_vccnz .LBB31_242
; %bb.232:
	s_cmp_lt_i32 s12, 6
	s_cbranch_scc1 .LBB31_235
; %bb.233:
	s_cmp_gt_i32 s12, 6
	s_cbranch_scc0 .LBB31_236
; %bb.234:
	global_load_dwordx2 v[5:6], v[1:2], off
	s_movk_i32 s0, 0x7fff
	s_waitcnt vmcnt(0)
	v_cvt_f32_f64_e32 v3, v[5:6]
	v_mov_b32_e32 v5, 0x7fc0
	v_bfe_u32 v6, v3, 16, 1
	v_cmp_o_f32_e32 vcc, v3, v3
	v_add3_u32 v3, v3, v6, s0
	v_cndmask_b32_sdwa v3, v5, v3, vcc dst_sel:DWORD dst_unused:UNUSED_PAD src0_sel:DWORD src1_sel:WORD_1
	s_mov_b64 s[0:1], 0
	s_branch .LBB31_237
.LBB31_235:
	s_mov_b64 s[0:1], -1
                                        ; implicit-def: $vgpr3
	s_branch .LBB31_240
.LBB31_236:
	s_mov_b64 s[0:1], -1
                                        ; implicit-def: $vgpr3
.LBB31_237:
	s_andn2_b64 vcc, exec, s[0:1]
	s_cbranch_vccnz .LBB31_239
; %bb.238:
	global_load_dword v3, v[1:2], off
	s_movk_i32 s0, 0x7fff
	v_mov_b32_e32 v5, 0x7fc0
	s_waitcnt vmcnt(0)
	v_bfe_u32 v6, v3, 16, 1
	v_cmp_o_f32_e32 vcc, v3, v3
	v_add3_u32 v3, v3, v6, s0
	v_cndmask_b32_sdwa v3, v5, v3, vcc dst_sel:DWORD dst_unused:UNUSED_PAD src0_sel:DWORD src1_sel:WORD_1
.LBB31_239:
	s_mov_b64 s[0:1], 0
.LBB31_240:
	s_andn2_b64 vcc, exec, s[0:1]
	s_cbranch_vccnz .LBB31_242
; %bb.241:
	global_load_ushort v3, v[1:2], off
	s_movk_i32 s0, 0x7fff
	v_mov_b32_e32 v6, 0x7fc0
	s_waitcnt vmcnt(0)
	v_cvt_f32_f16_e32 v5, v3
	v_cmp_o_f16_e32 vcc, v3, v3
	v_bfe_u32 v3, v5, 16, 1
	v_add3_u32 v3, v5, v3, s0
	v_cndmask_b32_sdwa v3, v6, v3, vcc dst_sel:DWORD dst_unused:UNUSED_PAD src0_sel:DWORD src1_sel:WORD_1
.LBB31_242:
	s_cbranch_execnz .LBB31_262
.LBB31_243:
	s_cmp_lt_i32 s12, 2
	s_cbranch_scc1 .LBB31_247
; %bb.244:
	s_cmp_lt_i32 s12, 3
	s_cbranch_scc1 .LBB31_248
; %bb.245:
	s_cmp_gt_i32 s12, 3
	s_cbranch_scc0 .LBB31_249
; %bb.246:
	global_load_dwordx2 v[5:6], v[1:2], off
	s_movk_i32 s0, 0x7fff
	s_waitcnt vmcnt(0)
	v_xor_b32_e32 v7, v5, v6
	v_ffbh_i32_e32 v3, v6
	v_ashrrev_i32_e32 v7, 31, v7
	v_add_u32_e32 v3, -1, v3
	v_add_u32_e32 v7, 32, v7
	v_min_u32_e32 v3, v3, v7
	v_lshlrev_b64 v[5:6], v3, v[5:6]
	v_sub_u32_e32 v3, 32, v3
	v_min_u32_e32 v5, 1, v5
	v_or_b32_e32 v5, v6, v5
	v_cvt_f32_i32_e32 v5, v5
	v_ldexp_f32 v3, v5, v3
	v_bfe_u32 v5, v3, 16, 1
	v_add3_u32 v3, v3, v5, s0
	v_lshrrev_b32_e32 v3, 16, v3
	s_mov_b64 s[0:1], 0
	s_branch .LBB31_250
.LBB31_247:
	s_mov_b64 s[0:1], -1
                                        ; implicit-def: $vgpr3
	s_branch .LBB31_256
.LBB31_248:
	s_mov_b64 s[0:1], -1
                                        ; implicit-def: $vgpr3
	s_branch .LBB31_253
.LBB31_249:
	s_mov_b64 s[0:1], -1
                                        ; implicit-def: $vgpr3
.LBB31_250:
	s_andn2_b64 vcc, exec, s[0:1]
	s_cbranch_vccnz .LBB31_252
; %bb.251:
	global_load_dword v3, v[1:2], off
	s_movk_i32 s0, 0x7fff
	s_waitcnt vmcnt(0)
	v_cvt_f32_i32_e32 v3, v3
	v_bfe_u32 v5, v3, 16, 1
	v_add3_u32 v3, v3, v5, s0
	v_lshrrev_b32_e32 v3, 16, v3
.LBB31_252:
	s_mov_b64 s[0:1], 0
.LBB31_253:
	s_andn2_b64 vcc, exec, s[0:1]
	s_cbranch_vccnz .LBB31_255
; %bb.254:
	global_load_sshort v3, v[1:2], off
	s_movk_i32 s0, 0x7fff
	s_waitcnt vmcnt(0)
	v_cvt_f32_i32_e32 v3, v3
	v_bfe_u32 v5, v3, 16, 1
	v_add3_u32 v3, v3, v5, s0
	v_lshrrev_b32_e32 v3, 16, v3
.LBB31_255:
	s_mov_b64 s[0:1], 0
.LBB31_256:
	s_andn2_b64 vcc, exec, s[0:1]
	s_cbranch_vccnz .LBB31_262
; %bb.257:
	s_cmp_gt_i32 s12, 0
	s_cbranch_scc0 .LBB31_259
; %bb.258:
	global_load_sbyte v3, v[1:2], off
	s_movk_i32 s0, 0x7fff
	s_waitcnt vmcnt(0)
	v_cvt_f32_i32_e32 v3, v3
	v_bfe_u32 v5, v3, 16, 1
	v_add3_u32 v3, v3, v5, s0
	v_lshrrev_b32_e32 v3, 16, v3
	s_mov_b64 s[0:1], 0
	s_branch .LBB31_260
.LBB31_259:
	s_mov_b64 s[0:1], -1
                                        ; implicit-def: $vgpr3
.LBB31_260:
	s_andn2_b64 vcc, exec, s[0:1]
	s_cbranch_vccnz .LBB31_262
; %bb.261:
	global_load_ubyte v1, v[1:2], off
	s_movk_i32 s0, 0x7fff
	s_waitcnt vmcnt(0)
	v_cvt_f32_ubyte0_e32 v1, v1
	v_bfe_u32 v2, v1, 16, 1
	v_add3_u32 v1, v1, v2, s0
	v_lshrrev_b32_e32 v3, 16, v1
.LBB31_262:
	s_branch .LBB31_25
.LBB31_263:
	s_mov_b64 s[0:1], 0
.LBB31_264:
	s_mov_b64 s[8:9], 0
                                        ; implicit-def: $vgpr8
.LBB31_265:
	s_and_b64 s[52:53], s[0:1], exec
	s_and_b64 s[54:55], s[2:3], exec
	s_orn2_b64 s[2:3], s[8:9], exec
.LBB31_266:
	s_or_b64 exec, exec, s[56:57]
	s_mov_b64 s[10:11], 0
	s_mov_b64 s[0:1], 0
                                        ; implicit-def: $vgpr1_vgpr2
                                        ; implicit-def: $vgpr0
                                        ; implicit-def: $vgpr5
	s_and_saveexec_b64 s[56:57], s[2:3]
	s_cbranch_execz .LBB31_273
; %bb.267:
	v_cmp_gt_i32_e32 vcc, s70, v8
	s_mov_b64 s[0:1], -1
	s_mov_b64 s[58:59], s[54:55]
	s_mov_b64 s[60:61], s[52:53]
	s_and_saveexec_b64 s[62:63], vcc
	s_cbranch_execz .LBB31_542
; %bb.268:
	s_andn2_b64 vcc, exec, s[40:41]
	s_cbranch_vccnz .LBB31_276
; %bb.269:
	s_andn2_b64 vcc, exec, s[50:51]
	s_cbranch_vccnz .LBB31_277
; %bb.270:
	s_add_i32 s65, s76, 1
	s_cmp_eq_u32 s72, 2
	s_cbranch_scc1 .LBB31_278
; %bb.271:
	s_and_b32 s64, s65, 28
	v_mov_b32_e32 v2, 0
	s_mov_b32 s66, 0
	s_mov_b64 s[58:59], s[34:35]
	s_mov_b64 s[60:61], s[48:49]
	v_mov_b32_e32 v0, 0
	v_mov_b32_e32 v1, v8
.LBB31_272:                             ; =>This Inner Loop Header: Depth=1
	s_load_dwordx8 s[16:23], s[58:59], 0x4
	s_load_dwordx4 s[0:3], s[58:59], 0x24
	s_load_dwordx8 s[8:15], s[60:61], 0x0
	s_add_u32 s58, s58, 48
	s_addc_u32 s59, s59, 0
	s_waitcnt vmcnt(0) lgkmcnt(0)
	v_mul_hi_u32 v3, s17, v1
	s_add_i32 s66, s66, 4
	s_add_u32 s60, s60, 32
	s_addc_u32 s61, s61, 0
	v_add_u32_e32 v3, v1, v3
	v_lshrrev_b32_e32 v3, s18, v3
	v_mul_lo_u32 v5, v3, s16
	v_mul_hi_u32 v6, s20, v3
	s_cmp_eq_u32 s64, s66
	v_sub_u32_e32 v1, v1, v5
	v_add_u32_e32 v5, v3, v6
	v_mul_lo_u32 v6, v1, s8
	v_mul_lo_u32 v7, v1, s9
	v_lshrrev_b32_e32 v1, s21, v5
	v_mul_lo_u32 v5, v1, s19
	v_mul_hi_u32 v9, s23, v1
	v_sub_u32_e32 v3, v3, v5
	v_add_u32_e32 v5, v1, v9
	v_lshrrev_b32_e32 v5, s0, v5
	v_mul_hi_u32 v10, s2, v5
	v_mul_lo_u32 v11, v5, s22
	v_mul_lo_u32 v9, v3, s10
	;; [unrolled: 1-line block ×3, first 2 shown]
	v_sub_u32_e32 v11, v1, v11
	v_add_u32_e32 v1, v5, v10
	v_lshrrev_b32_e32 v1, s3, v1
	v_mul_lo_u32 v10, v1, s1
	v_mul_lo_u32 v12, v11, s12
	;; [unrolled: 1-line block ×3, first 2 shown]
	v_add3_u32 v0, v6, v0, v9
	v_sub_u32_e32 v5, v5, v10
	v_mul_lo_u32 v10, v5, s14
	v_mul_lo_u32 v5, v5, s15
	v_add3_u32 v2, v7, v2, v3
	v_add3_u32 v0, v12, v0, v10
	;; [unrolled: 1-line block ×3, first 2 shown]
	s_cbranch_scc0 .LBB31_272
	s_branch .LBB31_279
.LBB31_273:
	s_or_b64 exec, exec, s[56:57]
	s_mov_b64 s[2:3], 0
	s_and_saveexec_b64 s[8:9], s[54:55]
	s_cbranch_execnz .LBB31_918
.LBB31_274:
	s_or_b64 exec, exec, s[8:9]
	s_and_saveexec_b64 s[8:9], s[60:61]
	s_xor_b64 s[8:9], exec, s[8:9]
	s_cbranch_execz .LBB31_919
.LBB31_275:
	global_load_ubyte v3, v[1:2], off
	s_or_b64 s[0:1], s[0:1], exec
	s_waitcnt vmcnt(0)
	v_cmp_ne_u16_e32 vcc, 0, v3
	v_cndmask_b32_e64 v3, 0, 1.0, vcc
	v_lshrrev_b32_e32 v5, 16, v3
	s_or_b64 exec, exec, s[8:9]
	s_and_saveexec_b64 s[8:9], s[10:11]
	s_cbranch_execz .LBB31_965
	s_branch .LBB31_920
.LBB31_276:
                                        ; implicit-def: $vgpr0
                                        ; implicit-def: $vgpr2
	s_andn2_b64 vcc, exec, s[0:1]
	s_cbranch_vccz .LBB31_283
	s_branch .LBB31_285
.LBB31_277:
	v_mov_b32_e32 v0, 0
	v_mov_b32_e32 v2, 0
	s_branch .LBB31_282
.LBB31_278:
	s_mov_b32 s64, 0
	v_mov_b32_e32 v0, 0
	v_mov_b32_e32 v2, 0
	;; [unrolled: 1-line block ×3, first 2 shown]
.LBB31_279:
	s_and_b32 s8, s65, 3
	s_cmp_eq_u32 s8, 0
	s_cbranch_scc1 .LBB31_282
; %bb.280:
	s_lshl_b32 s0, s64, 3
	s_add_u32 s0, s34, s0
	s_addc_u32 s1, s35, 0
	s_add_u32 s0, s0, 0xc4
	s_addc_u32 s1, s1, 0
	s_mul_i32 s2, s64, 12
	s_add_u32 s2, s34, s2
	s_addc_u32 s3, s35, 0
.LBB31_281:                             ; =>This Inner Loop Header: Depth=1
	s_load_dwordx2 s[10:11], s[2:3], 0x4
	s_load_dword s9, s[2:3], 0xc
	s_load_dwordx2 s[12:13], s[0:1], 0x0
	s_add_u32 s2, s2, 12
	s_addc_u32 s3, s3, 0
	s_waitcnt vmcnt(0) lgkmcnt(0)
	v_mul_hi_u32 v3, s11, v1
	s_add_u32 s0, s0, 8
	s_addc_u32 s1, s1, 0
	s_add_i32 s8, s8, -1
	v_add_u32_e32 v3, v1, v3
	v_lshrrev_b32_e32 v5, s9, v3
	v_mul_lo_u32 v3, v5, s10
	s_cmp_lg_u32 s8, 0
	v_sub_u32_e32 v3, v1, v3
	v_mad_u64_u32 v[0:1], s[10:11], v3, s12, v[0:1]
	v_mad_u64_u32 v[2:3], s[10:11], v3, s13, v[2:3]
	v_mov_b32_e32 v1, v5
	s_cbranch_scc1 .LBB31_281
.LBB31_282:
	s_cbranch_execnz .LBB31_285
.LBB31_283:
	v_mul_hi_u32 v0, s29, v8
	s_andn2_b64 vcc, exec, s[46:47]
	v_add_u32_e32 v0, v8, v0
	v_lshrrev_b32_e32 v1, s30, v0
	v_mul_lo_u32 v0, v1, s28
	v_sub_u32_e32 v2, v8, v0
	v_mul_lo_u32 v0, v2, s36
	v_mul_lo_u32 v2, v2, s37
	s_cbranch_vccnz .LBB31_285
; %bb.284:
	s_waitcnt vmcnt(0)
	v_mul_hi_u32 v3, s44, v1
	v_add_u32_e32 v3, v1, v3
	v_lshrrev_b32_e32 v3, s45, v3
	v_mul_lo_u32 v3, v3, s31
	v_sub_u32_e32 v3, v1, v3
	v_mad_u64_u32 v[0:1], s[0:1], v3, s38, v[0:1]
	v_mad_u64_u32 v[2:3], s[0:1], v3, s39, v[2:3]
.LBB31_285:
	s_waitcnt vmcnt(0)
	v_mov_b32_e32 v3, s27
	s_and_b32 s12, 0xffff, s75
	v_add_co_u32_e32 v1, vcc, s26, v2
	s_cmp_lt_i32 s12, 11
	v_addc_co_u32_e32 v2, vcc, 0, v3, vcc
	s_cbranch_scc1 .LBB31_292
; %bb.286:
	s_cmp_gt_i32 s12, 25
	s_cbranch_scc0 .LBB31_301
; %bb.287:
	s_cmp_gt_i32 s12, 28
	s_cbranch_scc0 .LBB31_303
	;; [unrolled: 3-line block ×4, first 2 shown]
; %bb.290:
	s_cmp_eq_u32 s12, 46
	s_mov_b64 s[8:9], 0
	s_cbranch_scc0 .LBB31_313
; %bb.291:
	global_load_dword v3, v[1:2], off
	s_mov_b64 s[0:1], -1
	s_mov_b64 s[2:3], 0
	s_branch .LBB31_314
.LBB31_292:
	s_mov_b64 s[0:1], 0
                                        ; implicit-def: $vgpr3
	s_mov_b64 s[2:3], s[54:55]
	s_cbranch_execnz .LBB31_491
.LBB31_293:
	s_andn2_b64 vcc, exec, s[0:1]
	s_cbranch_vccnz .LBB31_539
.LBB31_294:
	s_waitcnt vmcnt(0)
	v_lshlrev_b32_e32 v1, 16, v3
	v_cmp_nle_f32_e32 vcc, v4, v1
	v_cmp_nge_f32_e64 s[0:1], s74, v1
	s_or_b64 vcc, s[0:1], vcc
	v_cndmask_b32_e32 v2, 0, v3, vcc
	v_mov_b32_e32 v1, s25
	s_and_b32 s14, s73, 0xff
	v_add_co_u32_e32 v0, vcc, s24, v0
	s_cmp_lt_i32 s14, 11
	v_addc_co_u32_e32 v1, vcc, 0, v1, vcc
	s_cbranch_scc1 .LBB31_302
; %bb.295:
	s_and_b32 s15, 0xffff, s14
	s_cmp_gt_i32 s15, 25
	s_cbranch_scc0 .LBB31_304
; %bb.296:
	s_cmp_gt_i32 s15, 28
	s_cbranch_scc0 .LBB31_306
; %bb.297:
	;; [unrolled: 3-line block ×4, first 2 shown]
	s_mov_b64 s[10:11], 0
	s_mov_b64 s[0:1], -1
	s_cmp_eq_u32 s15, 46
	s_mov_b64 s[8:9], 0
	s_cbranch_scc0 .LBB31_318
; %bb.300:
	v_and_b32_e32 v3, 0xffff, v2
	global_store_dword v[0:1], v3, off
	s_mov_b64 s[8:9], -1
	s_mov_b64 s[0:1], 0
	s_branch .LBB31_318
.LBB31_301:
	s_mov_b64 s[8:9], -1
	s_mov_b64 s[0:1], 0
	s_mov_b64 s[2:3], s[54:55]
                                        ; implicit-def: $vgpr3
	s_branch .LBB31_455
.LBB31_302:
	s_mov_b64 s[10:11], -1
	s_mov_b64 s[8:9], 0
	s_mov_b64 s[0:1], s[52:53]
	s_branch .LBB31_387
.LBB31_303:
	s_mov_b64 s[8:9], -1
	s_mov_b64 s[0:1], 0
	s_mov_b64 s[2:3], s[54:55]
                                        ; implicit-def: $vgpr3
	s_branch .LBB31_436
.LBB31_304:
	s_mov_b64 s[10:11], -1
	s_mov_b64 s[8:9], 0
	s_mov_b64 s[0:1], s[52:53]
	s_branch .LBB31_345
.LBB31_305:
	s_mov_b64 s[8:9], -1
	s_mov_b64 s[0:1], 0
	s_mov_b64 s[2:3], s[54:55]
                                        ; implicit-def: $vgpr3
	s_branch .LBB31_431
.LBB31_306:
	s_mov_b64 s[10:11], -1
	s_mov_b64 s[8:9], 0
	s_mov_b64 s[0:1], s[52:53]
	s_branch .LBB31_328
.LBB31_307:
	s_andn2_saveexec_b64 s[12:13], s[12:13]
	s_cbranch_execz .LBB31_68
.LBB31_308:
	s_mov_b32 s16, 0x46000000
	v_add_f32_e64 v5, |v6|, s16
	v_and_b32_e32 v5, 0xff, v5
	v_cmp_ne_u32_e32 vcc, 0, v5
	s_andn2_b64 s[10:11], s[10:11], exec
	s_and_b64 s[16:17], vcc, exec
	s_or_b64 s[10:11], s[10:11], s[16:17]
	s_or_b64 exec, exec, s[12:13]
	v_mov_b32_e32 v7, 0
	s_and_saveexec_b64 s[12:13], s[10:11]
	s_cbranch_execnz .LBB31_69
	s_branch .LBB31_70
.LBB31_309:
	s_mov_b64 s[8:9], -1
	s_mov_b64 s[0:1], 0
	s_mov_b64 s[2:3], s[54:55]
                                        ; implicit-def: $vgpr3
	s_branch .LBB31_314
.LBB31_310:
	s_mov_b64 s[10:11], -1
	s_mov_b64 s[8:9], 0
	s_mov_b64 s[0:1], s[52:53]
	s_branch .LBB31_324
.LBB31_311:
	s_andn2_saveexec_b64 s[12:13], s[12:13]
	s_cbranch_execz .LBB31_81
.LBB31_312:
	s_mov_b32 s16, 0x42800000
	v_add_f32_e64 v5, |v6|, s16
	v_and_b32_e32 v5, 0xff, v5
	v_cmp_ne_u32_e32 vcc, 0, v5
	s_andn2_b64 s[10:11], s[10:11], exec
	s_and_b64 s[16:17], vcc, exec
	s_or_b64 s[10:11], s[10:11], s[16:17]
	s_or_b64 exec, exec, s[12:13]
	v_mov_b32_e32 v7, 0
	s_and_saveexec_b64 s[12:13], s[10:11]
	s_cbranch_execnz .LBB31_82
	s_branch .LBB31_83
.LBB31_313:
	s_mov_b64 s[2:3], -1
                                        ; implicit-def: $vgpr3
	s_mov_b64 s[0:1], 0
.LBB31_314:
	s_and_b64 vcc, exec, s[8:9]
	s_cbranch_vccz .LBB31_430
; %bb.315:
	s_cmp_eq_u32 s12, 44
	s_cbranch_scc0 .LBB31_429
; %bb.316:
	global_load_ubyte v3, v[1:2], off
	s_movk_i32 s2, 0xff
	v_mov_b32_e32 v5, 0x7f800001
	v_mov_b32_e32 v6, 0x400000
	;; [unrolled: 1-line block ×3, first 2 shown]
	s_mov_b64 s[0:1], -1
	s_waitcnt vmcnt(0)
	v_lshlrev_b32_e32 v9, 23, v3
	v_cmp_ne_u32_e32 vcc, s2, v3
	v_cndmask_b32_e32 v5, v5, v9, vcc
	v_cmp_ne_u32_e32 vcc, 0, v3
	v_cndmask_b32_e32 v3, v6, v5, vcc
	v_add_u32_e32 v5, 0x7fff, v3
	v_cmp_o_f32_e32 vcc, v3, v3
	v_cndmask_b32_sdwa v3, v7, v5, vcc dst_sel:DWORD dst_unused:UNUSED_PAD src0_sel:DWORD src1_sel:WORD_1
	s_mov_b64 s[2:3], 0
	s_branch .LBB31_430
.LBB31_317:
	s_mov_b64 s[10:11], -1
	s_mov_b64 s[8:9], 0
	s_mov_b64 s[0:1], s[52:53]
.LBB31_318:
	s_and_b64 vcc, exec, s[10:11]
	s_cbranch_vccz .LBB31_323
; %bb.319:
	s_cmp_eq_u32 s15, 44
	s_mov_b64 s[0:1], -1
	s_cbranch_scc0 .LBB31_323
; %bb.320:
	v_and_b32_e32 v5, 0xffff, v2
	v_bfe_u32 v3, v5, 7, 8
	s_movk_i32 s0, 0xff
	v_cmp_ne_u32_e32 vcc, s0, v3
	v_mov_b32_e32 v6, 0xff
	s_and_saveexec_b64 s[8:9], vcc
	s_cbranch_execz .LBB31_322
; %bb.321:
	v_lshlrev_b32_e32 v7, 16, v5
	s_mov_b32 s0, 0x3f0000
	v_lshrrev_b32_e32 v6, 7, v5
	v_and_b32_e32 v5, 64, v5
	v_and_or_b32 v3, v7, s0, v3
	v_cmp_ne_u32_e32 vcc, 0, v5
	v_cmp_ne_u32_e64 s[0:1], 0, v3
	s_and_b64 s[0:1], vcc, s[0:1]
	v_cndmask_b32_e64 v3, 0, 1, s[0:1]
	v_add_u32_e32 v6, v6, v3
.LBB31_322:
	s_or_b64 exec, exec, s[8:9]
	s_mov_b64 s[8:9], -1
	s_mov_b64 s[0:1], 0
	global_store_byte v[0:1], v6, off
.LBB31_323:
	s_mov_b64 s[10:11], 0
.LBB31_324:
	s_and_b64 vcc, exec, s[10:11]
	s_cbranch_vccz .LBB31_327
; %bb.325:
	s_cmp_eq_u32 s15, 29
	s_mov_b64 s[0:1], -1
	s_cbranch_scc0 .LBB31_327
; %bb.326:
	v_lshlrev_b32_e32 v3, 16, v2
	v_trunc_f32_e32 v3, v3
	v_mul_f32_e32 v5, 0x2f800000, v3
	v_floor_f32_e32 v5, v5
	v_fmac_f32_e32 v3, 0xcf800000, v5
	v_cvt_u32_f32_e32 v6, v5
	v_cvt_u32_f32_e32 v5, v3
	s_mov_b64 s[8:9], -1
	s_mov_b64 s[0:1], 0
	s_mov_b64 s[10:11], 0
	global_store_dwordx2 v[0:1], v[5:6], off
	s_branch .LBB31_328
.LBB31_327:
	s_mov_b64 s[10:11], 0
.LBB31_328:
	s_and_b64 vcc, exec, s[10:11]
	s_cbranch_vccz .LBB31_344
; %bb.329:
	s_cmp_lt_i32 s15, 27
	s_mov_b64 s[8:9], -1
	s_cbranch_scc1 .LBB31_335
; %bb.330:
	s_cmp_gt_i32 s15, 27
	s_cbranch_scc0 .LBB31_332
; %bb.331:
	v_lshlrev_b32_e32 v3, 16, v2
	v_cvt_u32_f32_e32 v3, v3
	s_mov_b64 s[8:9], 0
	global_store_dword v[0:1], v3, off
.LBB31_332:
	s_andn2_b64 vcc, exec, s[8:9]
	s_cbranch_vccnz .LBB31_334
; %bb.333:
	v_lshlrev_b32_e32 v3, 16, v2
	v_cvt_u32_f32_e32 v3, v3
	global_store_short v[0:1], v3, off
.LBB31_334:
	s_mov_b64 s[8:9], 0
.LBB31_335:
	s_andn2_b64 vcc, exec, s[8:9]
	s_cbranch_vccnz .LBB31_343
; %bb.336:
	v_lshlrev_b32_e32 v6, 16, v2
	v_and_b32_e32 v5, 0x7fffffff, v6
	s_mov_b32 s8, 0x43800000
	v_cmp_gt_u32_e32 vcc, s8, v5
	v_mov_b32_e32 v7, 0x80
	s_and_saveexec_b64 s[8:9], vcc
	s_cbranch_execz .LBB31_342
; %bb.337:
	s_mov_b32 s10, 0x3bffffff
	v_and_b32_e32 v3, 0xffff, v2
	v_cmp_lt_u32_e32 vcc, s10, v5
	s_mov_b64 s[10:11], 0
                                        ; implicit-def: $vgpr5
	s_and_saveexec_b64 s[12:13], vcc
	s_xor_b64 s[12:13], exec, s[12:13]
	s_cbranch_execz .LBB31_570
; %bb.338:
	v_bfe_u32 v5, v3, 4, 1
	s_mov_b32 s16, 0x487ffff
	v_add3_u32 v5, v6, v5, s16
	s_mov_b64 s[10:11], exec
	v_lshrrev_b32_e32 v5, 20, v5
                                        ; implicit-def: $vgpr6
	s_andn2_saveexec_b64 s[12:13], s[12:13]
	s_cbranch_execnz .LBB31_571
.LBB31_339:
	s_or_b64 exec, exec, s[12:13]
	v_mov_b32_e32 v7, 0
	s_and_saveexec_b64 s[12:13], s[10:11]
.LBB31_340:
	v_lshrrev_b32_e32 v3, 8, v3
	s_movk_i32 s10, 0x80
	v_and_or_b32 v7, v3, s10, v5
.LBB31_341:
	s_or_b64 exec, exec, s[12:13]
.LBB31_342:
	s_or_b64 exec, exec, s[8:9]
	global_store_byte v[0:1], v7, off
.LBB31_343:
	s_mov_b64 s[8:9], -1
.LBB31_344:
	s_mov_b64 s[10:11], 0
.LBB31_345:
	s_and_b64 vcc, exec, s[10:11]
	s_cbranch_vccz .LBB31_386
; %bb.346:
	s_cmp_gt_i32 s15, 22
	s_mov_b64 s[10:11], -1
	s_cbranch_scc0 .LBB31_378
; %bb.347:
	s_cmp_lt_i32 s15, 24
	s_mov_b64 s[8:9], -1
	s_cbranch_scc1 .LBB31_367
; %bb.348:
	s_cmp_gt_i32 s15, 24
	s_cbranch_scc0 .LBB31_356
; %bb.349:
	v_lshlrev_b32_e32 v6, 16, v2
	v_and_b32_e32 v5, 0x7fffffff, v6
	s_mov_b32 s8, 0x47800000
	v_cmp_gt_u32_e32 vcc, s8, v5
	v_mov_b32_e32 v7, 0x80
	s_and_saveexec_b64 s[8:9], vcc
	s_cbranch_execz .LBB31_355
; %bb.350:
	s_mov_b32 s10, 0x37ffffff
	v_and_b32_e32 v3, 0xffff, v2
	v_cmp_lt_u32_e32 vcc, s10, v5
	s_mov_b64 s[10:11], 0
                                        ; implicit-def: $vgpr5
	s_and_saveexec_b64 s[12:13], vcc
	s_xor_b64 s[12:13], exec, s[12:13]
	s_cbranch_execz .LBB31_573
; %bb.351:
	v_bfe_u32 v5, v3, 5, 1
	s_mov_b32 s16, 0x88fffff
	v_add3_u32 v5, v6, v5, s16
	s_mov_b64 s[10:11], exec
	v_lshrrev_b32_e32 v5, 21, v5
                                        ; implicit-def: $vgpr6
	s_andn2_saveexec_b64 s[12:13], s[12:13]
	s_cbranch_execnz .LBB31_574
.LBB31_352:
	s_or_b64 exec, exec, s[12:13]
	v_mov_b32_e32 v7, 0
	s_and_saveexec_b64 s[12:13], s[10:11]
.LBB31_353:
	v_lshrrev_b32_e32 v3, 8, v3
	s_movk_i32 s10, 0x80
	v_and_or_b32 v7, v3, s10, v5
.LBB31_354:
	s_or_b64 exec, exec, s[12:13]
.LBB31_355:
	s_or_b64 exec, exec, s[8:9]
	s_mov_b64 s[8:9], 0
	global_store_byte v[0:1], v7, off
.LBB31_356:
	s_and_b64 vcc, exec, s[8:9]
	s_cbranch_vccz .LBB31_366
; %bb.357:
	v_lshlrev_b32_e32 v6, 16, v2
	v_and_b32_e32 v7, 0x7fffffff, v6
	s_mov_b32 s8, 0x43f00000
	v_and_b32_e32 v3, 0xffff, v2
	v_cmp_gt_u32_e32 vcc, s8, v7
                                        ; implicit-def: $vgpr5
	s_and_saveexec_b64 s[8:9], vcc
	s_xor_b64 s[8:9], exec, s[8:9]
	s_cbranch_execz .LBB31_363
; %bb.358:
	s_mov_b32 s10, 0x3c7fffff
	v_cmp_lt_u32_e32 vcc, s10, v7
                                        ; implicit-def: $vgpr5
	s_and_saveexec_b64 s[10:11], vcc
	s_xor_b64 s[10:11], exec, s[10:11]
; %bb.359:
	v_bfe_u32 v5, v3, 4, 1
	s_mov_b32 s12, 0x407ffff
	v_add3_u32 v5, v6, v5, s12
	v_lshrrev_b32_e32 v6, 20, v5
	v_and_b32_e32 v5, 0xff00000, v5
	s_mov_b32 s12, 0x7f00000
	v_mov_b32_e32 v7, 0x7e
	v_cmp_ne_u32_e32 vcc, s12, v5
	v_cndmask_b32_e32 v5, v7, v6, vcc
                                        ; implicit-def: $vgpr6
; %bb.360:
	s_andn2_saveexec_b64 s[10:11], s[10:11]
; %bb.361:
	s_mov_b32 s12, 0x46800000
	v_add_f32_e64 v5, |v6|, s12
; %bb.362:
	s_or_b64 exec, exec, s[10:11]
                                        ; implicit-def: $vgpr7
.LBB31_363:
	s_andn2_saveexec_b64 s[8:9], s[8:9]
; %bb.364:
	s_mov_b32 s10, 0x7f800000
	v_mov_b32_e32 v5, 0x7e
	v_mov_b32_e32 v6, 0x7f
	v_cmp_lt_u32_e32 vcc, s10, v7
	v_cndmask_b32_e32 v5, v5, v6, vcc
; %bb.365:
	s_or_b64 exec, exec, s[8:9]
	v_lshrrev_b32_e32 v3, 8, v3
	s_movk_i32 s8, 0x80
	v_and_or_b32 v3, v3, s8, v5
	global_store_byte v[0:1], v3, off
.LBB31_366:
	s_mov_b64 s[8:9], 0
.LBB31_367:
	s_andn2_b64 vcc, exec, s[8:9]
	s_cbranch_vccnz .LBB31_377
; %bb.368:
	v_lshlrev_b32_e32 v6, 16, v2
	v_and_b32_e32 v7, 0x7fffffff, v6
	s_mov_b32 s8, 0x47800000
	v_and_b32_e32 v3, 0xffff, v2
	v_cmp_gt_u32_e32 vcc, s8, v7
                                        ; implicit-def: $vgpr5
	s_and_saveexec_b64 s[8:9], vcc
	s_xor_b64 s[8:9], exec, s[8:9]
	s_cbranch_execz .LBB31_374
; %bb.369:
	s_mov_b32 s10, 0x387fffff
	v_cmp_lt_u32_e32 vcc, s10, v7
                                        ; implicit-def: $vgpr5
	s_and_saveexec_b64 s[10:11], vcc
	s_xor_b64 s[10:11], exec, s[10:11]
; %bb.370:
	v_bfe_u32 v5, v3, 5, 1
	s_mov_b32 s12, 0x80fffff
	v_add3_u32 v5, v6, v5, s12
	v_lshrrev_b32_e32 v5, 21, v5
                                        ; implicit-def: $vgpr6
; %bb.371:
	s_andn2_saveexec_b64 s[10:11], s[10:11]
; %bb.372:
	s_mov_b32 s12, 0x43000000
	v_add_f32_e64 v5, |v6|, s12
; %bb.373:
	s_or_b64 exec, exec, s[10:11]
                                        ; implicit-def: $vgpr7
.LBB31_374:
	s_andn2_saveexec_b64 s[8:9], s[8:9]
; %bb.375:
	s_mov_b32 s10, 0x7f800000
	v_mov_b32_e32 v5, 0x7c
	v_mov_b32_e32 v6, 0x7f
	v_cmp_lt_u32_e32 vcc, s10, v7
	v_cndmask_b32_e32 v5, v5, v6, vcc
; %bb.376:
	s_or_b64 exec, exec, s[8:9]
	v_lshrrev_b32_e32 v3, 8, v3
	s_movk_i32 s8, 0x80
	v_and_or_b32 v3, v3, s8, v5
	global_store_byte v[0:1], v3, off
.LBB31_377:
	s_mov_b64 s[10:11], 0
	s_mov_b64 s[8:9], -1
.LBB31_378:
	s_andn2_b64 vcc, exec, s[10:11]
	s_cbranch_vccnz .LBB31_386
; %bb.379:
	s_cmp_gt_i32 s15, 14
	s_mov_b64 s[10:11], -1
	s_cbranch_scc0 .LBB31_383
; %bb.380:
	s_cmp_eq_u32 s15, 15
	s_mov_b64 s[0:1], -1
	s_cbranch_scc0 .LBB31_382
; %bb.381:
	global_store_short v[0:1], v2, off
	s_mov_b64 s[8:9], -1
	s_mov_b64 s[0:1], 0
.LBB31_382:
	s_mov_b64 s[10:11], 0
.LBB31_383:
	s_and_b64 vcc, exec, s[10:11]
	s_cbranch_vccz .LBB31_386
; %bb.384:
	s_cmp_eq_u32 s15, 11
	s_mov_b64 s[0:1], -1
	s_cbranch_scc0 .LBB31_386
; %bb.385:
	v_and_b32_e32 v3, 0x7fff, v2
	v_cmp_ne_u16_e32 vcc, 0, v3
	v_cndmask_b32_e64 v3, 0, 1, vcc
	s_mov_b64 s[8:9], -1
	s_mov_b64 s[0:1], 0
	global_store_byte v[0:1], v3, off
.LBB31_386:
	s_mov_b64 s[10:11], 0
.LBB31_387:
	s_and_b64 vcc, exec, s[10:11]
	s_cbranch_vccz .LBB31_426
; %bb.388:
	s_and_b32 s10, 0xffff, s14
	s_cmp_lt_i32 s10, 5
	s_mov_b64 s[8:9], -1
	s_cbranch_scc1 .LBB31_409
; %bb.389:
	s_cmp_lt_i32 s10, 8
	s_cbranch_scc1 .LBB31_399
; %bb.390:
	s_cmp_lt_i32 s10, 9
	s_cbranch_scc1 .LBB31_396
; %bb.391:
	s_cmp_gt_i32 s10, 9
	s_cbranch_scc0 .LBB31_393
; %bb.392:
	v_lshlrev_b32_e32 v3, 16, v2
	v_cvt_f64_f32_e32 v[9:10], v3
	v_mov_b32_e32 v11, 0
	v_mov_b32_e32 v12, v11
	s_mov_b64 s[8:9], 0
	global_store_dwordx4 v[0:1], v[9:12], off
.LBB31_393:
	s_andn2_b64 vcc, exec, s[8:9]
	s_cbranch_vccnz .LBB31_395
; %bb.394:
	v_lshlrev_b32_e32 v5, 16, v2
	v_mov_b32_e32 v6, 0
	global_store_dwordx2 v[0:1], v[5:6], off
.LBB31_395:
	s_mov_b64 s[8:9], 0
.LBB31_396:
	s_andn2_b64 vcc, exec, s[8:9]
	s_cbranch_vccnz .LBB31_398
; %bb.397:
	v_lshlrev_b32_e32 v3, 16, v2
	v_cvt_f16_f32_e32 v3, v3
	global_store_dword v[0:1], v3, off
.LBB31_398:
	s_mov_b64 s[8:9], 0
.LBB31_399:
	s_andn2_b64 vcc, exec, s[8:9]
	s_cbranch_vccnz .LBB31_408
; %bb.400:
	s_cmp_lt_i32 s10, 6
	s_mov_b64 s[8:9], -1
	s_cbranch_scc1 .LBB31_406
; %bb.401:
	s_cmp_gt_i32 s10, 6
	s_cbranch_scc0 .LBB31_403
; %bb.402:
	v_lshlrev_b32_e32 v3, 16, v2
	v_cvt_f64_f32_e32 v[5:6], v3
	s_mov_b64 s[8:9], 0
	global_store_dwordx2 v[0:1], v[5:6], off
.LBB31_403:
	s_andn2_b64 vcc, exec, s[8:9]
	s_cbranch_vccnz .LBB31_405
; %bb.404:
	v_lshlrev_b32_e32 v3, 16, v2
	global_store_dword v[0:1], v3, off
.LBB31_405:
	s_mov_b64 s[8:9], 0
.LBB31_406:
	s_andn2_b64 vcc, exec, s[8:9]
	s_cbranch_vccnz .LBB31_408
; %bb.407:
	v_lshlrev_b32_e32 v3, 16, v2
	v_cvt_f16_f32_e32 v3, v3
	global_store_short v[0:1], v3, off
.LBB31_408:
	s_mov_b64 s[8:9], 0
.LBB31_409:
	s_andn2_b64 vcc, exec, s[8:9]
	s_cbranch_vccnz .LBB31_425
; %bb.410:
	s_cmp_lt_i32 s10, 2
	s_mov_b64 s[8:9], -1
	s_cbranch_scc1 .LBB31_420
; %bb.411:
	s_cmp_lt_i32 s10, 3
	s_cbranch_scc1 .LBB31_417
; %bb.412:
	s_cmp_gt_i32 s10, 3
	s_cbranch_scc0 .LBB31_414
; %bb.413:
	v_lshlrev_b32_e32 v3, 16, v2
	v_trunc_f32_e32 v3, v3
	s_mov_b32 s8, 0x2f800000
	v_mul_f32_e64 v5, |v3|, s8
	v_floor_f32_e32 v5, v5
	s_mov_b32 s8, 0xcf800000
	v_cvt_u32_f32_e32 v6, v5
	v_fma_f32 v5, v5, s8, |v3|
	v_cvt_u32_f32_e32 v5, v5
	v_ashrrev_i32_e32 v3, 31, v3
	v_xor_b32_e32 v6, v6, v3
	s_mov_b64 s[8:9], 0
	v_xor_b32_e32 v5, v5, v3
	v_sub_co_u32_e32 v5, vcc, v5, v3
	v_subb_co_u32_e32 v6, vcc, v6, v3, vcc
	global_store_dwordx2 v[0:1], v[5:6], off
.LBB31_414:
	s_andn2_b64 vcc, exec, s[8:9]
	s_cbranch_vccnz .LBB31_416
; %bb.415:
	v_lshlrev_b32_e32 v3, 16, v2
	v_cvt_i32_f32_e32 v3, v3
	global_store_dword v[0:1], v3, off
.LBB31_416:
	s_mov_b64 s[8:9], 0
.LBB31_417:
	s_andn2_b64 vcc, exec, s[8:9]
	s_cbranch_vccnz .LBB31_419
; %bb.418:
	v_lshlrev_b32_e32 v3, 16, v2
	v_cvt_i32_f32_e32 v3, v3
	global_store_short v[0:1], v3, off
.LBB31_419:
	s_mov_b64 s[8:9], 0
.LBB31_420:
	s_andn2_b64 vcc, exec, s[8:9]
	s_cbranch_vccnz .LBB31_425
; %bb.421:
	s_mov_b64 s[8:9], -1
	s_cmp_gt_i32 s10, 0
	v_lshlrev_b32_e32 v2, 16, v2
	s_cbranch_scc0 .LBB31_423
; %bb.422:
	v_cvt_i32_f32_e32 v3, v2
	s_mov_b64 s[8:9], 0
	global_store_byte v[0:1], v3, off
.LBB31_423:
	s_andn2_b64 vcc, exec, s[8:9]
	s_cbranch_vccnz .LBB31_425
; %bb.424:
	v_trunc_f32_e32 v2, v2
	s_mov_b32 s8, 0x2f800000
	v_mul_f32_e64 v3, |v2|, s8
	v_floor_f32_e32 v3, v3
	s_mov_b32 s8, 0xcf800000
	v_fma_f32 v3, v3, s8, |v2|
	v_cvt_u32_f32_e32 v3, v3
	v_ashrrev_i32_e32 v2, 31, v2
	v_xor_b32_e32 v3, v3, v2
	v_sub_u32_e32 v2, v3, v2
	global_store_byte v[0:1], v2, off
.LBB31_425:
	s_mov_b64 s[8:9], -1
.LBB31_426:
	s_andn2_b64 vcc, exec, s[8:9]
	s_cbranch_vccnz .LBB31_428
; %bb.427:
	v_add_u32_e32 v8, 0x80, v8
	s_mov_b64 s[8:9], -1
	s_branch .LBB31_541
.LBB31_428:
	s_mov_b64 s[8:9], 0
	s_branch .LBB31_540
.LBB31_429:
	s_mov_b64 s[2:3], -1
                                        ; implicit-def: $vgpr3
.LBB31_430:
	s_mov_b64 s[8:9], 0
.LBB31_431:
	s_and_b64 vcc, exec, s[8:9]
	s_cbranch_vccz .LBB31_435
; %bb.432:
	s_cmp_eq_u32 s12, 29
	s_cbranch_scc0 .LBB31_434
; %bb.433:
	global_load_dwordx2 v[5:6], v[1:2], off
	s_movk_i32 s2, 0x7fff
	s_mov_b64 s[0:1], -1
	s_mov_b64 s[8:9], 0
	s_waitcnt vmcnt(0)
	v_ffbh_u32_e32 v3, v6
	v_min_u32_e32 v3, 32, v3
	v_lshlrev_b64 v[5:6], v3, v[5:6]
	v_sub_u32_e32 v3, 32, v3
	v_min_u32_e32 v5, 1, v5
	v_or_b32_e32 v5, v6, v5
	v_cvt_f32_u32_e32 v5, v5
	v_ldexp_f32 v3, v5, v3
	v_bfe_u32 v5, v3, 16, 1
	v_add3_u32 v3, v3, v5, s2
	v_lshrrev_b32_e32 v3, 16, v3
	s_mov_b64 s[2:3], 0
	s_branch .LBB31_436
.LBB31_434:
	s_mov_b64 s[2:3], -1
                                        ; implicit-def: $vgpr3
.LBB31_435:
	s_mov_b64 s[8:9], 0
.LBB31_436:
	s_and_b64 vcc, exec, s[8:9]
	s_cbranch_vccz .LBB31_454
; %bb.437:
	s_cmp_lt_i32 s12, 27
	s_cbranch_scc1 .LBB31_440
; %bb.438:
	s_cmp_gt_i32 s12, 27
	s_cbranch_scc0 .LBB31_441
; %bb.439:
	global_load_dword v3, v[1:2], off
	s_movk_i32 s0, 0x7fff
	s_waitcnt vmcnt(0)
	v_cvt_f32_u32_e32 v3, v3
	v_bfe_u32 v5, v3, 16, 1
	v_add3_u32 v3, v3, v5, s0
	v_lshrrev_b32_e32 v3, 16, v3
	s_mov_b64 s[0:1], 0
	s_branch .LBB31_442
.LBB31_440:
	s_mov_b64 s[0:1], -1
                                        ; implicit-def: $vgpr3
	s_branch .LBB31_445
.LBB31_441:
	s_mov_b64 s[0:1], -1
                                        ; implicit-def: $vgpr3
.LBB31_442:
	s_andn2_b64 vcc, exec, s[0:1]
	s_cbranch_vccnz .LBB31_444
; %bb.443:
	global_load_ushort v3, v[1:2], off
	s_movk_i32 s0, 0x7fff
	s_waitcnt vmcnt(0)
	v_cvt_f32_u32_e32 v3, v3
	v_bfe_u32 v5, v3, 16, 1
	v_add3_u32 v3, v3, v5, s0
	v_lshrrev_b32_e32 v3, 16, v3
.LBB31_444:
	s_mov_b64 s[0:1], 0
.LBB31_445:
	s_andn2_b64 vcc, exec, s[0:1]
	s_cbranch_vccnz .LBB31_453
; %bb.446:
	global_load_ubyte v3, v[1:2], off
	s_movk_i32 s0, 0x7f
	s_waitcnt vmcnt(0)
	v_cmp_lt_i16_e32 vcc, s0, v3
	s_mov_b64 s[0:1], 0
	s_and_saveexec_b64 s[8:9], vcc
	s_xor_b64 s[8:9], exec, s[8:9]
	s_cbranch_execz .LBB31_467
; %bb.447:
	s_movk_i32 s0, 0x80
	v_cmp_eq_u16_e32 vcc, s0, v3
	s_mov_b64 s[0:1], -1
	s_and_saveexec_b64 s[10:11], vcc
; %bb.448:
	s_xor_b64 s[0:1], exec, -1
; %bb.449:
	s_or_b64 exec, exec, s[10:11]
	s_and_b64 s[0:1], s[0:1], exec
	s_or_saveexec_b64 s[8:9], s[8:9]
	v_mov_b32_e32 v5, 0x7f800001
	s_xor_b64 exec, exec, s[8:9]
	s_cbranch_execnz .LBB31_468
.LBB31_450:
	s_or_b64 exec, exec, s[8:9]
	s_and_saveexec_b64 s[8:9], s[0:1]
	s_cbranch_execz .LBB31_452
.LBB31_451:
	v_lshlrev_b32_e32 v5, 24, v3
	v_and_b32_e32 v3, 0xffff, v3
	v_and_b32_e32 v6, 7, v3
	v_ffbh_u32_e32 v9, v6
	v_min_u32_e32 v9, 32, v9
	v_subrev_u32_e32 v10, 28, v9
	v_bfe_u32 v7, v3, 3, 4
	v_lshlrev_b32_e32 v3, v10, v3
	v_sub_u32_e32 v9, 29, v9
	v_and_b32_e32 v3, 7, v3
	v_cmp_eq_u32_e32 vcc, 0, v7
	v_cndmask_b32_e32 v7, v7, v9, vcc
	v_cndmask_b32_e32 v3, v6, v3, vcc
	v_mov_b32_e32 v6, 0x3b800000
	v_lshlrev_b32_e32 v3, 20, v3
	v_and_b32_e32 v5, 0x80000000, v5
	v_lshl_add_u32 v6, v7, 23, v6
	v_or3_b32 v5, v5, v6, v3
.LBB31_452:
	s_or_b64 exec, exec, s[8:9]
	v_bfe_u32 v3, v5, 16, 1
	s_movk_i32 s0, 0x7fff
	v_add3_u32 v3, v5, v3, s0
	v_cmp_o_f32_e32 vcc, v5, v5
	v_mov_b32_e32 v5, 0x7fc0
	v_cndmask_b32_sdwa v3, v5, v3, vcc dst_sel:DWORD dst_unused:UNUSED_PAD src0_sel:DWORD src1_sel:WORD_1
.LBB31_453:
	s_mov_b64 s[0:1], -1
.LBB31_454:
	s_mov_b64 s[8:9], 0
.LBB31_455:
	s_and_b64 vcc, exec, s[8:9]
	s_cbranch_vccz .LBB31_490
; %bb.456:
	s_cmp_gt_i32 s12, 22
	s_cbranch_scc0 .LBB31_466
; %bb.457:
	s_cmp_lt_i32 s12, 24
	s_cbranch_scc1 .LBB31_469
; %bb.458:
	s_cmp_gt_i32 s12, 24
	s_cbranch_scc0 .LBB31_470
; %bb.459:
	global_load_ubyte v3, v[1:2], off
	s_movk_i32 s0, 0x7f
	s_waitcnt vmcnt(0)
	v_cmp_lt_i16_e32 vcc, s0, v3
	s_mov_b64 s[0:1], 0
	s_and_saveexec_b64 s[8:9], vcc
	s_xor_b64 s[8:9], exec, s[8:9]
	s_cbranch_execz .LBB31_482
; %bb.460:
	s_movk_i32 s0, 0x80
	v_cmp_eq_u16_e32 vcc, s0, v3
	s_mov_b64 s[0:1], -1
	s_and_saveexec_b64 s[10:11], vcc
; %bb.461:
	s_xor_b64 s[0:1], exec, -1
; %bb.462:
	s_or_b64 exec, exec, s[10:11]
	s_and_b64 s[0:1], s[0:1], exec
	s_or_saveexec_b64 s[8:9], s[8:9]
	v_mov_b32_e32 v5, 0x7f800001
	s_xor_b64 exec, exec, s[8:9]
	s_cbranch_execnz .LBB31_483
.LBB31_463:
	s_or_b64 exec, exec, s[8:9]
	s_and_saveexec_b64 s[8:9], s[0:1]
	s_cbranch_execz .LBB31_465
.LBB31_464:
	v_lshlrev_b32_e32 v5, 24, v3
	v_and_b32_e32 v3, 0xffff, v3
	v_and_b32_e32 v6, 3, v3
	v_ffbh_u32_e32 v9, v6
	v_min_u32_e32 v9, 32, v9
	v_subrev_u32_e32 v10, 29, v9
	v_bfe_u32 v7, v3, 2, 5
	v_lshlrev_b32_e32 v3, v10, v3
	v_sub_u32_e32 v9, 30, v9
	v_and_b32_e32 v3, 3, v3
	v_cmp_eq_u32_e32 vcc, 0, v7
	v_cndmask_b32_e32 v7, v7, v9, vcc
	v_cndmask_b32_e32 v3, v6, v3, vcc
	v_mov_b32_e32 v6, 0x37800000
	v_lshlrev_b32_e32 v3, 21, v3
	v_and_b32_e32 v5, 0x80000000, v5
	v_lshl_add_u32 v6, v7, 23, v6
	v_or3_b32 v5, v5, v6, v3
.LBB31_465:
	s_or_b64 exec, exec, s[8:9]
	v_bfe_u32 v3, v5, 16, 1
	s_movk_i32 s0, 0x7fff
	v_add3_u32 v3, v5, v3, s0
	v_cmp_o_f32_e32 vcc, v5, v5
	v_mov_b32_e32 v5, 0x7fc0
	v_cndmask_b32_sdwa v3, v5, v3, vcc dst_sel:DWORD dst_unused:UNUSED_PAD src0_sel:DWORD src1_sel:WORD_1
	s_mov_b64 s[0:1], 0
	s_branch .LBB31_471
.LBB31_466:
	s_mov_b64 s[8:9], -1
                                        ; implicit-def: $vgpr3
	s_branch .LBB31_477
.LBB31_467:
	s_or_saveexec_b64 s[8:9], s[8:9]
	v_mov_b32_e32 v5, 0x7f800001
	s_xor_b64 exec, exec, s[8:9]
	s_cbranch_execz .LBB31_450
.LBB31_468:
	v_cmp_ne_u16_e32 vcc, 0, v3
	s_andn2_b64 s[0:1], s[0:1], exec
	s_and_b64 s[10:11], vcc, exec
	v_mov_b32_e32 v5, 0
	s_or_b64 s[0:1], s[0:1], s[10:11]
	s_or_b64 exec, exec, s[8:9]
	s_and_saveexec_b64 s[8:9], s[0:1]
	s_cbranch_execnz .LBB31_451
	s_branch .LBB31_452
.LBB31_469:
	s_mov_b64 s[0:1], -1
                                        ; implicit-def: $vgpr3
	s_branch .LBB31_474
.LBB31_470:
	s_mov_b64 s[0:1], -1
                                        ; implicit-def: $vgpr3
.LBB31_471:
	s_and_b64 vcc, exec, s[0:1]
	s_cbranch_vccz .LBB31_473
; %bb.472:
	global_load_ubyte v3, v[1:2], off
	s_mov_b32 s0, 0x7f800000
	s_brev_b32 s1, 1
	s_movk_i32 s8, 0x7fff
	s_waitcnt vmcnt(0)
	v_lshlrev_b32_e32 v3, 24, v3
	v_and_b32_e32 v5, 0x7f000000, v3
	v_ffbh_u32_e32 v6, v5
	v_min_u32_e32 v6, 32, v6
	v_sub_u32_e64 v6, v6, 4 clamp
	v_lshlrev_b32_e32 v9, v6, v5
	v_lshlrev_b32_e32 v6, 23, v6
	v_lshrrev_b32_e32 v9, 4, v9
	v_add_u32_e32 v7, 0x1000000, v5
	v_sub_u32_e32 v6, v9, v6
	v_ashrrev_i32_e32 v7, 8, v7
	v_add_u32_e32 v6, 0x3c000000, v6
	v_and_or_b32 v6, v7, s0, v6
	v_cmp_ne_u32_e32 vcc, 0, v5
	v_cndmask_b32_e32 v5, 0, v6, vcc
	v_and_or_b32 v3, v3, s1, v5
	v_bfe_u32 v5, v5, 16, 1
	v_add3_u32 v5, v3, v5, s8
	v_cmp_o_f32_e32 vcc, v3, v3
	v_mov_b32_e32 v3, 0x7fc0
	v_cndmask_b32_sdwa v3, v3, v5, vcc dst_sel:DWORD dst_unused:UNUSED_PAD src0_sel:DWORD src1_sel:WORD_1
.LBB31_473:
	s_mov_b64 s[0:1], 0
.LBB31_474:
	s_andn2_b64 vcc, exec, s[0:1]
	s_cbranch_vccnz .LBB31_476
; %bb.475:
	global_load_ubyte v3, v[1:2], off
	s_movk_i32 s0, 0x7f00
	s_brev_b32 s1, 16
	s_brev_b32 s8, 1
	s_movk_i32 s9, 0x7fff
	s_waitcnt vmcnt(0)
	v_lshlrev_b16_e32 v5, 8, v3
	v_lshlrev_b32_e32 v3, 25, v3
	v_lshrrev_b32_e32 v6, 4, v3
	v_and_or_b32 v7, v5, s0, 0.5
	v_or_b32_e32 v6, 0x70000000, v6
	v_add_f32_e32 v7, -0.5, v7
	v_mul_f32_e32 v6, 0x7800000, v6
	v_cmp_gt_u32_e32 vcc, s1, v3
	v_bfe_i32 v5, v5, 0, 16
	v_cndmask_b32_e32 v3, v6, v7, vcc
	v_and_or_b32 v5, v5, s8, v3
	v_bfe_u32 v3, v3, 16, 1
	v_add3_u32 v3, v5, v3, s9
	v_cmp_o_f32_e32 vcc, v5, v5
	v_mov_b32_e32 v5, 0x7fc0
	v_cndmask_b32_sdwa v3, v5, v3, vcc dst_sel:DWORD dst_unused:UNUSED_PAD src0_sel:DWORD src1_sel:WORD_1
.LBB31_476:
	s_mov_b64 s[8:9], 0
	s_mov_b64 s[0:1], -1
.LBB31_477:
	s_andn2_b64 vcc, exec, s[8:9]
	s_cbranch_vccnz .LBB31_490
; %bb.478:
	s_cmp_gt_i32 s12, 14
	s_cbranch_scc0 .LBB31_481
; %bb.479:
	s_cmp_eq_u32 s12, 15
	s_cbranch_scc0 .LBB31_484
; %bb.480:
	global_load_ushort v3, v[1:2], off
	s_mov_b64 s[0:1], -1
	s_mov_b64 s[2:3], 0
	s_branch .LBB31_485
.LBB31_481:
	s_mov_b64 s[8:9], -1
                                        ; implicit-def: $vgpr3
	s_branch .LBB31_486
.LBB31_482:
	s_or_saveexec_b64 s[8:9], s[8:9]
	v_mov_b32_e32 v5, 0x7f800001
	s_xor_b64 exec, exec, s[8:9]
	s_cbranch_execz .LBB31_463
.LBB31_483:
	v_cmp_ne_u16_e32 vcc, 0, v3
	s_andn2_b64 s[0:1], s[0:1], exec
	s_and_b64 s[10:11], vcc, exec
	v_mov_b32_e32 v5, 0
	s_or_b64 s[0:1], s[0:1], s[10:11]
	s_or_b64 exec, exec, s[8:9]
	s_and_saveexec_b64 s[8:9], s[0:1]
	s_cbranch_execnz .LBB31_464
	s_branch .LBB31_465
.LBB31_484:
	s_mov_b64 s[2:3], -1
                                        ; implicit-def: $vgpr3
.LBB31_485:
	s_mov_b64 s[8:9], 0
.LBB31_486:
	s_and_b64 vcc, exec, s[8:9]
	s_cbranch_vccz .LBB31_490
; %bb.487:
	s_cmp_eq_u32 s12, 11
	s_cbranch_scc0 .LBB31_489
; %bb.488:
	global_load_ubyte v3, v[1:2], off
	s_mov_b64 s[0:1], -1
	s_mov_b64 s[2:3], 0
	s_waitcnt vmcnt(0)
	v_cmp_ne_u16_e32 vcc, 0, v3
	v_cndmask_b32_e64 v3, 0, 1.0, vcc
	v_lshrrev_b32_e32 v3, 16, v3
	s_branch .LBB31_490
.LBB31_489:
	s_mov_b64 s[2:3], -1
                                        ; implicit-def: $vgpr3
.LBB31_490:
	s_branch .LBB31_293
.LBB31_491:
	s_cmp_lt_i32 s12, 5
	s_cbranch_scc1 .LBB31_496
; %bb.492:
	s_cmp_lt_i32 s12, 8
	s_cbranch_scc1 .LBB31_497
; %bb.493:
	;; [unrolled: 3-line block ×3, first 2 shown]
	s_cmp_gt_i32 s12, 9
	s_cbranch_scc0 .LBB31_499
; %bb.495:
	global_load_dwordx2 v[5:6], v[1:2], off
	s_movk_i32 s0, 0x7fff
	s_waitcnt vmcnt(0)
	v_cvt_f32_f64_e32 v3, v[5:6]
	v_mov_b32_e32 v5, 0x7fc0
	v_bfe_u32 v6, v3, 16, 1
	v_cmp_o_f32_e32 vcc, v3, v3
	v_add3_u32 v3, v3, v6, s0
	v_cndmask_b32_sdwa v3, v5, v3, vcc dst_sel:DWORD dst_unused:UNUSED_PAD src0_sel:DWORD src1_sel:WORD_1
	s_mov_b64 s[0:1], 0
	s_branch .LBB31_500
.LBB31_496:
	s_mov_b64 s[0:1], -1
                                        ; implicit-def: $vgpr3
	s_branch .LBB31_518
.LBB31_497:
	s_mov_b64 s[0:1], -1
                                        ; implicit-def: $vgpr3
	s_branch .LBB31_506
.LBB31_498:
	s_mov_b64 s[0:1], -1
                                        ; implicit-def: $vgpr3
	s_branch .LBB31_503
.LBB31_499:
	s_mov_b64 s[0:1], -1
                                        ; implicit-def: $vgpr3
.LBB31_500:
	s_andn2_b64 vcc, exec, s[0:1]
	s_cbranch_vccnz .LBB31_502
; %bb.501:
	global_load_dword v3, v[1:2], off
	s_movk_i32 s0, 0x7fff
	v_mov_b32_e32 v5, 0x7fc0
	s_waitcnt vmcnt(0)
	v_bfe_u32 v6, v3, 16, 1
	v_cmp_o_f32_e32 vcc, v3, v3
	v_add3_u32 v3, v3, v6, s0
	v_cndmask_b32_sdwa v3, v5, v3, vcc dst_sel:DWORD dst_unused:UNUSED_PAD src0_sel:DWORD src1_sel:WORD_1
.LBB31_502:
	s_mov_b64 s[0:1], 0
.LBB31_503:
	s_andn2_b64 vcc, exec, s[0:1]
	s_cbranch_vccnz .LBB31_505
; %bb.504:
	global_load_dword v3, v[1:2], off
	s_movk_i32 s0, 0x7fff
	v_mov_b32_e32 v6, 0x7fc0
	s_waitcnt vmcnt(0)
	v_cvt_f32_f16_e32 v5, v3
	v_cmp_o_f16_e32 vcc, v3, v3
	v_bfe_u32 v3, v5, 16, 1
	v_add3_u32 v3, v5, v3, s0
	v_cndmask_b32_sdwa v3, v6, v3, vcc dst_sel:DWORD dst_unused:UNUSED_PAD src0_sel:DWORD src1_sel:WORD_1
.LBB31_505:
	s_mov_b64 s[0:1], 0
.LBB31_506:
	s_andn2_b64 vcc, exec, s[0:1]
	s_cbranch_vccnz .LBB31_517
; %bb.507:
	s_cmp_lt_i32 s12, 6
	s_cbranch_scc1 .LBB31_510
; %bb.508:
	s_cmp_gt_i32 s12, 6
	s_cbranch_scc0 .LBB31_511
; %bb.509:
	global_load_dwordx2 v[5:6], v[1:2], off
	s_movk_i32 s0, 0x7fff
	s_waitcnt vmcnt(0)
	v_cvt_f32_f64_e32 v3, v[5:6]
	v_mov_b32_e32 v5, 0x7fc0
	v_bfe_u32 v6, v3, 16, 1
	v_cmp_o_f32_e32 vcc, v3, v3
	v_add3_u32 v3, v3, v6, s0
	v_cndmask_b32_sdwa v3, v5, v3, vcc dst_sel:DWORD dst_unused:UNUSED_PAD src0_sel:DWORD src1_sel:WORD_1
	s_mov_b64 s[0:1], 0
	s_branch .LBB31_512
.LBB31_510:
	s_mov_b64 s[0:1], -1
                                        ; implicit-def: $vgpr3
	s_branch .LBB31_515
.LBB31_511:
	s_mov_b64 s[0:1], -1
                                        ; implicit-def: $vgpr3
.LBB31_512:
	s_andn2_b64 vcc, exec, s[0:1]
	s_cbranch_vccnz .LBB31_514
; %bb.513:
	global_load_dword v3, v[1:2], off
	s_movk_i32 s0, 0x7fff
	v_mov_b32_e32 v5, 0x7fc0
	s_waitcnt vmcnt(0)
	v_bfe_u32 v6, v3, 16, 1
	v_cmp_o_f32_e32 vcc, v3, v3
	v_add3_u32 v3, v3, v6, s0
	v_cndmask_b32_sdwa v3, v5, v3, vcc dst_sel:DWORD dst_unused:UNUSED_PAD src0_sel:DWORD src1_sel:WORD_1
.LBB31_514:
	s_mov_b64 s[0:1], 0
.LBB31_515:
	s_andn2_b64 vcc, exec, s[0:1]
	s_cbranch_vccnz .LBB31_517
; %bb.516:
	global_load_ushort v3, v[1:2], off
	s_movk_i32 s0, 0x7fff
	v_mov_b32_e32 v6, 0x7fc0
	s_waitcnt vmcnt(0)
	v_cvt_f32_f16_e32 v5, v3
	v_cmp_o_f16_e32 vcc, v3, v3
	v_bfe_u32 v3, v5, 16, 1
	v_add3_u32 v3, v5, v3, s0
	v_cndmask_b32_sdwa v3, v6, v3, vcc dst_sel:DWORD dst_unused:UNUSED_PAD src0_sel:DWORD src1_sel:WORD_1
.LBB31_517:
	s_mov_b64 s[0:1], 0
.LBB31_518:
	s_andn2_b64 vcc, exec, s[0:1]
	s_cbranch_vccnz .LBB31_538
; %bb.519:
	s_cmp_lt_i32 s12, 2
	s_cbranch_scc1 .LBB31_523
; %bb.520:
	s_cmp_lt_i32 s12, 3
	s_cbranch_scc1 .LBB31_524
; %bb.521:
	s_cmp_gt_i32 s12, 3
	s_cbranch_scc0 .LBB31_525
; %bb.522:
	global_load_dwordx2 v[5:6], v[1:2], off
	s_movk_i32 s0, 0x7fff
	s_waitcnt vmcnt(0)
	v_xor_b32_e32 v7, v5, v6
	v_ffbh_i32_e32 v3, v6
	v_ashrrev_i32_e32 v7, 31, v7
	v_add_u32_e32 v3, -1, v3
	v_add_u32_e32 v7, 32, v7
	v_min_u32_e32 v3, v3, v7
	v_lshlrev_b64 v[5:6], v3, v[5:6]
	v_sub_u32_e32 v3, 32, v3
	v_min_u32_e32 v5, 1, v5
	v_or_b32_e32 v5, v6, v5
	v_cvt_f32_i32_e32 v5, v5
	v_ldexp_f32 v3, v5, v3
	v_bfe_u32 v5, v3, 16, 1
	v_add3_u32 v3, v3, v5, s0
	v_lshrrev_b32_e32 v3, 16, v3
	s_mov_b64 s[0:1], 0
	s_branch .LBB31_526
.LBB31_523:
	s_mov_b64 s[0:1], -1
                                        ; implicit-def: $vgpr3
	s_branch .LBB31_532
.LBB31_524:
	s_mov_b64 s[0:1], -1
                                        ; implicit-def: $vgpr3
	s_branch .LBB31_529
.LBB31_525:
	s_mov_b64 s[0:1], -1
                                        ; implicit-def: $vgpr3
.LBB31_526:
	s_andn2_b64 vcc, exec, s[0:1]
	s_cbranch_vccnz .LBB31_528
; %bb.527:
	global_load_dword v3, v[1:2], off
	s_movk_i32 s0, 0x7fff
	s_waitcnt vmcnt(0)
	v_cvt_f32_i32_e32 v3, v3
	v_bfe_u32 v5, v3, 16, 1
	v_add3_u32 v3, v3, v5, s0
	v_lshrrev_b32_e32 v3, 16, v3
.LBB31_528:
	s_mov_b64 s[0:1], 0
.LBB31_529:
	s_andn2_b64 vcc, exec, s[0:1]
	s_cbranch_vccnz .LBB31_531
; %bb.530:
	global_load_sshort v3, v[1:2], off
	s_movk_i32 s0, 0x7fff
	s_waitcnt vmcnt(0)
	v_cvt_f32_i32_e32 v3, v3
	v_bfe_u32 v5, v3, 16, 1
	v_add3_u32 v3, v3, v5, s0
	v_lshrrev_b32_e32 v3, 16, v3
.LBB31_531:
	s_mov_b64 s[0:1], 0
.LBB31_532:
	s_andn2_b64 vcc, exec, s[0:1]
	s_cbranch_vccnz .LBB31_538
; %bb.533:
	s_cmp_gt_i32 s12, 0
	s_cbranch_scc0 .LBB31_535
; %bb.534:
	global_load_sbyte v3, v[1:2], off
	s_movk_i32 s0, 0x7fff
	s_waitcnt vmcnt(0)
	v_cvt_f32_i32_e32 v3, v3
	v_bfe_u32 v5, v3, 16, 1
	v_add3_u32 v3, v3, v5, s0
	v_lshrrev_b32_e32 v3, 16, v3
	s_mov_b64 s[0:1], 0
	s_branch .LBB31_536
.LBB31_535:
	s_mov_b64 s[0:1], -1
                                        ; implicit-def: $vgpr3
.LBB31_536:
	s_andn2_b64 vcc, exec, s[0:1]
	s_cbranch_vccnz .LBB31_538
; %bb.537:
	global_load_ubyte v1, v[1:2], off
	s_movk_i32 s0, 0x7fff
	s_waitcnt vmcnt(0)
	v_cvt_f32_ubyte0_e32 v1, v1
	v_bfe_u32 v2, v1, 16, 1
	v_add3_u32 v1, v1, v2, s0
	v_lshrrev_b32_e32 v3, 16, v1
.LBB31_538:
	s_branch .LBB31_294
.LBB31_539:
	s_mov_b64 s[8:9], 0
	s_mov_b64 s[0:1], s[52:53]
.LBB31_540:
                                        ; implicit-def: $vgpr8
.LBB31_541:
	s_andn2_b64 s[10:11], s[52:53], exec
	s_and_b64 s[0:1], s[0:1], exec
	s_or_b64 s[60:61], s[10:11], s[0:1]
	s_andn2_b64 s[0:1], s[54:55], exec
	s_and_b64 s[2:3], s[2:3], exec
	s_or_b64 s[58:59], s[0:1], s[2:3]
	s_orn2_b64 s[0:1], s[8:9], exec
.LBB31_542:
	s_or_b64 exec, exec, s[62:63]
	s_mov_b64 s[2:3], 0
	s_mov_b64 s[8:9], 0
	;; [unrolled: 1-line block ×3, first 2 shown]
                                        ; implicit-def: $vgpr1_vgpr2
                                        ; implicit-def: $vgpr0
                                        ; implicit-def: $vgpr5
	s_and_saveexec_b64 s[62:63], s[0:1]
	s_cbranch_execz .LBB31_917
; %bb.543:
	v_cmp_gt_i32_e32 vcc, s70, v8
	s_mov_b64 s[2:3], -1
	s_mov_b64 s[66:67], s[58:59]
	s_mov_b64 s[68:69], s[60:61]
	s_and_saveexec_b64 s[64:65], vcc
	s_cbranch_execz .LBB31_817
; %bb.544:
	s_andn2_b64 vcc, exec, s[40:41]
	s_cbranch_vccnz .LBB31_549
; %bb.545:
	s_andn2_b64 vcc, exec, s[50:51]
	s_cbranch_vccnz .LBB31_550
; %bb.546:
	s_add_i32 s77, s76, 1
	s_cmp_eq_u32 s72, 2
	s_cbranch_scc1 .LBB31_551
; %bb.547:
	s_and_b32 s71, s77, 28
	v_mov_b32_e32 v2, 0
	s_mov_b32 s78, 0
	s_mov_b64 s[66:67], s[34:35]
	s_mov_b64 s[68:69], s[48:49]
	v_mov_b32_e32 v0, 0
	v_mov_b32_e32 v1, v8
.LBB31_548:                             ; =>This Inner Loop Header: Depth=1
	s_load_dwordx8 s[16:23], s[66:67], 0x4
	s_load_dwordx4 s[0:3], s[66:67], 0x24
	s_load_dwordx8 s[8:15], s[68:69], 0x0
	s_add_u32 s66, s66, 48
	s_addc_u32 s67, s67, 0
	s_waitcnt vmcnt(0) lgkmcnt(0)
	v_mul_hi_u32 v3, s17, v1
	s_add_i32 s78, s78, 4
	s_add_u32 s68, s68, 32
	s_addc_u32 s69, s69, 0
	v_add_u32_e32 v3, v1, v3
	v_lshrrev_b32_e32 v3, s18, v3
	v_mul_lo_u32 v5, v3, s16
	v_mul_hi_u32 v6, s20, v3
	s_cmp_eq_u32 s71, s78
	v_sub_u32_e32 v1, v1, v5
	v_add_u32_e32 v5, v3, v6
	v_mul_lo_u32 v6, v1, s8
	v_mul_lo_u32 v7, v1, s9
	v_lshrrev_b32_e32 v1, s21, v5
	v_mul_lo_u32 v5, v1, s19
	v_mul_hi_u32 v9, s23, v1
	v_sub_u32_e32 v3, v3, v5
	v_add_u32_e32 v5, v1, v9
	v_lshrrev_b32_e32 v5, s0, v5
	v_mul_hi_u32 v10, s2, v5
	v_mul_lo_u32 v11, v5, s22
	v_mul_lo_u32 v9, v3, s10
	;; [unrolled: 1-line block ×3, first 2 shown]
	v_sub_u32_e32 v11, v1, v11
	v_add_u32_e32 v1, v5, v10
	v_lshrrev_b32_e32 v1, s3, v1
	v_mul_lo_u32 v10, v1, s1
	v_mul_lo_u32 v12, v11, s12
	;; [unrolled: 1-line block ×3, first 2 shown]
	v_add3_u32 v0, v6, v0, v9
	v_sub_u32_e32 v5, v5, v10
	v_mul_lo_u32 v10, v5, s14
	v_mul_lo_u32 v5, v5, s15
	v_add3_u32 v2, v7, v2, v3
	v_add3_u32 v0, v12, v0, v10
	;; [unrolled: 1-line block ×3, first 2 shown]
	s_cbranch_scc0 .LBB31_548
	s_branch .LBB31_552
.LBB31_549:
	s_mov_b64 s[0:1], -1
                                        ; implicit-def: $vgpr0
                                        ; implicit-def: $vgpr2
	s_branch .LBB31_556
.LBB31_550:
	v_mov_b32_e32 v0, 0
	v_mov_b32_e32 v2, 0
	s_branch .LBB31_555
.LBB31_551:
	s_mov_b32 s71, 0
	v_mov_b32_e32 v0, 0
	v_mov_b32_e32 v2, 0
	;; [unrolled: 1-line block ×3, first 2 shown]
.LBB31_552:
	s_and_b32 s8, s77, 3
	s_cmp_eq_u32 s8, 0
	s_cbranch_scc1 .LBB31_555
; %bb.553:
	s_lshl_b32 s0, s71, 3
	s_add_u32 s0, s34, s0
	s_addc_u32 s1, s35, 0
	s_add_u32 s0, s0, 0xc4
	s_addc_u32 s1, s1, 0
	s_mul_i32 s2, s71, 12
	s_add_u32 s2, s34, s2
	s_addc_u32 s3, s35, 0
.LBB31_554:                             ; =>This Inner Loop Header: Depth=1
	s_load_dwordx2 s[10:11], s[2:3], 0x4
	s_load_dword s9, s[2:3], 0xc
	s_load_dwordx2 s[12:13], s[0:1], 0x0
	s_add_u32 s2, s2, 12
	s_addc_u32 s3, s3, 0
	s_waitcnt vmcnt(0) lgkmcnt(0)
	v_mul_hi_u32 v3, s11, v1
	s_add_u32 s0, s0, 8
	s_addc_u32 s1, s1, 0
	s_add_i32 s8, s8, -1
	v_add_u32_e32 v3, v1, v3
	v_lshrrev_b32_e32 v5, s9, v3
	v_mul_lo_u32 v3, v5, s10
	s_cmp_lg_u32 s8, 0
	v_sub_u32_e32 v3, v1, v3
	v_mad_u64_u32 v[0:1], s[10:11], v3, s12, v[0:1]
	v_mad_u64_u32 v[2:3], s[10:11], v3, s13, v[2:3]
	v_mov_b32_e32 v1, v5
	s_cbranch_scc1 .LBB31_554
.LBB31_555:
	s_mov_b64 s[0:1], 0
.LBB31_556:
	s_andn2_b64 vcc, exec, s[0:1]
	s_cbranch_vccnz .LBB31_559
; %bb.557:
	v_mul_hi_u32 v0, s29, v8
	s_andn2_b64 vcc, exec, s[46:47]
	v_add_u32_e32 v0, v8, v0
	v_lshrrev_b32_e32 v1, s30, v0
	v_mul_lo_u32 v0, v1, s28
	v_sub_u32_e32 v2, v8, v0
	v_mul_lo_u32 v0, v2, s36
	v_mul_lo_u32 v2, v2, s37
	s_cbranch_vccnz .LBB31_559
; %bb.558:
	s_waitcnt vmcnt(0)
	v_mul_hi_u32 v3, s44, v1
	v_add_u32_e32 v3, v1, v3
	v_lshrrev_b32_e32 v3, s45, v3
	v_mul_lo_u32 v3, v3, s31
	v_sub_u32_e32 v3, v1, v3
	v_mad_u64_u32 v[0:1], s[0:1], v3, s38, v[0:1]
	v_mad_u64_u32 v[2:3], s[0:1], v3, s39, v[2:3]
.LBB31_559:
	s_waitcnt vmcnt(0)
	v_mov_b32_e32 v3, s27
	s_and_b32 s12, 0xffff, s75
	v_add_co_u32_e32 v1, vcc, s26, v2
	s_cmp_lt_i32 s12, 11
	v_addc_co_u32_e32 v2, vcc, 0, v3, vcc
	s_cbranch_scc1 .LBB31_566
; %bb.560:
	s_cmp_gt_i32 s12, 25
	s_cbranch_scc0 .LBB31_567
; %bb.561:
	s_cmp_gt_i32 s12, 28
	s_cbranch_scc0 .LBB31_568
	;; [unrolled: 3-line block ×4, first 2 shown]
; %bb.564:
	s_cmp_eq_u32 s12, 46
	s_mov_b64 s[8:9], 0
	s_cbranch_scc0 .LBB31_575
; %bb.565:
	global_load_dword v3, v[1:2], off
	s_mov_b64 s[0:1], -1
	s_mov_b64 s[2:3], 0
	s_branch .LBB31_576
.LBB31_566:
	s_mov_b64 s[8:9], -1
	s_mov_b64 s[0:1], 0
                                        ; implicit-def: $vgpr3
	s_mov_b64 s[2:3], s[58:59]
	s_branch .LBB31_641
.LBB31_567:
	s_mov_b64 s[8:9], -1
	s_mov_b64 s[0:1], 0
	s_mov_b64 s[2:3], s[58:59]
                                        ; implicit-def: $vgpr3
	s_branch .LBB31_605
.LBB31_568:
	s_mov_b64 s[8:9], -1
	s_mov_b64 s[0:1], 0
	s_mov_b64 s[2:3], s[58:59]
                                        ; implicit-def: $vgpr3
	s_branch .LBB31_586
.LBB31_569:
	s_mov_b64 s[8:9], -1
	s_mov_b64 s[0:1], 0
	s_mov_b64 s[2:3], s[58:59]
                                        ; implicit-def: $vgpr3
	s_branch .LBB31_581
.LBB31_570:
	s_andn2_saveexec_b64 s[12:13], s[12:13]
	s_cbranch_execz .LBB31_339
.LBB31_571:
	s_mov_b32 s16, 0x46000000
	v_add_f32_e64 v5, |v6|, s16
	v_and_b32_e32 v5, 0xff, v5
	v_cmp_ne_u32_e32 vcc, 0, v5
	s_andn2_b64 s[10:11], s[10:11], exec
	s_and_b64 s[16:17], vcc, exec
	s_or_b64 s[10:11], s[10:11], s[16:17]
	s_or_b64 exec, exec, s[12:13]
	v_mov_b32_e32 v7, 0
	s_and_saveexec_b64 s[12:13], s[10:11]
	s_cbranch_execnz .LBB31_340
	s_branch .LBB31_341
.LBB31_572:
	s_mov_b64 s[8:9], -1
	s_mov_b64 s[0:1], 0
	s_mov_b64 s[2:3], s[58:59]
                                        ; implicit-def: $vgpr3
	s_branch .LBB31_576
.LBB31_573:
	s_andn2_saveexec_b64 s[12:13], s[12:13]
	s_cbranch_execz .LBB31_352
.LBB31_574:
	s_mov_b32 s16, 0x42800000
	v_add_f32_e64 v5, |v6|, s16
	v_and_b32_e32 v5, 0xff, v5
	v_cmp_ne_u32_e32 vcc, 0, v5
	s_andn2_b64 s[10:11], s[10:11], exec
	s_and_b64 s[16:17], vcc, exec
	s_or_b64 s[10:11], s[10:11], s[16:17]
	s_or_b64 exec, exec, s[12:13]
	v_mov_b32_e32 v7, 0
	s_and_saveexec_b64 s[12:13], s[10:11]
	s_cbranch_execnz .LBB31_353
	s_branch .LBB31_354
.LBB31_575:
	s_mov_b64 s[2:3], -1
                                        ; implicit-def: $vgpr3
	s_mov_b64 s[0:1], 0
.LBB31_576:
	s_and_b64 vcc, exec, s[8:9]
	s_cbranch_vccz .LBB31_580
; %bb.577:
	s_cmp_eq_u32 s12, 44
	s_cbranch_scc0 .LBB31_579
; %bb.578:
	global_load_ubyte v3, v[1:2], off
	s_movk_i32 s2, 0xff
	v_mov_b32_e32 v5, 0x7f800001
	v_mov_b32_e32 v6, 0x400000
	;; [unrolled: 1-line block ×3, first 2 shown]
	s_mov_b64 s[0:1], -1
	s_waitcnt vmcnt(0)
	v_lshlrev_b32_e32 v9, 23, v3
	v_cmp_ne_u32_e32 vcc, s2, v3
	v_cndmask_b32_e32 v5, v5, v9, vcc
	v_cmp_ne_u32_e32 vcc, 0, v3
	v_cndmask_b32_e32 v3, v6, v5, vcc
	v_add_u32_e32 v5, 0x7fff, v3
	v_cmp_o_f32_e32 vcc, v3, v3
	v_cndmask_b32_sdwa v3, v7, v5, vcc dst_sel:DWORD dst_unused:UNUSED_PAD src0_sel:DWORD src1_sel:WORD_1
	s_mov_b64 s[2:3], 0
	s_branch .LBB31_580
.LBB31_579:
	s_mov_b64 s[2:3], -1
                                        ; implicit-def: $vgpr3
.LBB31_580:
	s_mov_b64 s[8:9], 0
.LBB31_581:
	s_and_b64 vcc, exec, s[8:9]
	s_cbranch_vccz .LBB31_585
; %bb.582:
	s_cmp_eq_u32 s12, 29
	s_cbranch_scc0 .LBB31_584
; %bb.583:
	global_load_dwordx2 v[5:6], v[1:2], off
	s_movk_i32 s2, 0x7fff
	s_mov_b64 s[0:1], -1
	s_mov_b64 s[8:9], 0
	s_waitcnt vmcnt(0)
	v_ffbh_u32_e32 v3, v6
	v_min_u32_e32 v3, 32, v3
	v_lshlrev_b64 v[5:6], v3, v[5:6]
	v_sub_u32_e32 v3, 32, v3
	v_min_u32_e32 v5, 1, v5
	v_or_b32_e32 v5, v6, v5
	v_cvt_f32_u32_e32 v5, v5
	v_ldexp_f32 v3, v5, v3
	v_bfe_u32 v5, v3, 16, 1
	v_add3_u32 v3, v3, v5, s2
	v_lshrrev_b32_e32 v3, 16, v3
	s_mov_b64 s[2:3], 0
	s_branch .LBB31_586
.LBB31_584:
	s_mov_b64 s[2:3], -1
                                        ; implicit-def: $vgpr3
.LBB31_585:
	s_mov_b64 s[8:9], 0
.LBB31_586:
	s_and_b64 vcc, exec, s[8:9]
	s_cbranch_vccz .LBB31_604
; %bb.587:
	s_cmp_lt_i32 s12, 27
	s_cbranch_scc1 .LBB31_590
; %bb.588:
	s_cmp_gt_i32 s12, 27
	s_cbranch_scc0 .LBB31_591
; %bb.589:
	global_load_dword v3, v[1:2], off
	s_movk_i32 s0, 0x7fff
	s_waitcnt vmcnt(0)
	v_cvt_f32_u32_e32 v3, v3
	v_bfe_u32 v5, v3, 16, 1
	v_add3_u32 v3, v3, v5, s0
	v_lshrrev_b32_e32 v3, 16, v3
	s_mov_b64 s[0:1], 0
	s_branch .LBB31_592
.LBB31_590:
	s_mov_b64 s[0:1], -1
                                        ; implicit-def: $vgpr3
	s_branch .LBB31_595
.LBB31_591:
	s_mov_b64 s[0:1], -1
                                        ; implicit-def: $vgpr3
.LBB31_592:
	s_andn2_b64 vcc, exec, s[0:1]
	s_cbranch_vccnz .LBB31_594
; %bb.593:
	global_load_ushort v3, v[1:2], off
	s_movk_i32 s0, 0x7fff
	s_waitcnt vmcnt(0)
	v_cvt_f32_u32_e32 v3, v3
	v_bfe_u32 v5, v3, 16, 1
	v_add3_u32 v3, v3, v5, s0
	v_lshrrev_b32_e32 v3, 16, v3
.LBB31_594:
	s_mov_b64 s[0:1], 0
.LBB31_595:
	s_andn2_b64 vcc, exec, s[0:1]
	s_cbranch_vccnz .LBB31_603
; %bb.596:
	global_load_ubyte v3, v[1:2], off
	s_movk_i32 s0, 0x7f
	s_waitcnt vmcnt(0)
	v_cmp_lt_i16_e32 vcc, s0, v3
	s_mov_b64 s[0:1], 0
	s_and_saveexec_b64 s[8:9], vcc
	s_xor_b64 s[8:9], exec, s[8:9]
	s_cbranch_execz .LBB31_617
; %bb.597:
	s_movk_i32 s0, 0x80
	v_cmp_eq_u16_e32 vcc, s0, v3
	s_mov_b64 s[0:1], -1
	s_and_saveexec_b64 s[10:11], vcc
; %bb.598:
	s_xor_b64 s[0:1], exec, -1
; %bb.599:
	s_or_b64 exec, exec, s[10:11]
	s_and_b64 s[0:1], s[0:1], exec
	s_or_saveexec_b64 s[8:9], s[8:9]
	v_mov_b32_e32 v5, 0x7f800001
	s_xor_b64 exec, exec, s[8:9]
	s_cbranch_execnz .LBB31_618
.LBB31_600:
	s_or_b64 exec, exec, s[8:9]
	s_and_saveexec_b64 s[8:9], s[0:1]
	s_cbranch_execz .LBB31_602
.LBB31_601:
	v_lshlrev_b32_e32 v5, 24, v3
	v_and_b32_e32 v3, 0xffff, v3
	v_and_b32_e32 v6, 7, v3
	v_ffbh_u32_e32 v9, v6
	v_min_u32_e32 v9, 32, v9
	v_subrev_u32_e32 v10, 28, v9
	v_bfe_u32 v7, v3, 3, 4
	v_lshlrev_b32_e32 v3, v10, v3
	v_sub_u32_e32 v9, 29, v9
	v_and_b32_e32 v3, 7, v3
	v_cmp_eq_u32_e32 vcc, 0, v7
	v_cndmask_b32_e32 v7, v7, v9, vcc
	v_cndmask_b32_e32 v3, v6, v3, vcc
	v_mov_b32_e32 v6, 0x3b800000
	v_lshlrev_b32_e32 v3, 20, v3
	v_and_b32_e32 v5, 0x80000000, v5
	v_lshl_add_u32 v6, v7, 23, v6
	v_or3_b32 v5, v5, v6, v3
.LBB31_602:
	s_or_b64 exec, exec, s[8:9]
	v_bfe_u32 v3, v5, 16, 1
	s_movk_i32 s0, 0x7fff
	v_add3_u32 v3, v5, v3, s0
	v_cmp_o_f32_e32 vcc, v5, v5
	v_mov_b32_e32 v5, 0x7fc0
	v_cndmask_b32_sdwa v3, v5, v3, vcc dst_sel:DWORD dst_unused:UNUSED_PAD src0_sel:DWORD src1_sel:WORD_1
.LBB31_603:
	s_mov_b64 s[0:1], -1
.LBB31_604:
	s_mov_b64 s[8:9], 0
.LBB31_605:
	s_and_b64 vcc, exec, s[8:9]
	s_cbranch_vccz .LBB31_640
; %bb.606:
	s_cmp_gt_i32 s12, 22
	s_cbranch_scc0 .LBB31_616
; %bb.607:
	s_cmp_lt_i32 s12, 24
	s_cbranch_scc1 .LBB31_619
; %bb.608:
	s_cmp_gt_i32 s12, 24
	s_cbranch_scc0 .LBB31_620
; %bb.609:
	global_load_ubyte v3, v[1:2], off
	s_movk_i32 s0, 0x7f
	s_waitcnt vmcnt(0)
	v_cmp_lt_i16_e32 vcc, s0, v3
	s_mov_b64 s[0:1], 0
	s_and_saveexec_b64 s[8:9], vcc
	s_xor_b64 s[8:9], exec, s[8:9]
	s_cbranch_execz .LBB31_632
; %bb.610:
	s_movk_i32 s0, 0x80
	v_cmp_eq_u16_e32 vcc, s0, v3
	s_mov_b64 s[0:1], -1
	s_and_saveexec_b64 s[10:11], vcc
; %bb.611:
	s_xor_b64 s[0:1], exec, -1
; %bb.612:
	s_or_b64 exec, exec, s[10:11]
	s_and_b64 s[0:1], s[0:1], exec
	s_or_saveexec_b64 s[8:9], s[8:9]
	v_mov_b32_e32 v5, 0x7f800001
	s_xor_b64 exec, exec, s[8:9]
	s_cbranch_execnz .LBB31_633
.LBB31_613:
	s_or_b64 exec, exec, s[8:9]
	s_and_saveexec_b64 s[8:9], s[0:1]
	s_cbranch_execz .LBB31_615
.LBB31_614:
	v_lshlrev_b32_e32 v5, 24, v3
	v_and_b32_e32 v3, 0xffff, v3
	v_and_b32_e32 v6, 3, v3
	v_ffbh_u32_e32 v9, v6
	v_min_u32_e32 v9, 32, v9
	v_subrev_u32_e32 v10, 29, v9
	v_bfe_u32 v7, v3, 2, 5
	v_lshlrev_b32_e32 v3, v10, v3
	v_sub_u32_e32 v9, 30, v9
	v_and_b32_e32 v3, 3, v3
	v_cmp_eq_u32_e32 vcc, 0, v7
	v_cndmask_b32_e32 v7, v7, v9, vcc
	v_cndmask_b32_e32 v3, v6, v3, vcc
	v_mov_b32_e32 v6, 0x37800000
	v_lshlrev_b32_e32 v3, 21, v3
	v_and_b32_e32 v5, 0x80000000, v5
	v_lshl_add_u32 v6, v7, 23, v6
	v_or3_b32 v5, v5, v6, v3
.LBB31_615:
	s_or_b64 exec, exec, s[8:9]
	v_bfe_u32 v3, v5, 16, 1
	s_movk_i32 s0, 0x7fff
	v_add3_u32 v3, v5, v3, s0
	v_cmp_o_f32_e32 vcc, v5, v5
	v_mov_b32_e32 v5, 0x7fc0
	v_cndmask_b32_sdwa v3, v5, v3, vcc dst_sel:DWORD dst_unused:UNUSED_PAD src0_sel:DWORD src1_sel:WORD_1
	s_mov_b64 s[0:1], 0
	s_branch .LBB31_621
.LBB31_616:
	s_mov_b64 s[8:9], -1
                                        ; implicit-def: $vgpr3
	s_branch .LBB31_627
.LBB31_617:
	s_or_saveexec_b64 s[8:9], s[8:9]
	v_mov_b32_e32 v5, 0x7f800001
	s_xor_b64 exec, exec, s[8:9]
	s_cbranch_execz .LBB31_600
.LBB31_618:
	v_cmp_ne_u16_e32 vcc, 0, v3
	s_andn2_b64 s[0:1], s[0:1], exec
	s_and_b64 s[10:11], vcc, exec
	v_mov_b32_e32 v5, 0
	s_or_b64 s[0:1], s[0:1], s[10:11]
	s_or_b64 exec, exec, s[8:9]
	s_and_saveexec_b64 s[8:9], s[0:1]
	s_cbranch_execnz .LBB31_601
	s_branch .LBB31_602
.LBB31_619:
	s_mov_b64 s[0:1], -1
                                        ; implicit-def: $vgpr3
	s_branch .LBB31_624
.LBB31_620:
	s_mov_b64 s[0:1], -1
                                        ; implicit-def: $vgpr3
.LBB31_621:
	s_and_b64 vcc, exec, s[0:1]
	s_cbranch_vccz .LBB31_623
; %bb.622:
	global_load_ubyte v3, v[1:2], off
	s_mov_b32 s0, 0x7f800000
	s_brev_b32 s1, 1
	s_movk_i32 s8, 0x7fff
	s_waitcnt vmcnt(0)
	v_lshlrev_b32_e32 v3, 24, v3
	v_and_b32_e32 v5, 0x7f000000, v3
	v_ffbh_u32_e32 v6, v5
	v_min_u32_e32 v6, 32, v6
	v_sub_u32_e64 v6, v6, 4 clamp
	v_lshlrev_b32_e32 v9, v6, v5
	v_lshlrev_b32_e32 v6, 23, v6
	v_lshrrev_b32_e32 v9, 4, v9
	v_add_u32_e32 v7, 0x1000000, v5
	v_sub_u32_e32 v6, v9, v6
	v_ashrrev_i32_e32 v7, 8, v7
	v_add_u32_e32 v6, 0x3c000000, v6
	v_and_or_b32 v6, v7, s0, v6
	v_cmp_ne_u32_e32 vcc, 0, v5
	v_cndmask_b32_e32 v5, 0, v6, vcc
	v_and_or_b32 v3, v3, s1, v5
	v_bfe_u32 v5, v5, 16, 1
	v_add3_u32 v5, v3, v5, s8
	v_cmp_o_f32_e32 vcc, v3, v3
	v_mov_b32_e32 v3, 0x7fc0
	v_cndmask_b32_sdwa v3, v3, v5, vcc dst_sel:DWORD dst_unused:UNUSED_PAD src0_sel:DWORD src1_sel:WORD_1
.LBB31_623:
	s_mov_b64 s[0:1], 0
.LBB31_624:
	s_andn2_b64 vcc, exec, s[0:1]
	s_cbranch_vccnz .LBB31_626
; %bb.625:
	global_load_ubyte v3, v[1:2], off
	s_movk_i32 s0, 0x7f00
	s_brev_b32 s1, 16
	s_brev_b32 s8, 1
	s_movk_i32 s9, 0x7fff
	s_waitcnt vmcnt(0)
	v_lshlrev_b16_e32 v5, 8, v3
	v_lshlrev_b32_e32 v3, 25, v3
	v_lshrrev_b32_e32 v6, 4, v3
	v_and_or_b32 v7, v5, s0, 0.5
	v_or_b32_e32 v6, 0x70000000, v6
	v_add_f32_e32 v7, -0.5, v7
	v_mul_f32_e32 v6, 0x7800000, v6
	v_cmp_gt_u32_e32 vcc, s1, v3
	v_bfe_i32 v5, v5, 0, 16
	v_cndmask_b32_e32 v3, v6, v7, vcc
	v_and_or_b32 v5, v5, s8, v3
	v_bfe_u32 v3, v3, 16, 1
	v_add3_u32 v3, v5, v3, s9
	v_cmp_o_f32_e32 vcc, v5, v5
	v_mov_b32_e32 v5, 0x7fc0
	v_cndmask_b32_sdwa v3, v5, v3, vcc dst_sel:DWORD dst_unused:UNUSED_PAD src0_sel:DWORD src1_sel:WORD_1
.LBB31_626:
	s_mov_b64 s[8:9], 0
	s_mov_b64 s[0:1], -1
.LBB31_627:
	s_andn2_b64 vcc, exec, s[8:9]
	s_cbranch_vccnz .LBB31_640
; %bb.628:
	s_cmp_gt_i32 s12, 14
	s_cbranch_scc0 .LBB31_631
; %bb.629:
	s_cmp_eq_u32 s12, 15
	s_cbranch_scc0 .LBB31_634
; %bb.630:
	global_load_ushort v3, v[1:2], off
	s_mov_b64 s[0:1], -1
	s_mov_b64 s[2:3], 0
	s_branch .LBB31_635
.LBB31_631:
	s_mov_b64 s[8:9], -1
                                        ; implicit-def: $vgpr3
	s_branch .LBB31_636
.LBB31_632:
	s_or_saveexec_b64 s[8:9], s[8:9]
	v_mov_b32_e32 v5, 0x7f800001
	s_xor_b64 exec, exec, s[8:9]
	s_cbranch_execz .LBB31_613
.LBB31_633:
	v_cmp_ne_u16_e32 vcc, 0, v3
	s_andn2_b64 s[0:1], s[0:1], exec
	s_and_b64 s[10:11], vcc, exec
	v_mov_b32_e32 v5, 0
	s_or_b64 s[0:1], s[0:1], s[10:11]
	s_or_b64 exec, exec, s[8:9]
	s_and_saveexec_b64 s[8:9], s[0:1]
	s_cbranch_execnz .LBB31_614
	s_branch .LBB31_615
.LBB31_634:
	s_mov_b64 s[2:3], -1
                                        ; implicit-def: $vgpr3
.LBB31_635:
	s_mov_b64 s[8:9], 0
.LBB31_636:
	s_and_b64 vcc, exec, s[8:9]
	s_cbranch_vccz .LBB31_640
; %bb.637:
	s_cmp_eq_u32 s12, 11
	s_cbranch_scc0 .LBB31_639
; %bb.638:
	global_load_ubyte v3, v[1:2], off
	s_mov_b64 s[0:1], -1
	s_mov_b64 s[2:3], 0
	s_waitcnt vmcnt(0)
	v_cmp_ne_u16_e32 vcc, 0, v3
	v_cndmask_b32_e64 v3, 0, 1.0, vcc
	v_lshrrev_b32_e32 v3, 16, v3
	s_branch .LBB31_640
.LBB31_639:
	s_mov_b64 s[2:3], -1
                                        ; implicit-def: $vgpr3
.LBB31_640:
	s_mov_b64 s[8:9], 0
.LBB31_641:
	s_and_b64 vcc, exec, s[8:9]
	s_cbranch_vccz .LBB31_690
; %bb.642:
	s_cmp_lt_i32 s12, 5
	s_cbranch_scc1 .LBB31_647
; %bb.643:
	s_cmp_lt_i32 s12, 8
	s_cbranch_scc1 .LBB31_648
	;; [unrolled: 3-line block ×3, first 2 shown]
; %bb.645:
	s_cmp_gt_i32 s12, 9
	s_cbranch_scc0 .LBB31_650
; %bb.646:
	global_load_dwordx2 v[5:6], v[1:2], off
	s_movk_i32 s0, 0x7fff
	s_waitcnt vmcnt(0)
	v_cvt_f32_f64_e32 v3, v[5:6]
	v_mov_b32_e32 v5, 0x7fc0
	v_bfe_u32 v6, v3, 16, 1
	v_cmp_o_f32_e32 vcc, v3, v3
	v_add3_u32 v3, v3, v6, s0
	v_cndmask_b32_sdwa v3, v5, v3, vcc dst_sel:DWORD dst_unused:UNUSED_PAD src0_sel:DWORD src1_sel:WORD_1
	s_mov_b64 s[0:1], 0
	s_branch .LBB31_651
.LBB31_647:
	s_mov_b64 s[0:1], -1
                                        ; implicit-def: $vgpr3
	s_branch .LBB31_669
.LBB31_648:
	s_mov_b64 s[0:1], -1
                                        ; implicit-def: $vgpr3
	s_branch .LBB31_657
.LBB31_649:
	s_mov_b64 s[0:1], -1
                                        ; implicit-def: $vgpr3
	s_branch .LBB31_654
.LBB31_650:
	s_mov_b64 s[0:1], -1
                                        ; implicit-def: $vgpr3
.LBB31_651:
	s_andn2_b64 vcc, exec, s[0:1]
	s_cbranch_vccnz .LBB31_653
; %bb.652:
	global_load_dword v3, v[1:2], off
	s_movk_i32 s0, 0x7fff
	v_mov_b32_e32 v5, 0x7fc0
	s_waitcnt vmcnt(0)
	v_bfe_u32 v6, v3, 16, 1
	v_cmp_o_f32_e32 vcc, v3, v3
	v_add3_u32 v3, v3, v6, s0
	v_cndmask_b32_sdwa v3, v5, v3, vcc dst_sel:DWORD dst_unused:UNUSED_PAD src0_sel:DWORD src1_sel:WORD_1
.LBB31_653:
	s_mov_b64 s[0:1], 0
.LBB31_654:
	s_andn2_b64 vcc, exec, s[0:1]
	s_cbranch_vccnz .LBB31_656
; %bb.655:
	global_load_dword v3, v[1:2], off
	s_movk_i32 s0, 0x7fff
	v_mov_b32_e32 v6, 0x7fc0
	s_waitcnt vmcnt(0)
	v_cvt_f32_f16_e32 v5, v3
	v_cmp_o_f16_e32 vcc, v3, v3
	v_bfe_u32 v3, v5, 16, 1
	v_add3_u32 v3, v5, v3, s0
	v_cndmask_b32_sdwa v3, v6, v3, vcc dst_sel:DWORD dst_unused:UNUSED_PAD src0_sel:DWORD src1_sel:WORD_1
.LBB31_656:
	s_mov_b64 s[0:1], 0
.LBB31_657:
	s_andn2_b64 vcc, exec, s[0:1]
	s_cbranch_vccnz .LBB31_668
; %bb.658:
	s_cmp_lt_i32 s12, 6
	s_cbranch_scc1 .LBB31_661
; %bb.659:
	s_cmp_gt_i32 s12, 6
	s_cbranch_scc0 .LBB31_662
; %bb.660:
	global_load_dwordx2 v[5:6], v[1:2], off
	s_movk_i32 s0, 0x7fff
	s_waitcnt vmcnt(0)
	v_cvt_f32_f64_e32 v3, v[5:6]
	v_mov_b32_e32 v5, 0x7fc0
	v_bfe_u32 v6, v3, 16, 1
	v_cmp_o_f32_e32 vcc, v3, v3
	v_add3_u32 v3, v3, v6, s0
	v_cndmask_b32_sdwa v3, v5, v3, vcc dst_sel:DWORD dst_unused:UNUSED_PAD src0_sel:DWORD src1_sel:WORD_1
	s_mov_b64 s[0:1], 0
	s_branch .LBB31_663
.LBB31_661:
	s_mov_b64 s[0:1], -1
                                        ; implicit-def: $vgpr3
	s_branch .LBB31_666
.LBB31_662:
	s_mov_b64 s[0:1], -1
                                        ; implicit-def: $vgpr3
.LBB31_663:
	s_andn2_b64 vcc, exec, s[0:1]
	s_cbranch_vccnz .LBB31_665
; %bb.664:
	global_load_dword v3, v[1:2], off
	s_movk_i32 s0, 0x7fff
	v_mov_b32_e32 v5, 0x7fc0
	s_waitcnt vmcnt(0)
	v_bfe_u32 v6, v3, 16, 1
	v_cmp_o_f32_e32 vcc, v3, v3
	v_add3_u32 v3, v3, v6, s0
	v_cndmask_b32_sdwa v3, v5, v3, vcc dst_sel:DWORD dst_unused:UNUSED_PAD src0_sel:DWORD src1_sel:WORD_1
.LBB31_665:
	s_mov_b64 s[0:1], 0
.LBB31_666:
	s_andn2_b64 vcc, exec, s[0:1]
	s_cbranch_vccnz .LBB31_668
; %bb.667:
	global_load_ushort v3, v[1:2], off
	s_movk_i32 s0, 0x7fff
	v_mov_b32_e32 v6, 0x7fc0
	s_waitcnt vmcnt(0)
	v_cvt_f32_f16_e32 v5, v3
	v_cmp_o_f16_e32 vcc, v3, v3
	v_bfe_u32 v3, v5, 16, 1
	v_add3_u32 v3, v5, v3, s0
	v_cndmask_b32_sdwa v3, v6, v3, vcc dst_sel:DWORD dst_unused:UNUSED_PAD src0_sel:DWORD src1_sel:WORD_1
.LBB31_668:
	s_mov_b64 s[0:1], 0
.LBB31_669:
	s_andn2_b64 vcc, exec, s[0:1]
	s_cbranch_vccnz .LBB31_689
; %bb.670:
	s_cmp_lt_i32 s12, 2
	s_cbranch_scc1 .LBB31_674
; %bb.671:
	s_cmp_lt_i32 s12, 3
	s_cbranch_scc1 .LBB31_675
; %bb.672:
	s_cmp_gt_i32 s12, 3
	s_cbranch_scc0 .LBB31_676
; %bb.673:
	global_load_dwordx2 v[5:6], v[1:2], off
	s_movk_i32 s0, 0x7fff
	s_waitcnt vmcnt(0)
	v_xor_b32_e32 v7, v5, v6
	v_ffbh_i32_e32 v3, v6
	v_ashrrev_i32_e32 v7, 31, v7
	v_add_u32_e32 v3, -1, v3
	v_add_u32_e32 v7, 32, v7
	v_min_u32_e32 v3, v3, v7
	v_lshlrev_b64 v[5:6], v3, v[5:6]
	v_sub_u32_e32 v3, 32, v3
	v_min_u32_e32 v5, 1, v5
	v_or_b32_e32 v5, v6, v5
	v_cvt_f32_i32_e32 v5, v5
	v_ldexp_f32 v3, v5, v3
	v_bfe_u32 v5, v3, 16, 1
	v_add3_u32 v3, v3, v5, s0
	v_lshrrev_b32_e32 v3, 16, v3
	s_mov_b64 s[0:1], 0
	s_branch .LBB31_677
.LBB31_674:
	s_mov_b64 s[0:1], -1
                                        ; implicit-def: $vgpr3
	s_branch .LBB31_683
.LBB31_675:
	s_mov_b64 s[0:1], -1
                                        ; implicit-def: $vgpr3
	s_branch .LBB31_680
.LBB31_676:
	s_mov_b64 s[0:1], -1
                                        ; implicit-def: $vgpr3
.LBB31_677:
	s_andn2_b64 vcc, exec, s[0:1]
	s_cbranch_vccnz .LBB31_679
; %bb.678:
	global_load_dword v3, v[1:2], off
	s_movk_i32 s0, 0x7fff
	s_waitcnt vmcnt(0)
	v_cvt_f32_i32_e32 v3, v3
	v_bfe_u32 v5, v3, 16, 1
	v_add3_u32 v3, v3, v5, s0
	v_lshrrev_b32_e32 v3, 16, v3
.LBB31_679:
	s_mov_b64 s[0:1], 0
.LBB31_680:
	s_andn2_b64 vcc, exec, s[0:1]
	s_cbranch_vccnz .LBB31_682
; %bb.681:
	global_load_sshort v3, v[1:2], off
	s_movk_i32 s0, 0x7fff
	s_waitcnt vmcnt(0)
	v_cvt_f32_i32_e32 v3, v3
	v_bfe_u32 v5, v3, 16, 1
	v_add3_u32 v3, v3, v5, s0
	v_lshrrev_b32_e32 v3, 16, v3
.LBB31_682:
	s_mov_b64 s[0:1], 0
.LBB31_683:
	s_andn2_b64 vcc, exec, s[0:1]
	s_cbranch_vccnz .LBB31_689
; %bb.684:
	s_cmp_gt_i32 s12, 0
	s_cbranch_scc0 .LBB31_686
; %bb.685:
	global_load_sbyte v3, v[1:2], off
	s_movk_i32 s0, 0x7fff
	s_waitcnt vmcnt(0)
	v_cvt_f32_i32_e32 v3, v3
	v_bfe_u32 v5, v3, 16, 1
	v_add3_u32 v3, v3, v5, s0
	v_lshrrev_b32_e32 v3, 16, v3
	s_mov_b64 s[0:1], 0
	s_branch .LBB31_687
.LBB31_686:
	s_mov_b64 s[0:1], -1
                                        ; implicit-def: $vgpr3
.LBB31_687:
	s_andn2_b64 vcc, exec, s[0:1]
	s_cbranch_vccnz .LBB31_689
; %bb.688:
	global_load_ubyte v1, v[1:2], off
	s_movk_i32 s0, 0x7fff
	s_waitcnt vmcnt(0)
	v_cvt_f32_ubyte0_e32 v1, v1
	v_bfe_u32 v2, v1, 16, 1
	v_add3_u32 v1, v1, v2, s0
	v_lshrrev_b32_e32 v3, 16, v1
.LBB31_689:
	s_mov_b64 s[0:1], -1
.LBB31_690:
	s_andn2_b64 vcc, exec, s[0:1]
	s_cbranch_vccnz .LBB31_698
; %bb.691:
	s_waitcnt vmcnt(0)
	v_lshlrev_b32_e32 v1, 16, v3
	v_cmp_nle_f32_e32 vcc, v4, v1
	v_cmp_nge_f32_e64 s[0:1], s74, v1
	s_or_b64 vcc, s[0:1], vcc
	v_cndmask_b32_e32 v2, 0, v3, vcc
	v_mov_b32_e32 v1, s25
	s_and_b32 s14, s73, 0xff
	v_add_co_u32_e32 v0, vcc, s24, v0
	s_cmp_lt_i32 s14, 11
	v_addc_co_u32_e32 v1, vcc, 0, v1, vcc
	s_cbranch_scc1 .LBB31_699
; %bb.692:
	s_and_b32 s15, 0xffff, s14
	s_cmp_gt_i32 s15, 25
	s_cbranch_scc0 .LBB31_700
; %bb.693:
	s_cmp_gt_i32 s15, 28
	s_cbranch_scc0 .LBB31_701
; %bb.694:
	;; [unrolled: 3-line block ×4, first 2 shown]
	s_mov_b64 s[10:11], 0
	s_mov_b64 s[0:1], -1
	s_cmp_eq_u32 s15, 46
	s_mov_b64 s[8:9], 0
	s_cbranch_scc0 .LBB31_704
; %bb.697:
	v_and_b32_e32 v3, 0xffff, v2
	global_store_dword v[0:1], v3, off
	s_mov_b64 s[8:9], -1
	s_mov_b64 s[0:1], 0
	s_branch .LBB31_704
.LBB31_698:
	s_mov_b64 s[8:9], 0
	s_mov_b64 s[0:1], s[60:61]
	s_branch .LBB31_815
.LBB31_699:
	s_mov_b64 s[10:11], -1
	s_mov_b64 s[8:9], 0
	s_mov_b64 s[0:1], s[60:61]
	s_branch .LBB31_773
.LBB31_700:
	s_mov_b64 s[10:11], -1
	s_mov_b64 s[8:9], 0
	s_mov_b64 s[0:1], s[60:61]
	s_branch .LBB31_731
.LBB31_701:
	s_mov_b64 s[10:11], -1
	s_mov_b64 s[8:9], 0
	s_mov_b64 s[0:1], s[60:61]
	s_branch .LBB31_714
.LBB31_702:
	s_mov_b64 s[10:11], -1
	s_mov_b64 s[8:9], 0
	s_mov_b64 s[0:1], s[60:61]
	s_branch .LBB31_710
.LBB31_703:
	s_mov_b64 s[10:11], -1
	s_mov_b64 s[8:9], 0
	s_mov_b64 s[0:1], s[60:61]
.LBB31_704:
	s_and_b64 vcc, exec, s[10:11]
	s_cbranch_vccz .LBB31_709
; %bb.705:
	s_cmp_eq_u32 s15, 44
	s_mov_b64 s[0:1], -1
	s_cbranch_scc0 .LBB31_709
; %bb.706:
	v_and_b32_e32 v5, 0xffff, v2
	v_bfe_u32 v3, v5, 7, 8
	s_movk_i32 s0, 0xff
	v_cmp_ne_u32_e32 vcc, s0, v3
	v_mov_b32_e32 v6, 0xff
	s_and_saveexec_b64 s[8:9], vcc
	s_cbranch_execz .LBB31_708
; %bb.707:
	v_lshlrev_b32_e32 v7, 16, v5
	s_mov_b32 s0, 0x3f0000
	v_lshrrev_b32_e32 v6, 7, v5
	v_and_b32_e32 v5, 64, v5
	v_and_or_b32 v3, v7, s0, v3
	v_cmp_ne_u32_e32 vcc, 0, v5
	v_cmp_ne_u32_e64 s[0:1], 0, v3
	s_and_b64 s[0:1], vcc, s[0:1]
	v_cndmask_b32_e64 v3, 0, 1, s[0:1]
	v_add_u32_e32 v6, v6, v3
.LBB31_708:
	s_or_b64 exec, exec, s[8:9]
	s_mov_b64 s[8:9], -1
	s_mov_b64 s[0:1], 0
	global_store_byte v[0:1], v6, off
.LBB31_709:
	s_mov_b64 s[10:11], 0
.LBB31_710:
	s_and_b64 vcc, exec, s[10:11]
	s_cbranch_vccz .LBB31_713
; %bb.711:
	s_cmp_eq_u32 s15, 29
	s_mov_b64 s[0:1], -1
	s_cbranch_scc0 .LBB31_713
; %bb.712:
	v_lshlrev_b32_e32 v3, 16, v2
	v_trunc_f32_e32 v3, v3
	v_mul_f32_e32 v5, 0x2f800000, v3
	v_floor_f32_e32 v5, v5
	v_fmac_f32_e32 v3, 0xcf800000, v5
	v_cvt_u32_f32_e32 v6, v5
	v_cvt_u32_f32_e32 v5, v3
	s_mov_b64 s[8:9], -1
	s_mov_b64 s[0:1], 0
	s_mov_b64 s[10:11], 0
	global_store_dwordx2 v[0:1], v[5:6], off
	s_branch .LBB31_714
.LBB31_713:
	s_mov_b64 s[10:11], 0
.LBB31_714:
	s_and_b64 vcc, exec, s[10:11]
	s_cbranch_vccz .LBB31_730
; %bb.715:
	s_cmp_lt_i32 s15, 27
	s_mov_b64 s[8:9], -1
	s_cbranch_scc1 .LBB31_721
; %bb.716:
	s_cmp_gt_i32 s15, 27
	s_cbranch_scc0 .LBB31_718
; %bb.717:
	v_lshlrev_b32_e32 v3, 16, v2
	v_cvt_u32_f32_e32 v3, v3
	s_mov_b64 s[8:9], 0
	global_store_dword v[0:1], v3, off
.LBB31_718:
	s_andn2_b64 vcc, exec, s[8:9]
	s_cbranch_vccnz .LBB31_720
; %bb.719:
	v_lshlrev_b32_e32 v3, 16, v2
	v_cvt_u32_f32_e32 v3, v3
	global_store_short v[0:1], v3, off
.LBB31_720:
	s_mov_b64 s[8:9], 0
.LBB31_721:
	s_andn2_b64 vcc, exec, s[8:9]
	s_cbranch_vccnz .LBB31_729
; %bb.722:
	v_lshlrev_b32_e32 v6, 16, v2
	v_and_b32_e32 v5, 0x7fffffff, v6
	s_mov_b32 s8, 0x43800000
	v_cmp_gt_u32_e32 vcc, s8, v5
	v_mov_b32_e32 v7, 0x80
	s_and_saveexec_b64 s[8:9], vcc
	s_cbranch_execz .LBB31_728
; %bb.723:
	s_mov_b32 s10, 0x3bffffff
	v_and_b32_e32 v3, 0xffff, v2
	v_cmp_lt_u32_e32 vcc, s10, v5
	s_mov_b64 s[10:11], 0
                                        ; implicit-def: $vgpr5
	s_and_saveexec_b64 s[12:13], vcc
	s_xor_b64 s[12:13], exec, s[12:13]
	s_cbranch_execz .LBB31_845
; %bb.724:
	v_bfe_u32 v5, v3, 4, 1
	s_mov_b32 s16, 0x487ffff
	v_add3_u32 v5, v6, v5, s16
	s_mov_b64 s[10:11], exec
	v_lshrrev_b32_e32 v5, 20, v5
                                        ; implicit-def: $vgpr6
	s_andn2_saveexec_b64 s[12:13], s[12:13]
	s_cbranch_execnz .LBB31_846
.LBB31_725:
	s_or_b64 exec, exec, s[12:13]
	v_mov_b32_e32 v7, 0
	s_and_saveexec_b64 s[12:13], s[10:11]
.LBB31_726:
	v_lshrrev_b32_e32 v3, 8, v3
	s_movk_i32 s10, 0x80
	v_and_or_b32 v7, v3, s10, v5
.LBB31_727:
	s_or_b64 exec, exec, s[12:13]
.LBB31_728:
	s_or_b64 exec, exec, s[8:9]
	global_store_byte v[0:1], v7, off
.LBB31_729:
	s_mov_b64 s[8:9], -1
.LBB31_730:
	s_mov_b64 s[10:11], 0
.LBB31_731:
	s_and_b64 vcc, exec, s[10:11]
	s_cbranch_vccz .LBB31_772
; %bb.732:
	s_cmp_gt_i32 s15, 22
	s_mov_b64 s[10:11], -1
	s_cbranch_scc0 .LBB31_764
; %bb.733:
	s_cmp_lt_i32 s15, 24
	s_mov_b64 s[8:9], -1
	s_cbranch_scc1 .LBB31_753
; %bb.734:
	s_cmp_gt_i32 s15, 24
	s_cbranch_scc0 .LBB31_742
; %bb.735:
	v_lshlrev_b32_e32 v6, 16, v2
	v_and_b32_e32 v5, 0x7fffffff, v6
	s_mov_b32 s8, 0x47800000
	v_cmp_gt_u32_e32 vcc, s8, v5
	v_mov_b32_e32 v7, 0x80
	s_and_saveexec_b64 s[8:9], vcc
	s_cbranch_execz .LBB31_741
; %bb.736:
	s_mov_b32 s10, 0x37ffffff
	v_and_b32_e32 v3, 0xffff, v2
	v_cmp_lt_u32_e32 vcc, s10, v5
	s_mov_b64 s[10:11], 0
                                        ; implicit-def: $vgpr5
	s_and_saveexec_b64 s[12:13], vcc
	s_xor_b64 s[12:13], exec, s[12:13]
	s_cbranch_execz .LBB31_848
; %bb.737:
	v_bfe_u32 v5, v3, 5, 1
	s_mov_b32 s16, 0x88fffff
	v_add3_u32 v5, v6, v5, s16
	s_mov_b64 s[10:11], exec
	v_lshrrev_b32_e32 v5, 21, v5
                                        ; implicit-def: $vgpr6
	s_andn2_saveexec_b64 s[12:13], s[12:13]
	s_cbranch_execnz .LBB31_849
.LBB31_738:
	s_or_b64 exec, exec, s[12:13]
	v_mov_b32_e32 v7, 0
	s_and_saveexec_b64 s[12:13], s[10:11]
.LBB31_739:
	v_lshrrev_b32_e32 v3, 8, v3
	s_movk_i32 s10, 0x80
	v_and_or_b32 v7, v3, s10, v5
.LBB31_740:
	s_or_b64 exec, exec, s[12:13]
.LBB31_741:
	s_or_b64 exec, exec, s[8:9]
	s_mov_b64 s[8:9], 0
	global_store_byte v[0:1], v7, off
.LBB31_742:
	s_and_b64 vcc, exec, s[8:9]
	s_cbranch_vccz .LBB31_752
; %bb.743:
	v_lshlrev_b32_e32 v6, 16, v2
	v_and_b32_e32 v7, 0x7fffffff, v6
	s_mov_b32 s8, 0x43f00000
	v_and_b32_e32 v3, 0xffff, v2
	v_cmp_gt_u32_e32 vcc, s8, v7
                                        ; implicit-def: $vgpr5
	s_and_saveexec_b64 s[8:9], vcc
	s_xor_b64 s[8:9], exec, s[8:9]
	s_cbranch_execz .LBB31_749
; %bb.744:
	s_mov_b32 s10, 0x3c7fffff
	v_cmp_lt_u32_e32 vcc, s10, v7
                                        ; implicit-def: $vgpr5
	s_and_saveexec_b64 s[10:11], vcc
	s_xor_b64 s[10:11], exec, s[10:11]
; %bb.745:
	v_bfe_u32 v5, v3, 4, 1
	s_mov_b32 s12, 0x407ffff
	v_add3_u32 v5, v6, v5, s12
	v_lshrrev_b32_e32 v6, 20, v5
	v_and_b32_e32 v5, 0xff00000, v5
	s_mov_b32 s12, 0x7f00000
	v_mov_b32_e32 v7, 0x7e
	v_cmp_ne_u32_e32 vcc, s12, v5
	v_cndmask_b32_e32 v5, v7, v6, vcc
                                        ; implicit-def: $vgpr6
; %bb.746:
	s_andn2_saveexec_b64 s[10:11], s[10:11]
; %bb.747:
	s_mov_b32 s12, 0x46800000
	v_add_f32_e64 v5, |v6|, s12
; %bb.748:
	s_or_b64 exec, exec, s[10:11]
                                        ; implicit-def: $vgpr7
.LBB31_749:
	s_andn2_saveexec_b64 s[8:9], s[8:9]
; %bb.750:
	s_mov_b32 s10, 0x7f800000
	v_mov_b32_e32 v5, 0x7e
	v_mov_b32_e32 v6, 0x7f
	v_cmp_lt_u32_e32 vcc, s10, v7
	v_cndmask_b32_e32 v5, v5, v6, vcc
; %bb.751:
	s_or_b64 exec, exec, s[8:9]
	v_lshrrev_b32_e32 v3, 8, v3
	s_movk_i32 s8, 0x80
	v_and_or_b32 v3, v3, s8, v5
	global_store_byte v[0:1], v3, off
.LBB31_752:
	s_mov_b64 s[8:9], 0
.LBB31_753:
	s_andn2_b64 vcc, exec, s[8:9]
	s_cbranch_vccnz .LBB31_763
; %bb.754:
	v_lshlrev_b32_e32 v6, 16, v2
	v_and_b32_e32 v7, 0x7fffffff, v6
	s_mov_b32 s8, 0x47800000
	v_and_b32_e32 v3, 0xffff, v2
	v_cmp_gt_u32_e32 vcc, s8, v7
                                        ; implicit-def: $vgpr5
	s_and_saveexec_b64 s[8:9], vcc
	s_xor_b64 s[8:9], exec, s[8:9]
	s_cbranch_execz .LBB31_760
; %bb.755:
	s_mov_b32 s10, 0x387fffff
	v_cmp_lt_u32_e32 vcc, s10, v7
                                        ; implicit-def: $vgpr5
	s_and_saveexec_b64 s[10:11], vcc
	s_xor_b64 s[10:11], exec, s[10:11]
; %bb.756:
	v_bfe_u32 v5, v3, 5, 1
	s_mov_b32 s12, 0x80fffff
	v_add3_u32 v5, v6, v5, s12
	v_lshrrev_b32_e32 v5, 21, v5
                                        ; implicit-def: $vgpr6
; %bb.757:
	s_andn2_saveexec_b64 s[10:11], s[10:11]
; %bb.758:
	s_mov_b32 s12, 0x43000000
	v_add_f32_e64 v5, |v6|, s12
; %bb.759:
	s_or_b64 exec, exec, s[10:11]
                                        ; implicit-def: $vgpr7
.LBB31_760:
	s_andn2_saveexec_b64 s[8:9], s[8:9]
; %bb.761:
	s_mov_b32 s10, 0x7f800000
	v_mov_b32_e32 v5, 0x7c
	v_mov_b32_e32 v6, 0x7f
	v_cmp_lt_u32_e32 vcc, s10, v7
	v_cndmask_b32_e32 v5, v5, v6, vcc
; %bb.762:
	s_or_b64 exec, exec, s[8:9]
	v_lshrrev_b32_e32 v3, 8, v3
	s_movk_i32 s8, 0x80
	v_and_or_b32 v3, v3, s8, v5
	global_store_byte v[0:1], v3, off
.LBB31_763:
	s_mov_b64 s[10:11], 0
	s_mov_b64 s[8:9], -1
.LBB31_764:
	s_andn2_b64 vcc, exec, s[10:11]
	s_cbranch_vccnz .LBB31_772
; %bb.765:
	s_cmp_gt_i32 s15, 14
	s_mov_b64 s[10:11], -1
	s_cbranch_scc0 .LBB31_769
; %bb.766:
	s_cmp_eq_u32 s15, 15
	s_mov_b64 s[0:1], -1
	s_cbranch_scc0 .LBB31_768
; %bb.767:
	global_store_short v[0:1], v2, off
	s_mov_b64 s[8:9], -1
	s_mov_b64 s[0:1], 0
.LBB31_768:
	s_mov_b64 s[10:11], 0
.LBB31_769:
	s_and_b64 vcc, exec, s[10:11]
	s_cbranch_vccz .LBB31_772
; %bb.770:
	s_cmp_eq_u32 s15, 11
	s_mov_b64 s[0:1], -1
	s_cbranch_scc0 .LBB31_772
; %bb.771:
	v_and_b32_e32 v3, 0x7fff, v2
	v_cmp_ne_u16_e32 vcc, 0, v3
	v_cndmask_b32_e64 v3, 0, 1, vcc
	s_mov_b64 s[8:9], -1
	s_mov_b64 s[0:1], 0
	global_store_byte v[0:1], v3, off
.LBB31_772:
	s_mov_b64 s[10:11], 0
.LBB31_773:
	s_and_b64 vcc, exec, s[10:11]
	s_cbranch_vccz .LBB31_812
; %bb.774:
	s_and_b32 s10, 0xffff, s14
	s_cmp_lt_i32 s10, 5
	s_mov_b64 s[8:9], -1
	s_cbranch_scc1 .LBB31_795
; %bb.775:
	s_cmp_lt_i32 s10, 8
	s_cbranch_scc1 .LBB31_785
; %bb.776:
	s_cmp_lt_i32 s10, 9
	s_cbranch_scc1 .LBB31_782
; %bb.777:
	s_cmp_gt_i32 s10, 9
	s_cbranch_scc0 .LBB31_779
; %bb.778:
	v_lshlrev_b32_e32 v3, 16, v2
	v_cvt_f64_f32_e32 v[9:10], v3
	v_mov_b32_e32 v11, 0
	v_mov_b32_e32 v12, v11
	s_mov_b64 s[8:9], 0
	global_store_dwordx4 v[0:1], v[9:12], off
.LBB31_779:
	s_andn2_b64 vcc, exec, s[8:9]
	s_cbranch_vccnz .LBB31_781
; %bb.780:
	v_lshlrev_b32_e32 v5, 16, v2
	v_mov_b32_e32 v6, 0
	global_store_dwordx2 v[0:1], v[5:6], off
.LBB31_781:
	s_mov_b64 s[8:9], 0
.LBB31_782:
	s_andn2_b64 vcc, exec, s[8:9]
	s_cbranch_vccnz .LBB31_784
; %bb.783:
	v_lshlrev_b32_e32 v3, 16, v2
	v_cvt_f16_f32_e32 v3, v3
	global_store_dword v[0:1], v3, off
.LBB31_784:
	s_mov_b64 s[8:9], 0
.LBB31_785:
	s_andn2_b64 vcc, exec, s[8:9]
	s_cbranch_vccnz .LBB31_794
; %bb.786:
	s_cmp_lt_i32 s10, 6
	s_mov_b64 s[8:9], -1
	s_cbranch_scc1 .LBB31_792
; %bb.787:
	s_cmp_gt_i32 s10, 6
	s_cbranch_scc0 .LBB31_789
; %bb.788:
	v_lshlrev_b32_e32 v3, 16, v2
	v_cvt_f64_f32_e32 v[5:6], v3
	s_mov_b64 s[8:9], 0
	global_store_dwordx2 v[0:1], v[5:6], off
.LBB31_789:
	s_andn2_b64 vcc, exec, s[8:9]
	s_cbranch_vccnz .LBB31_791
; %bb.790:
	v_lshlrev_b32_e32 v3, 16, v2
	global_store_dword v[0:1], v3, off
.LBB31_791:
	s_mov_b64 s[8:9], 0
.LBB31_792:
	s_andn2_b64 vcc, exec, s[8:9]
	s_cbranch_vccnz .LBB31_794
; %bb.793:
	v_lshlrev_b32_e32 v3, 16, v2
	v_cvt_f16_f32_e32 v3, v3
	global_store_short v[0:1], v3, off
.LBB31_794:
	s_mov_b64 s[8:9], 0
.LBB31_795:
	s_andn2_b64 vcc, exec, s[8:9]
	s_cbranch_vccnz .LBB31_811
; %bb.796:
	s_cmp_lt_i32 s10, 2
	s_mov_b64 s[8:9], -1
	s_cbranch_scc1 .LBB31_806
; %bb.797:
	s_cmp_lt_i32 s10, 3
	s_cbranch_scc1 .LBB31_803
; %bb.798:
	s_cmp_gt_i32 s10, 3
	s_cbranch_scc0 .LBB31_800
; %bb.799:
	v_lshlrev_b32_e32 v3, 16, v2
	v_trunc_f32_e32 v3, v3
	s_mov_b32 s8, 0x2f800000
	v_mul_f32_e64 v5, |v3|, s8
	v_floor_f32_e32 v5, v5
	s_mov_b32 s8, 0xcf800000
	v_cvt_u32_f32_e32 v6, v5
	v_fma_f32 v5, v5, s8, |v3|
	v_cvt_u32_f32_e32 v5, v5
	v_ashrrev_i32_e32 v3, 31, v3
	v_xor_b32_e32 v6, v6, v3
	s_mov_b64 s[8:9], 0
	v_xor_b32_e32 v5, v5, v3
	v_sub_co_u32_e32 v5, vcc, v5, v3
	v_subb_co_u32_e32 v6, vcc, v6, v3, vcc
	global_store_dwordx2 v[0:1], v[5:6], off
.LBB31_800:
	s_andn2_b64 vcc, exec, s[8:9]
	s_cbranch_vccnz .LBB31_802
; %bb.801:
	v_lshlrev_b32_e32 v3, 16, v2
	v_cvt_i32_f32_e32 v3, v3
	global_store_dword v[0:1], v3, off
.LBB31_802:
	s_mov_b64 s[8:9], 0
.LBB31_803:
	s_andn2_b64 vcc, exec, s[8:9]
	s_cbranch_vccnz .LBB31_805
; %bb.804:
	v_lshlrev_b32_e32 v3, 16, v2
	v_cvt_i32_f32_e32 v3, v3
	global_store_short v[0:1], v3, off
.LBB31_805:
	s_mov_b64 s[8:9], 0
.LBB31_806:
	s_andn2_b64 vcc, exec, s[8:9]
	s_cbranch_vccnz .LBB31_811
; %bb.807:
	s_mov_b64 s[8:9], -1
	s_cmp_gt_i32 s10, 0
	v_lshlrev_b32_e32 v2, 16, v2
	s_cbranch_scc0 .LBB31_809
; %bb.808:
	v_cvt_i32_f32_e32 v3, v2
	s_mov_b64 s[8:9], 0
	global_store_byte v[0:1], v3, off
.LBB31_809:
	s_andn2_b64 vcc, exec, s[8:9]
	s_cbranch_vccnz .LBB31_811
; %bb.810:
	v_trunc_f32_e32 v2, v2
	s_mov_b32 s8, 0x2f800000
	v_mul_f32_e64 v3, |v2|, s8
	v_floor_f32_e32 v3, v3
	s_mov_b32 s8, 0xcf800000
	v_fma_f32 v3, v3, s8, |v2|
	v_cvt_u32_f32_e32 v3, v3
	v_ashrrev_i32_e32 v2, 31, v2
	v_xor_b32_e32 v3, v3, v2
	v_sub_u32_e32 v2, v3, v2
	global_store_byte v[0:1], v2, off
.LBB31_811:
	s_mov_b64 s[8:9], -1
.LBB31_812:
	s_andn2_b64 vcc, exec, s[8:9]
	s_cbranch_vccnz .LBB31_814
; %bb.813:
	v_add_u32_e32 v8, 0x80, v8
	s_mov_b64 s[8:9], -1
	s_branch .LBB31_816
.LBB31_814:
	s_mov_b64 s[8:9], 0
.LBB31_815:
                                        ; implicit-def: $vgpr8
.LBB31_816:
	s_andn2_b64 s[10:11], s[60:61], exec
	s_and_b64 s[0:1], s[0:1], exec
	s_or_b64 s[68:69], s[10:11], s[0:1]
	s_andn2_b64 s[0:1], s[58:59], exec
	s_and_b64 s[2:3], s[2:3], exec
	s_or_b64 s[66:67], s[0:1], s[2:3]
	s_orn2_b64 s[2:3], s[8:9], exec
.LBB31_817:
	s_or_b64 exec, exec, s[64:65]
	s_mov_b64 s[0:1], 0
	s_mov_b64 s[8:9], 0
	;; [unrolled: 1-line block ×3, first 2 shown]
                                        ; implicit-def: $vgpr1_vgpr2
                                        ; implicit-def: $vgpr0
                                        ; implicit-def: $vgpr5
	s_and_saveexec_b64 s[64:65], s[2:3]
	s_cbranch_execz .LBB31_916
; %bb.818:
	v_cmp_gt_i32_e32 vcc, s70, v8
	s_mov_b64 s[2:3], 0
	s_mov_b64 s[12:13], s[66:67]
                                        ; implicit-def: $vgpr1_vgpr2
                                        ; implicit-def: $vgpr0
                                        ; implicit-def: $vgpr5
	s_and_saveexec_b64 s[70:71], vcc
	s_cbranch_execz .LBB31_915
; %bb.819:
	s_andn2_b64 vcc, exec, s[40:41]
	s_cbranch_vccnz .LBB31_824
; %bb.820:
	s_andn2_b64 vcc, exec, s[50:51]
	s_cbranch_vccnz .LBB31_825
; %bb.821:
	s_add_i32 s77, s76, 1
	s_cmp_eq_u32 s72, 2
	s_cbranch_scc1 .LBB31_826
; %bb.822:
	s_and_b32 s76, s77, 28
	v_mov_b32_e32 v2, 0
	s_mov_b32 s78, 0
	s_mov_b64 s[50:51], s[34:35]
	v_mov_b32_e32 v0, 0
	v_mov_b32_e32 v1, v8
.LBB31_823:                             ; =>This Inner Loop Header: Depth=1
	s_load_dwordx8 s[16:23], s[50:51], 0x4
	s_load_dwordx4 s[0:3], s[50:51], 0x24
	s_load_dwordx8 s[8:15], s[48:49], 0x0
	s_add_u32 s50, s50, 48
	s_addc_u32 s51, s51, 0
	s_waitcnt vmcnt(0) lgkmcnt(0)
	v_mul_hi_u32 v3, s17, v1
	s_add_i32 s78, s78, 4
	s_add_u32 s48, s48, 32
	s_addc_u32 s49, s49, 0
	v_add_u32_e32 v3, v1, v3
	v_lshrrev_b32_e32 v3, s18, v3
	v_mul_lo_u32 v5, v3, s16
	v_mul_hi_u32 v6, s20, v3
	s_cmp_eq_u32 s76, s78
	v_sub_u32_e32 v1, v1, v5
	v_add_u32_e32 v5, v3, v6
	v_mul_lo_u32 v6, v1, s8
	v_mul_lo_u32 v7, v1, s9
	v_lshrrev_b32_e32 v1, s21, v5
	v_mul_lo_u32 v5, v1, s19
	v_mul_hi_u32 v9, s23, v1
	v_sub_u32_e32 v3, v3, v5
	v_add_u32_e32 v5, v1, v9
	v_lshrrev_b32_e32 v5, s0, v5
	v_mul_hi_u32 v10, s2, v5
	v_mul_lo_u32 v11, v5, s22
	v_mul_lo_u32 v9, v3, s10
	;; [unrolled: 1-line block ×3, first 2 shown]
	v_sub_u32_e32 v11, v1, v11
	v_add_u32_e32 v1, v5, v10
	v_lshrrev_b32_e32 v1, s3, v1
	v_mul_lo_u32 v10, v1, s1
	v_mul_lo_u32 v12, v11, s12
	;; [unrolled: 1-line block ×3, first 2 shown]
	v_add3_u32 v0, v6, v0, v9
	v_sub_u32_e32 v5, v5, v10
	v_mul_lo_u32 v10, v5, s14
	v_mul_lo_u32 v5, v5, s15
	v_add3_u32 v2, v7, v2, v3
	v_add3_u32 v0, v12, v0, v10
	v_add3_u32 v2, v11, v2, v5
	s_cbranch_scc0 .LBB31_823
	s_branch .LBB31_827
.LBB31_824:
	s_mov_b64 s[0:1], -1
                                        ; implicit-def: $vgpr0
                                        ; implicit-def: $vgpr2
	s_branch .LBB31_831
.LBB31_825:
	v_mov_b32_e32 v0, 0
	v_mov_b32_e32 v2, 0
	s_branch .LBB31_830
.LBB31_826:
	s_mov_b32 s76, 0
	v_mov_b32_e32 v0, 0
	v_mov_b32_e32 v2, 0
	;; [unrolled: 1-line block ×3, first 2 shown]
.LBB31_827:
	s_and_b32 s8, s77, 3
	s_cmp_eq_u32 s8, 0
	s_cbranch_scc1 .LBB31_830
; %bb.828:
	s_lshl_b32 s0, s76, 3
	s_add_u32 s0, s34, s0
	s_addc_u32 s1, s35, 0
	s_add_u32 s0, s0, 0xc4
	s_addc_u32 s1, s1, 0
	s_mul_i32 s2, s76, 12
	s_add_u32 s2, s34, s2
	s_addc_u32 s3, s35, 0
.LBB31_829:                             ; =>This Inner Loop Header: Depth=1
	s_load_dwordx2 s[10:11], s[2:3], 0x4
	s_load_dword s9, s[2:3], 0xc
	s_load_dwordx2 s[12:13], s[0:1], 0x0
	s_add_u32 s2, s2, 12
	s_addc_u32 s3, s3, 0
	s_waitcnt vmcnt(0) lgkmcnt(0)
	v_mul_hi_u32 v3, s11, v1
	s_add_u32 s0, s0, 8
	s_addc_u32 s1, s1, 0
	s_add_i32 s8, s8, -1
	v_add_u32_e32 v3, v1, v3
	v_lshrrev_b32_e32 v5, s9, v3
	v_mul_lo_u32 v3, v5, s10
	s_cmp_lg_u32 s8, 0
	v_sub_u32_e32 v3, v1, v3
	v_mad_u64_u32 v[0:1], s[10:11], v3, s12, v[0:1]
	v_mad_u64_u32 v[2:3], s[10:11], v3, s13, v[2:3]
	v_mov_b32_e32 v1, v5
	s_cbranch_scc1 .LBB31_829
.LBB31_830:
	s_mov_b64 s[0:1], 0
.LBB31_831:
	s_andn2_b64 vcc, exec, s[0:1]
	s_cbranch_vccnz .LBB31_834
; %bb.832:
	v_mul_hi_u32 v0, s29, v8
	s_andn2_b64 vcc, exec, s[46:47]
	v_add_u32_e32 v0, v8, v0
	v_lshrrev_b32_e32 v1, s30, v0
	v_mul_lo_u32 v0, v1, s28
	v_sub_u32_e32 v2, v8, v0
	v_mul_lo_u32 v0, v2, s36
	v_mul_lo_u32 v2, v2, s37
	s_cbranch_vccnz .LBB31_834
; %bb.833:
	s_waitcnt vmcnt(0)
	v_mul_hi_u32 v3, s44, v1
	v_add_u32_e32 v3, v1, v3
	v_lshrrev_b32_e32 v3, s45, v3
	v_mul_lo_u32 v3, v3, s31
	v_sub_u32_e32 v3, v1, v3
	v_mad_u64_u32 v[0:1], s[0:1], v3, s38, v[0:1]
	v_mad_u64_u32 v[2:3], s[0:1], v3, s39, v[2:3]
.LBB31_834:
	s_waitcnt vmcnt(0)
	v_mov_b32_e32 v3, s27
	s_and_b32 s14, 0xffff, s75
	v_add_co_u32_e32 v1, vcc, s26, v2
	s_cmp_lt_i32 s14, 11
	v_addc_co_u32_e32 v2, vcc, 0, v3, vcc
	s_cbranch_scc1 .LBB31_841
; %bb.835:
	s_cmp_gt_i32 s14, 25
	s_mov_b64 s[2:3], 0
	s_cbranch_scc0 .LBB31_842
; %bb.836:
	s_cmp_gt_i32 s14, 28
	s_cbranch_scc0 .LBB31_843
; %bb.837:
	s_cmp_gt_i32 s14, 43
	;; [unrolled: 3-line block ×3, first 2 shown]
	s_cbranch_scc0 .LBB31_847
; %bb.839:
	s_cmp_eq_u32 s14, 46
	s_mov_b64 s[10:11], 0
	s_cbranch_scc0 .LBB31_850
; %bb.840:
	global_load_dword v5, v[1:2], off
	s_mov_b64 s[0:1], 0
	s_mov_b64 s[8:9], -1
	s_branch .LBB31_851
.LBB31_841:
	s_mov_b64 s[12:13], -1
	s_mov_b64 s[8:9], 0
	s_mov_b64 s[2:3], 0
	;; [unrolled: 1-line block ×3, first 2 shown]
                                        ; implicit-def: $vgpr5
	s_branch .LBB31_914
.LBB31_842:
	s_mov_b64 s[10:11], -1
	s_mov_b64 s[8:9], 0
	s_mov_b64 s[0:1], s[66:67]
                                        ; implicit-def: $vgpr5
	s_branch .LBB31_880
.LBB31_843:
	s_mov_b64 s[10:11], -1
	s_mov_b64 s[8:9], 0
	s_mov_b64 s[0:1], s[66:67]
                                        ; implicit-def: $vgpr5
	s_branch .LBB31_861
.LBB31_844:
	s_mov_b64 s[10:11], -1
	s_mov_b64 s[8:9], 0
	s_mov_b64 s[0:1], s[66:67]
                                        ; implicit-def: $vgpr5
	s_branch .LBB31_856
.LBB31_845:
	s_andn2_saveexec_b64 s[12:13], s[12:13]
	s_cbranch_execz .LBB31_725
.LBB31_846:
	s_mov_b32 s16, 0x46000000
	v_add_f32_e64 v5, |v6|, s16
	v_and_b32_e32 v5, 0xff, v5
	v_cmp_ne_u32_e32 vcc, 0, v5
	s_andn2_b64 s[10:11], s[10:11], exec
	s_and_b64 s[16:17], vcc, exec
	s_or_b64 s[10:11], s[10:11], s[16:17]
	s_or_b64 exec, exec, s[12:13]
	v_mov_b32_e32 v7, 0
	s_and_saveexec_b64 s[12:13], s[10:11]
	s_cbranch_execnz .LBB31_726
	s_branch .LBB31_727
.LBB31_847:
	s_mov_b64 s[10:11], -1
	s_mov_b64 s[8:9], 0
	s_mov_b64 s[0:1], s[66:67]
                                        ; implicit-def: $vgpr5
	s_branch .LBB31_851
.LBB31_848:
	s_andn2_saveexec_b64 s[12:13], s[12:13]
	s_cbranch_execz .LBB31_738
.LBB31_849:
	s_mov_b32 s16, 0x42800000
	v_add_f32_e64 v5, |v6|, s16
	v_and_b32_e32 v5, 0xff, v5
	v_cmp_ne_u32_e32 vcc, 0, v5
	s_andn2_b64 s[10:11], s[10:11], exec
	s_and_b64 s[16:17], vcc, exec
	s_or_b64 s[10:11], s[10:11], s[16:17]
	s_or_b64 exec, exec, s[12:13]
	v_mov_b32_e32 v7, 0
	s_and_saveexec_b64 s[12:13], s[10:11]
	s_cbranch_execnz .LBB31_739
	s_branch .LBB31_740
.LBB31_850:
	s_mov_b64 s[0:1], -1
                                        ; implicit-def: $vgpr5
	s_mov_b64 s[8:9], 0
.LBB31_851:
	s_and_b64 vcc, exec, s[10:11]
	s_cbranch_vccz .LBB31_855
; %bb.852:
	s_cmp_eq_u32 s14, 44
	s_cbranch_scc0 .LBB31_854
; %bb.853:
	global_load_ubyte v3, v[1:2], off
	s_movk_i32 s8, 0xff
	s_waitcnt vmcnt(1)
	v_mov_b32_e32 v5, 0x7f800001
	v_mov_b32_e32 v6, 0x400000
	;; [unrolled: 1-line block ×3, first 2 shown]
	s_mov_b64 s[0:1], 0
	s_waitcnt vmcnt(0)
	v_lshlrev_b32_e32 v8, 23, v3
	v_cmp_ne_u32_e32 vcc, s8, v3
	v_cndmask_b32_e32 v5, v5, v8, vcc
	v_cmp_ne_u32_e32 vcc, 0, v3
	v_cndmask_b32_e32 v3, v6, v5, vcc
	v_add_u32_e32 v5, 0x7fff, v3
	v_cmp_o_f32_e32 vcc, v3, v3
	v_cndmask_b32_sdwa v5, v7, v5, vcc dst_sel:DWORD dst_unused:UNUSED_PAD src0_sel:DWORD src1_sel:WORD_1
	s_mov_b64 s[8:9], -1
	s_branch .LBB31_855
.LBB31_854:
	s_mov_b64 s[0:1], -1
                                        ; implicit-def: $vgpr5
.LBB31_855:
	s_mov_b64 s[10:11], 0
.LBB31_856:
	s_and_b64 vcc, exec, s[10:11]
	s_cbranch_vccz .LBB31_860
; %bb.857:
	s_cmp_eq_u32 s14, 29
	s_cbranch_scc0 .LBB31_859
; %bb.858:
	global_load_dwordx2 v[5:6], v[1:2], off
	s_movk_i32 s8, 0x7fff
	s_mov_b64 s[0:1], 0
	s_mov_b64 s[10:11], 0
	s_waitcnt vmcnt(0)
	v_ffbh_u32_e32 v3, v6
	v_min_u32_e32 v3, 32, v3
	v_lshlrev_b64 v[5:6], v3, v[5:6]
	v_sub_u32_e32 v3, 32, v3
	v_min_u32_e32 v5, 1, v5
	v_or_b32_e32 v5, v6, v5
	v_cvt_f32_u32_e32 v5, v5
	v_ldexp_f32 v3, v5, v3
	v_bfe_u32 v5, v3, 16, 1
	v_add3_u32 v3, v3, v5, s8
	v_lshrrev_b32_e32 v5, 16, v3
	s_mov_b64 s[8:9], -1
	s_branch .LBB31_861
.LBB31_859:
	s_mov_b64 s[0:1], -1
                                        ; implicit-def: $vgpr5
.LBB31_860:
	s_mov_b64 s[10:11], 0
.LBB31_861:
	s_and_b64 vcc, exec, s[10:11]
	s_cbranch_vccz .LBB31_879
; %bb.862:
	s_cmp_lt_i32 s14, 27
	s_cbranch_scc1 .LBB31_865
; %bb.863:
	s_cmp_gt_i32 s14, 27
	s_cbranch_scc0 .LBB31_866
; %bb.864:
	global_load_dword v3, v[1:2], off
	s_movk_i32 s8, 0x7fff
	s_waitcnt vmcnt(0)
	v_cvt_f32_u32_e32 v3, v3
	v_bfe_u32 v5, v3, 16, 1
	v_add3_u32 v3, v3, v5, s8
	v_lshrrev_b32_e32 v5, 16, v3
	s_mov_b64 s[8:9], 0
	s_branch .LBB31_867
.LBB31_865:
	s_mov_b64 s[8:9], -1
                                        ; implicit-def: $vgpr5
	s_branch .LBB31_870
.LBB31_866:
	s_mov_b64 s[8:9], -1
                                        ; implicit-def: $vgpr5
.LBB31_867:
	s_andn2_b64 vcc, exec, s[8:9]
	s_cbranch_vccnz .LBB31_869
; %bb.868:
	global_load_ushort v3, v[1:2], off
	s_movk_i32 s8, 0x7fff
	s_waitcnt vmcnt(0)
	v_cvt_f32_u32_e32 v3, v3
	v_bfe_u32 v5, v3, 16, 1
	v_add3_u32 v3, v3, v5, s8
	v_lshrrev_b32_e32 v5, 16, v3
.LBB31_869:
	s_mov_b64 s[8:9], 0
.LBB31_870:
	s_andn2_b64 vcc, exec, s[8:9]
	s_cbranch_vccnz .LBB31_878
; %bb.871:
	global_load_ubyte v3, v[1:2], off
	s_movk_i32 s8, 0x7f
	s_waitcnt vmcnt(0)
	v_cmp_lt_i16_e32 vcc, s8, v3
	s_mov_b64 s[8:9], 0
	s_and_saveexec_b64 s[10:11], vcc
	s_xor_b64 s[10:11], exec, s[10:11]
	s_cbranch_execz .LBB31_892
; %bb.872:
	s_movk_i32 s8, 0x80
	v_cmp_eq_u16_e32 vcc, s8, v3
	s_mov_b64 s[8:9], -1
	s_and_saveexec_b64 s[12:13], vcc
; %bb.873:
	s_xor_b64 s[8:9], exec, -1
; %bb.874:
	s_or_b64 exec, exec, s[12:13]
	s_and_b64 s[8:9], s[8:9], exec
	s_or_saveexec_b64 s[10:11], s[10:11]
	v_mov_b32_e32 v5, 0x7f800001
	s_xor_b64 exec, exec, s[10:11]
	s_cbranch_execnz .LBB31_893
.LBB31_875:
	s_or_b64 exec, exec, s[10:11]
	s_and_saveexec_b64 s[10:11], s[8:9]
	s_cbranch_execz .LBB31_877
.LBB31_876:
	v_lshlrev_b32_e32 v5, 24, v3
	v_and_b32_e32 v3, 0xffff, v3
	v_and_b32_e32 v6, 7, v3
	v_ffbh_u32_e32 v8, v6
	v_min_u32_e32 v8, 32, v8
	v_subrev_u32_e32 v9, 28, v8
	v_bfe_u32 v7, v3, 3, 4
	v_lshlrev_b32_e32 v3, v9, v3
	v_sub_u32_e32 v8, 29, v8
	v_and_b32_e32 v3, 7, v3
	v_cmp_eq_u32_e32 vcc, 0, v7
	v_cndmask_b32_e32 v7, v7, v8, vcc
	v_cndmask_b32_e32 v3, v6, v3, vcc
	v_mov_b32_e32 v6, 0x3b800000
	v_lshlrev_b32_e32 v3, 20, v3
	v_and_b32_e32 v5, 0x80000000, v5
	v_lshl_add_u32 v6, v7, 23, v6
	v_or3_b32 v5, v5, v6, v3
.LBB31_877:
	s_or_b64 exec, exec, s[10:11]
	v_bfe_u32 v3, v5, 16, 1
	s_movk_i32 s8, 0x7fff
	v_add3_u32 v3, v5, v3, s8
	v_cmp_o_f32_e32 vcc, v5, v5
	v_mov_b32_e32 v5, 0x7fc0
	v_cndmask_b32_sdwa v5, v5, v3, vcc dst_sel:DWORD dst_unused:UNUSED_PAD src0_sel:DWORD src1_sel:WORD_1
.LBB31_878:
	s_mov_b64 s[8:9], -1
.LBB31_879:
	s_mov_b64 s[10:11], 0
.LBB31_880:
	s_and_b64 vcc, exec, s[10:11]
	s_cbranch_vccz .LBB31_913
; %bb.881:
	s_cmp_gt_i32 s14, 22
	s_cbranch_scc0 .LBB31_891
; %bb.882:
	s_cmp_lt_i32 s14, 24
	s_cbranch_scc1 .LBB31_894
; %bb.883:
	s_cmp_gt_i32 s14, 24
	s_cbranch_scc0 .LBB31_895
; %bb.884:
	global_load_ubyte v3, v[1:2], off
	s_movk_i32 s2, 0x7f
	s_waitcnt vmcnt(0)
	v_cmp_lt_i16_e32 vcc, s2, v3
	s_mov_b64 s[2:3], 0
	s_and_saveexec_b64 s[8:9], vcc
	s_xor_b64 s[8:9], exec, s[8:9]
	s_cbranch_execz .LBB31_907
; %bb.885:
	s_movk_i32 s2, 0x80
	v_cmp_eq_u16_e32 vcc, s2, v3
	s_mov_b64 s[2:3], -1
	s_and_saveexec_b64 s[10:11], vcc
; %bb.886:
	s_xor_b64 s[2:3], exec, -1
; %bb.887:
	s_or_b64 exec, exec, s[10:11]
	s_and_b64 s[2:3], s[2:3], exec
	s_or_saveexec_b64 s[8:9], s[8:9]
	v_mov_b32_e32 v5, 0x7f800001
	s_xor_b64 exec, exec, s[8:9]
	s_cbranch_execnz .LBB31_908
.LBB31_888:
	s_or_b64 exec, exec, s[8:9]
	s_and_saveexec_b64 s[8:9], s[2:3]
	s_cbranch_execz .LBB31_890
.LBB31_889:
	v_lshlrev_b32_e32 v5, 24, v3
	v_and_b32_e32 v3, 0xffff, v3
	v_and_b32_e32 v6, 3, v3
	v_ffbh_u32_e32 v8, v6
	v_min_u32_e32 v8, 32, v8
	v_subrev_u32_e32 v9, 29, v8
	v_bfe_u32 v7, v3, 2, 5
	v_lshlrev_b32_e32 v3, v9, v3
	v_sub_u32_e32 v8, 30, v8
	v_and_b32_e32 v3, 3, v3
	v_cmp_eq_u32_e32 vcc, 0, v7
	v_cndmask_b32_e32 v7, v7, v8, vcc
	v_cndmask_b32_e32 v3, v6, v3, vcc
	v_mov_b32_e32 v6, 0x37800000
	v_lshlrev_b32_e32 v3, 21, v3
	v_and_b32_e32 v5, 0x80000000, v5
	v_lshl_add_u32 v6, v7, 23, v6
	v_or3_b32 v5, v5, v6, v3
.LBB31_890:
	s_or_b64 exec, exec, s[8:9]
	v_bfe_u32 v3, v5, 16, 1
	s_movk_i32 s2, 0x7fff
	v_add3_u32 v3, v5, v3, s2
	v_cmp_o_f32_e32 vcc, v5, v5
	v_mov_b32_e32 v5, 0x7fc0
	v_cndmask_b32_sdwa v5, v5, v3, vcc dst_sel:DWORD dst_unused:UNUSED_PAD src0_sel:DWORD src1_sel:WORD_1
	s_mov_b64 s[2:3], 0
	s_branch .LBB31_896
.LBB31_891:
	s_mov_b64 s[2:3], -1
                                        ; implicit-def: $vgpr5
	s_branch .LBB31_902
.LBB31_892:
	s_or_saveexec_b64 s[10:11], s[10:11]
	v_mov_b32_e32 v5, 0x7f800001
	s_xor_b64 exec, exec, s[10:11]
	s_cbranch_execz .LBB31_875
.LBB31_893:
	v_cmp_ne_u16_e32 vcc, 0, v3
	s_andn2_b64 s[8:9], s[8:9], exec
	s_and_b64 s[12:13], vcc, exec
	v_mov_b32_e32 v5, 0
	s_or_b64 s[8:9], s[8:9], s[12:13]
	s_or_b64 exec, exec, s[10:11]
	s_and_saveexec_b64 s[10:11], s[8:9]
	s_cbranch_execnz .LBB31_876
	s_branch .LBB31_877
.LBB31_894:
	s_mov_b64 s[2:3], -1
                                        ; implicit-def: $vgpr5
	s_branch .LBB31_899
.LBB31_895:
	s_mov_b64 s[2:3], -1
                                        ; implicit-def: $vgpr5
.LBB31_896:
	s_and_b64 vcc, exec, s[2:3]
	s_cbranch_vccz .LBB31_898
; %bb.897:
	global_load_ubyte v3, v[1:2], off
	s_mov_b32 s2, 0x7f800000
	s_brev_b32 s3, 1
	s_movk_i32 s8, 0x7fff
	s_waitcnt vmcnt(0)
	v_lshlrev_b32_e32 v3, 24, v3
	v_and_b32_e32 v5, 0x7f000000, v3
	v_ffbh_u32_e32 v6, v5
	v_min_u32_e32 v6, 32, v6
	v_sub_u32_e64 v6, v6, 4 clamp
	v_lshlrev_b32_e32 v8, v6, v5
	v_lshlrev_b32_e32 v6, 23, v6
	v_lshrrev_b32_e32 v8, 4, v8
	v_add_u32_e32 v7, 0x1000000, v5
	v_sub_u32_e32 v6, v8, v6
	v_ashrrev_i32_e32 v7, 8, v7
	v_add_u32_e32 v6, 0x3c000000, v6
	v_and_or_b32 v6, v7, s2, v6
	v_cmp_ne_u32_e32 vcc, 0, v5
	v_cndmask_b32_e32 v5, 0, v6, vcc
	v_and_or_b32 v3, v3, s3, v5
	v_bfe_u32 v5, v5, 16, 1
	v_add3_u32 v5, v3, v5, s8
	v_cmp_o_f32_e32 vcc, v3, v3
	v_mov_b32_e32 v3, 0x7fc0
	v_cndmask_b32_sdwa v5, v3, v5, vcc dst_sel:DWORD dst_unused:UNUSED_PAD src0_sel:DWORD src1_sel:WORD_1
.LBB31_898:
	s_mov_b64 s[2:3], 0
.LBB31_899:
	s_andn2_b64 vcc, exec, s[2:3]
	s_cbranch_vccnz .LBB31_901
; %bb.900:
	global_load_ubyte v3, v[1:2], off
	s_movk_i32 s2, 0x7f00
	s_brev_b32 s3, 16
	s_brev_b32 s8, 1
	s_movk_i32 s9, 0x7fff
	s_waitcnt vmcnt(0)
	v_lshlrev_b16_e32 v5, 8, v3
	v_lshlrev_b32_e32 v3, 25, v3
	v_lshrrev_b32_e32 v6, 4, v3
	v_and_or_b32 v7, v5, s2, 0.5
	v_or_b32_e32 v6, 0x70000000, v6
	v_add_f32_e32 v7, -0.5, v7
	v_mul_f32_e32 v6, 0x7800000, v6
	v_cmp_gt_u32_e32 vcc, s3, v3
	v_bfe_i32 v5, v5, 0, 16
	v_cndmask_b32_e32 v3, v6, v7, vcc
	v_and_or_b32 v5, v5, s8, v3
	v_bfe_u32 v3, v3, 16, 1
	v_add3_u32 v3, v5, v3, s9
	v_cmp_o_f32_e32 vcc, v5, v5
	v_mov_b32_e32 v5, 0x7fc0
	v_cndmask_b32_sdwa v5, v5, v3, vcc dst_sel:DWORD dst_unused:UNUSED_PAD src0_sel:DWORD src1_sel:WORD_1
.LBB31_901:
	s_mov_b64 s[2:3], 0
	s_mov_b64 s[8:9], -1
.LBB31_902:
	s_andn2_b64 vcc, exec, s[2:3]
	s_mov_b64 s[2:3], 0
	s_cbranch_vccnz .LBB31_913
; %bb.903:
	s_cmp_gt_i32 s14, 14
	s_cbranch_scc0 .LBB31_906
; %bb.904:
	s_cmp_eq_u32 s14, 15
	s_cbranch_scc0 .LBB31_909
; %bb.905:
	global_load_ushort v5, v[1:2], off
	s_mov_b64 s[0:1], 0
	s_mov_b64 s[8:9], -1
	s_branch .LBB31_910
.LBB31_906:
	s_mov_b64 s[10:11], -1
                                        ; implicit-def: $vgpr5
	s_branch .LBB31_911
.LBB31_907:
	s_or_saveexec_b64 s[8:9], s[8:9]
	v_mov_b32_e32 v5, 0x7f800001
	s_xor_b64 exec, exec, s[8:9]
	s_cbranch_execz .LBB31_888
.LBB31_908:
	v_cmp_ne_u16_e32 vcc, 0, v3
	s_andn2_b64 s[2:3], s[2:3], exec
	s_and_b64 s[10:11], vcc, exec
	v_mov_b32_e32 v5, 0
	s_or_b64 s[2:3], s[2:3], s[10:11]
	s_or_b64 exec, exec, s[8:9]
	s_and_saveexec_b64 s[8:9], s[2:3]
	s_cbranch_execnz .LBB31_889
	s_branch .LBB31_890
.LBB31_909:
	s_mov_b64 s[0:1], -1
                                        ; implicit-def: $vgpr5
.LBB31_910:
	s_mov_b64 s[10:11], 0
.LBB31_911:
	s_and_b64 vcc, exec, s[10:11]
	s_cbranch_vccz .LBB31_913
; %bb.912:
	s_cmp_lg_u32 s14, 11
	s_cselect_b64 s[10:11], -1, 0
	s_andn2_b64 s[0:1], s[0:1], exec
	s_and_b64 s[10:11], s[10:11], exec
	s_mov_b64 s[2:3], -1
	s_or_b64 s[0:1], s[0:1], s[10:11]
.LBB31_913:
	s_mov_b64 s[12:13], 0
.LBB31_914:
	s_and_b64 s[10:11], s[8:9], exec
	s_and_b64 s[8:9], s[12:13], exec
	s_andn2_b64 s[12:13], s[66:67], exec
	s_and_b64 s[0:1], s[0:1], exec
	s_and_b64 s[2:3], s[2:3], exec
	s_or_b64 s[12:13], s[12:13], s[0:1]
.LBB31_915:
	s_or_b64 exec, exec, s[70:71]
	s_and_b64 s[0:1], s[2:3], exec
	s_andn2_b64 s[2:3], s[66:67], exec
	s_and_b64 s[12:13], s[12:13], exec
	s_and_b64 s[10:11], s[10:11], exec
	;; [unrolled: 1-line block ×3, first 2 shown]
	s_or_b64 s[66:67], s[2:3], s[12:13]
.LBB31_916:
	s_or_b64 exec, exec, s[64:65]
	s_andn2_b64 s[2:3], s[60:61], exec
	s_and_b64 s[12:13], s[68:69], exec
	s_or_b64 s[60:61], s[2:3], s[12:13]
	s_and_b64 s[2:3], s[0:1], exec
	s_andn2_b64 s[0:1], s[58:59], exec
	s_and_b64 s[12:13], s[66:67], exec
	s_and_b64 s[10:11], s[10:11], exec
	;; [unrolled: 1-line block ×3, first 2 shown]
	s_or_b64 s[58:59], s[0:1], s[12:13]
.LBB31_917:
	s_or_b64 exec, exec, s[62:63]
	s_andn2_b64 s[0:1], s[52:53], exec
	s_and_b64 s[12:13], s[60:61], exec
	s_or_b64 s[52:53], s[0:1], s[12:13]
	s_and_b64 s[0:1], s[10:11], exec
	s_and_b64 s[10:11], s[8:9], exec
	;; [unrolled: 1-line block ×3, first 2 shown]
	s_andn2_b64 s[2:3], s[54:55], exec
	s_and_b64 s[8:9], s[58:59], exec
	s_or_b64 s[54:55], s[2:3], s[8:9]
	s_or_b64 exec, exec, s[56:57]
	s_mov_b64 s[2:3], 0
	s_and_saveexec_b64 s[8:9], s[54:55]
	s_cbranch_execz .LBB31_274
.LBB31_918:
	s_mov_b64 s[2:3], exec
	s_andn2_b64 s[60:61], s[60:61], exec
	s_trap 2
	s_or_b64 exec, exec, s[8:9]
	s_and_saveexec_b64 s[8:9], s[60:61]
	s_xor_b64 s[8:9], exec, s[8:9]
	s_cbranch_execnz .LBB31_275
.LBB31_919:
	s_or_b64 exec, exec, s[8:9]
	s_and_saveexec_b64 s[8:9], s[10:11]
	s_cbranch_execz .LBB31_965
.LBB31_920:
	s_sext_i32_i16 s10, s75
	s_cmp_lt_i32 s10, 5
	s_cbranch_scc1 .LBB31_925
; %bb.921:
	s_cmp_lt_i32 s10, 8
	s_cbranch_scc1 .LBB31_926
; %bb.922:
	;; [unrolled: 3-line block ×3, first 2 shown]
	s_cmp_gt_i32 s10, 9
	s_cbranch_scc0 .LBB31_928
; %bb.924:
	global_load_dwordx2 v[5:6], v[1:2], off
	s_movk_i32 s10, 0x7fff
	s_waitcnt vmcnt(0)
	v_cvt_f32_f64_e32 v3, v[5:6]
	v_mov_b32_e32 v5, 0x7fc0
	v_bfe_u32 v6, v3, 16, 1
	v_cmp_o_f32_e32 vcc, v3, v3
	v_add3_u32 v3, v3, v6, s10
	v_cndmask_b32_sdwa v5, v5, v3, vcc dst_sel:DWORD dst_unused:UNUSED_PAD src0_sel:DWORD src1_sel:WORD_1
	s_mov_b64 s[10:11], 0
	s_branch .LBB31_929
.LBB31_925:
                                        ; implicit-def: $vgpr5
	s_branch .LBB31_946
.LBB31_926:
                                        ; implicit-def: $vgpr5
	s_branch .LBB31_935
.LBB31_927:
	s_mov_b64 s[10:11], -1
                                        ; implicit-def: $vgpr5
	s_branch .LBB31_932
.LBB31_928:
	s_mov_b64 s[10:11], -1
                                        ; implicit-def: $vgpr5
.LBB31_929:
	s_andn2_b64 vcc, exec, s[10:11]
	s_cbranch_vccnz .LBB31_931
; %bb.930:
	global_load_dword v3, v[1:2], off
	s_movk_i32 s10, 0x7fff
	s_waitcnt vmcnt(1)
	v_mov_b32_e32 v5, 0x7fc0
	s_waitcnt vmcnt(0)
	v_bfe_u32 v6, v3, 16, 1
	v_cmp_o_f32_e32 vcc, v3, v3
	v_add3_u32 v3, v3, v6, s10
	v_cndmask_b32_sdwa v5, v5, v3, vcc dst_sel:DWORD dst_unused:UNUSED_PAD src0_sel:DWORD src1_sel:WORD_1
.LBB31_931:
	s_mov_b64 s[10:11], 0
.LBB31_932:
	s_andn2_b64 vcc, exec, s[10:11]
	s_cbranch_vccnz .LBB31_934
; %bb.933:
	global_load_dword v3, v[1:2], off
	s_movk_i32 s10, 0x7fff
	v_mov_b32_e32 v6, 0x7fc0
	s_waitcnt vmcnt(0)
	v_cvt_f32_f16_e32 v5, v3
	v_cmp_o_f16_e32 vcc, v3, v3
	v_bfe_u32 v3, v5, 16, 1
	v_add3_u32 v3, v5, v3, s10
	v_cndmask_b32_sdwa v5, v6, v3, vcc dst_sel:DWORD dst_unused:UNUSED_PAD src0_sel:DWORD src1_sel:WORD_1
.LBB31_934:
	s_cbranch_execnz .LBB31_945
.LBB31_935:
	s_sext_i32_i16 s10, s75
	s_cmp_lt_i32 s10, 6
	s_cbranch_scc1 .LBB31_938
; %bb.936:
	s_cmp_gt_i32 s10, 6
	s_cbranch_scc0 .LBB31_939
; %bb.937:
	global_load_dwordx2 v[5:6], v[1:2], off
	s_movk_i32 s10, 0x7fff
	s_waitcnt vmcnt(0)
	v_cvt_f32_f64_e32 v3, v[5:6]
	v_mov_b32_e32 v5, 0x7fc0
	v_bfe_u32 v6, v3, 16, 1
	v_cmp_o_f32_e32 vcc, v3, v3
	v_add3_u32 v3, v3, v6, s10
	v_cndmask_b32_sdwa v5, v5, v3, vcc dst_sel:DWORD dst_unused:UNUSED_PAD src0_sel:DWORD src1_sel:WORD_1
	s_mov_b64 s[10:11], 0
	s_branch .LBB31_940
.LBB31_938:
	s_mov_b64 s[10:11], -1
                                        ; implicit-def: $vgpr5
	s_branch .LBB31_943
.LBB31_939:
	s_mov_b64 s[10:11], -1
                                        ; implicit-def: $vgpr5
.LBB31_940:
	s_andn2_b64 vcc, exec, s[10:11]
	s_cbranch_vccnz .LBB31_942
; %bb.941:
	global_load_dword v3, v[1:2], off
	s_movk_i32 s10, 0x7fff
	s_waitcnt vmcnt(1)
	v_mov_b32_e32 v5, 0x7fc0
	s_waitcnt vmcnt(0)
	v_bfe_u32 v6, v3, 16, 1
	v_cmp_o_f32_e32 vcc, v3, v3
	v_add3_u32 v3, v3, v6, s10
	v_cndmask_b32_sdwa v5, v5, v3, vcc dst_sel:DWORD dst_unused:UNUSED_PAD src0_sel:DWORD src1_sel:WORD_1
.LBB31_942:
	s_mov_b64 s[10:11], 0
.LBB31_943:
	s_andn2_b64 vcc, exec, s[10:11]
	s_cbranch_vccnz .LBB31_945
; %bb.944:
	global_load_ushort v3, v[1:2], off
	s_movk_i32 s10, 0x7fff
	v_mov_b32_e32 v6, 0x7fc0
	s_waitcnt vmcnt(0)
	v_cvt_f32_f16_e32 v5, v3
	v_cmp_o_f16_e32 vcc, v3, v3
	v_bfe_u32 v3, v5, 16, 1
	v_add3_u32 v3, v5, v3, s10
	v_cndmask_b32_sdwa v5, v6, v3, vcc dst_sel:DWORD dst_unused:UNUSED_PAD src0_sel:DWORD src1_sel:WORD_1
.LBB31_945:
	s_cbranch_execnz .LBB31_964
.LBB31_946:
	s_sext_i32_i16 s10, s75
	s_cmp_lt_i32 s10, 2
	s_cbranch_scc1 .LBB31_950
; %bb.947:
	s_cmp_lt_i32 s10, 3
	s_cbranch_scc1 .LBB31_951
; %bb.948:
	s_cmp_gt_i32 s10, 3
	s_cbranch_scc0 .LBB31_952
; %bb.949:
	global_load_dwordx2 v[5:6], v[1:2], off
	s_movk_i32 s10, 0x7fff
	s_waitcnt vmcnt(0)
	v_xor_b32_e32 v7, v5, v6
	v_ffbh_i32_e32 v3, v6
	v_ashrrev_i32_e32 v7, 31, v7
	v_add_u32_e32 v3, -1, v3
	v_add_u32_e32 v7, 32, v7
	v_min_u32_e32 v3, v3, v7
	v_lshlrev_b64 v[5:6], v3, v[5:6]
	v_sub_u32_e32 v3, 32, v3
	v_min_u32_e32 v5, 1, v5
	v_or_b32_e32 v5, v6, v5
	v_cvt_f32_i32_e32 v5, v5
	v_ldexp_f32 v3, v5, v3
	v_bfe_u32 v5, v3, 16, 1
	v_add3_u32 v3, v3, v5, s10
	v_lshrrev_b32_e32 v5, 16, v3
	s_mov_b64 s[10:11], 0
	s_branch .LBB31_953
.LBB31_950:
                                        ; implicit-def: $vgpr5
	s_branch .LBB31_959
.LBB31_951:
	s_mov_b64 s[10:11], -1
                                        ; implicit-def: $vgpr5
	s_branch .LBB31_956
.LBB31_952:
	s_mov_b64 s[10:11], -1
                                        ; implicit-def: $vgpr5
.LBB31_953:
	s_andn2_b64 vcc, exec, s[10:11]
	s_cbranch_vccnz .LBB31_955
; %bb.954:
	global_load_dword v3, v[1:2], off
	s_movk_i32 s10, 0x7fff
	s_waitcnt vmcnt(0)
	v_cvt_f32_i32_e32 v3, v3
	v_bfe_u32 v5, v3, 16, 1
	v_add3_u32 v3, v3, v5, s10
	v_lshrrev_b32_e32 v5, 16, v3
.LBB31_955:
	s_mov_b64 s[10:11], 0
.LBB31_956:
	s_andn2_b64 vcc, exec, s[10:11]
	s_cbranch_vccnz .LBB31_958
; %bb.957:
	global_load_sshort v3, v[1:2], off
	s_movk_i32 s10, 0x7fff
	s_waitcnt vmcnt(0)
	v_cvt_f32_i32_e32 v3, v3
	v_bfe_u32 v5, v3, 16, 1
	v_add3_u32 v3, v3, v5, s10
	v_lshrrev_b32_e32 v5, 16, v3
.LBB31_958:
	s_cbranch_execnz .LBB31_964
.LBB31_959:
	s_sext_i32_i16 s10, s75
	s_cmp_gt_i32 s10, 0
	s_cbranch_scc0 .LBB31_961
; %bb.960:
	global_load_sbyte v3, v[1:2], off
	s_movk_i32 s10, 0x7fff
	s_waitcnt vmcnt(0)
	v_cvt_f32_i32_e32 v3, v3
	v_bfe_u32 v5, v3, 16, 1
	v_add3_u32 v3, v3, v5, s10
	v_lshrrev_b32_e32 v5, 16, v3
	s_mov_b64 s[10:11], 0
	s_branch .LBB31_962
.LBB31_961:
	s_mov_b64 s[10:11], -1
                                        ; implicit-def: $vgpr5
.LBB31_962:
	s_andn2_b64 vcc, exec, s[10:11]
	s_cbranch_vccnz .LBB31_964
; %bb.963:
	global_load_ubyte v1, v[1:2], off
	s_movk_i32 s10, 0x7fff
	s_waitcnt vmcnt(0)
	v_cvt_f32_ubyte0_e32 v1, v1
	v_bfe_u32 v2, v1, 16, 1
	v_add3_u32 v1, v1, v2, s10
	v_lshrrev_b32_e32 v5, 16, v1
.LBB31_964:
	s_or_b64 s[0:1], s[0:1], exec
.LBB31_965:
	s_or_b64 exec, exec, s[8:9]
	s_mov_b64 s[12:13], 0
	s_mov_b64 s[10:11], 0
                                        ; implicit-def: $sgpr18
                                        ; implicit-def: $vgpr1_vgpr2
                                        ; implicit-def: $vgpr3
	s_and_saveexec_b64 s[8:9], s[0:1]
	s_cbranch_execz .LBB31_983
; %bb.966:
	s_waitcnt vmcnt(0)
	v_lshlrev_b32_e32 v1, 16, v5
	v_cmp_nle_f32_e32 vcc, v4, v1
	v_cmp_nge_f32_e64 s[0:1], s74, v1
	s_or_b64 vcc, s[0:1], vcc
	v_cndmask_b32_e32 v3, 0, v5, vcc
	v_mov_b32_e32 v2, s25
	s_and_b32 s18, s73, 0xff
	v_add_co_u32_e32 v1, vcc, s24, v0
	s_cmp_lt_i32 s18, 11
	v_addc_co_u32_e32 v2, vcc, 0, v2, vcc
	s_cbranch_scc1 .LBB31_986
; %bb.967:
	s_and_b32 s19, 0xffff, s18
	s_mov_b64 s[12:13], -1
	s_cmp_gt_i32 s19, 25
	s_mov_b64 s[0:1], s[52:53]
	s_cbranch_scc0 .LBB31_1004
; %bb.968:
	s_mov_b64 s[10:11], -1
	s_cmp_gt_i32 s19, 28
	s_mov_b64 s[0:1], s[52:53]
	s_cbranch_scc0 .LBB31_988
; %bb.969:
	s_cmp_gt_i32 s19, 43
	s_mov_b64 s[0:1], s[52:53]
	s_cbranch_scc0 .LBB31_980
; %bb.970:
	;; [unrolled: 4-line block ×3, first 2 shown]
	s_cmp_eq_u32 s19, 46
	s_mov_b64 s[0:1], -1
	s_cbranch_scc0 .LBB31_973
; %bb.972:
	v_and_b32_e32 v0, 0xffff, v3
	global_store_dword v[1:2], v0, off
	s_mov_b64 s[0:1], 0
.LBB31_973:
	s_mov_b64 s[10:11], 0
.LBB31_974:
	s_and_b64 vcc, exec, s[10:11]
	s_cbranch_vccz .LBB31_979
; %bb.975:
	s_cmp_eq_u32 s19, 44
	s_mov_b64 s[0:1], -1
	s_cbranch_scc0 .LBB31_979
; %bb.976:
	v_and_b32_e32 v4, 0xffff, v3
	v_bfe_u32 v0, v4, 7, 8
	s_movk_i32 s0, 0xff
	v_cmp_ne_u32_e32 vcc, s0, v0
	v_mov_b32_e32 v5, 0xff
	s_and_saveexec_b64 s[10:11], vcc
	s_cbranch_execz .LBB31_978
; %bb.977:
	v_lshlrev_b32_e32 v6, 16, v4
	s_mov_b32 s0, 0x3f0000
	v_lshrrev_b32_e32 v5, 7, v4
	v_and_b32_e32 v4, 64, v4
	v_and_or_b32 v0, v6, s0, v0
	v_cmp_ne_u32_e32 vcc, 0, v4
	v_cmp_ne_u32_e64 s[0:1], 0, v0
	s_and_b64 s[0:1], vcc, s[0:1]
	v_cndmask_b32_e64 v0, 0, 1, s[0:1]
	v_add_u32_e32 v5, v5, v0
.LBB31_978:
	s_or_b64 exec, exec, s[10:11]
	s_mov_b64 s[0:1], 0
	global_store_byte v[1:2], v5, off
.LBB31_979:
	s_mov_b64 s[10:11], 0
.LBB31_980:
	s_and_b64 vcc, exec, s[10:11]
	s_cbranch_vccz .LBB31_987
; %bb.981:
	s_cmp_eq_u32 s19, 29
	s_mov_b64 s[0:1], -1
	s_cbranch_scc0 .LBB31_987
; %bb.982:
	v_lshlrev_b32_e32 v0, 16, v3
	v_trunc_f32_e32 v0, v0
	v_mul_f32_e32 v4, 0x2f800000, v0
	v_floor_f32_e32 v4, v4
	v_fmac_f32_e32 v0, 0xcf800000, v4
	v_cvt_u32_f32_e32 v5, v4
	v_cvt_u32_f32_e32 v4, v0
	s_mov_b64 s[0:1], 0
	s_mov_b64 s[10:11], 0
	global_store_dwordx2 v[1:2], v[4:5], off
	s_branch .LBB31_988
.LBB31_983:
	s_or_b64 exec, exec, s[8:9]
	s_and_saveexec_b64 s[0:1], s[52:53]
	s_cbranch_execnz .LBB31_1046
.LBB31_984:
	s_or_b64 exec, exec, s[0:1]
	s_and_saveexec_b64 s[0:1], s[12:13]
	s_xor_b64 s[0:1], exec, s[0:1]
	s_cbranch_execz .LBB31_1047
.LBB31_985:
	s_waitcnt vmcnt(0)
	v_and_b32_e32 v0, 0x7fff, v3
	v_cmp_ne_u16_e32 vcc, 0, v0
	v_cndmask_b32_e64 v0, 0, 1, vcc
	global_store_byte v[1:2], v0, off
	s_or_b64 exec, exec, s[0:1]
	s_and_saveexec_b64 s[0:1], s[10:11]
	s_xor_b64 s[0:1], exec, s[0:1]
	s_cbranch_execz .LBB31_1085
	s_branch .LBB31_1048
.LBB31_986:
	s_mov_b64 s[10:11], -1
	s_mov_b64 s[0:1], s[52:53]
	s_branch .LBB31_1045
.LBB31_987:
	s_mov_b64 s[10:11], 0
.LBB31_988:
	s_and_b64 vcc, exec, s[10:11]
	s_cbranch_vccz .LBB31_1003
; %bb.989:
	s_cmp_lt_i32 s19, 27
	s_mov_b64 s[10:11], -1
	s_cbranch_scc1 .LBB31_995
; %bb.990:
	s_cmp_gt_i32 s19, 27
	s_cbranch_scc0 .LBB31_992
; %bb.991:
	v_lshlrev_b32_e32 v0, 16, v3
	v_cvt_u32_f32_e32 v0, v0
	s_mov_b64 s[10:11], 0
	global_store_dword v[1:2], v0, off
.LBB31_992:
	s_andn2_b64 vcc, exec, s[10:11]
	s_cbranch_vccnz .LBB31_994
; %bb.993:
	v_lshlrev_b32_e32 v0, 16, v3
	v_cvt_u32_f32_e32 v0, v0
	global_store_short v[1:2], v0, off
.LBB31_994:
	s_mov_b64 s[10:11], 0
.LBB31_995:
	s_andn2_b64 vcc, exec, s[10:11]
	s_cbranch_vccnz .LBB31_1003
; %bb.996:
	v_lshlrev_b32_e32 v5, 16, v3
	v_and_b32_e32 v4, 0x7fffffff, v5
	s_mov_b32 s10, 0x43800000
	v_cmp_gt_u32_e32 vcc, s10, v4
	v_mov_b32_e32 v6, 0x80
	s_and_saveexec_b64 s[10:11], vcc
	s_cbranch_execz .LBB31_1002
; %bb.997:
	s_mov_b32 s12, 0x3bffffff
	v_and_b32_e32 v0, 0xffff, v3
	v_cmp_lt_u32_e32 vcc, s12, v4
	s_mov_b64 s[12:13], 0
                                        ; implicit-def: $vgpr4
	s_and_saveexec_b64 s[14:15], vcc
	s_xor_b64 s[14:15], exec, s[14:15]
	s_cbranch_execz .LBB31_1156
; %bb.998:
	v_bfe_u32 v4, v0, 4, 1
	s_mov_b32 s16, 0x487ffff
	v_add3_u32 v4, v5, v4, s16
	s_mov_b64 s[12:13], exec
	v_lshrrev_b32_e32 v4, 20, v4
                                        ; implicit-def: $vgpr5
	s_andn2_saveexec_b64 s[14:15], s[14:15]
	s_cbranch_execnz .LBB31_1157
.LBB31_999:
	s_or_b64 exec, exec, s[14:15]
	v_mov_b32_e32 v6, 0
	s_and_saveexec_b64 s[14:15], s[12:13]
.LBB31_1000:
	v_lshrrev_b32_e32 v0, 8, v0
	s_movk_i32 s12, 0x80
	v_and_or_b32 v6, v0, s12, v4
.LBB31_1001:
	s_or_b64 exec, exec, s[14:15]
.LBB31_1002:
	s_or_b64 exec, exec, s[10:11]
	global_store_byte v[1:2], v6, off
.LBB31_1003:
	s_mov_b64 s[12:13], 0
.LBB31_1004:
	s_mov_b64 s[10:11], 0
	s_and_b64 vcc, exec, s[12:13]
	s_cbranch_vccz .LBB31_1044
; %bb.1005:
	s_cmp_gt_i32 s19, 22
	s_mov_b64 s[12:13], -1
	s_cbranch_scc0 .LBB31_1037
; %bb.1006:
	s_cmp_lt_i32 s19, 24
	s_cbranch_scc1 .LBB31_1026
; %bb.1007:
	s_cmp_gt_i32 s19, 24
	s_cbranch_scc0 .LBB31_1015
; %bb.1008:
	v_lshlrev_b32_e32 v5, 16, v3
	v_and_b32_e32 v4, 0x7fffffff, v5
	s_mov_b32 s12, 0x47800000
	v_cmp_gt_u32_e32 vcc, s12, v4
	v_mov_b32_e32 v6, 0x80
	s_and_saveexec_b64 s[12:13], vcc
	s_cbranch_execz .LBB31_1014
; %bb.1009:
	s_mov_b32 s14, 0x37ffffff
	v_and_b32_e32 v0, 0xffff, v3
	v_cmp_lt_u32_e32 vcc, s14, v4
	s_mov_b64 s[14:15], 0
                                        ; implicit-def: $vgpr4
	s_and_saveexec_b64 s[16:17], vcc
	s_xor_b64 s[16:17], exec, s[16:17]
	s_cbranch_execz .LBB31_1280
; %bb.1010:
	v_bfe_u32 v4, v0, 5, 1
	s_mov_b32 s20, 0x88fffff
	v_add3_u32 v4, v5, v4, s20
	s_mov_b64 s[14:15], exec
	v_lshrrev_b32_e32 v4, 21, v4
                                        ; implicit-def: $vgpr5
	s_andn2_saveexec_b64 s[16:17], s[16:17]
	s_cbranch_execnz .LBB31_1281
.LBB31_1011:
	s_or_b64 exec, exec, s[16:17]
	v_mov_b32_e32 v6, 0
	s_and_saveexec_b64 s[16:17], s[14:15]
.LBB31_1012:
	v_lshrrev_b32_e32 v0, 8, v0
	s_movk_i32 s14, 0x80
	v_and_or_b32 v6, v0, s14, v4
.LBB31_1013:
	s_or_b64 exec, exec, s[16:17]
.LBB31_1014:
	s_or_b64 exec, exec, s[12:13]
	s_mov_b64 s[12:13], 0
	global_store_byte v[1:2], v6, off
.LBB31_1015:
	s_and_b64 vcc, exec, s[12:13]
	s_cbranch_vccz .LBB31_1025
; %bb.1016:
	v_lshlrev_b32_e32 v5, 16, v3
	v_and_b32_e32 v6, 0x7fffffff, v5
	s_mov_b32 s12, 0x43f00000
	v_and_b32_e32 v0, 0xffff, v3
	v_cmp_gt_u32_e32 vcc, s12, v6
                                        ; implicit-def: $vgpr4
	s_and_saveexec_b64 s[12:13], vcc
	s_xor_b64 s[12:13], exec, s[12:13]
	s_cbranch_execz .LBB31_1022
; %bb.1017:
	s_mov_b32 s14, 0x3c7fffff
	v_cmp_lt_u32_e32 vcc, s14, v6
                                        ; implicit-def: $vgpr4
	s_and_saveexec_b64 s[14:15], vcc
	s_xor_b64 s[14:15], exec, s[14:15]
; %bb.1018:
	v_bfe_u32 v4, v0, 4, 1
	s_mov_b32 s16, 0x407ffff
	v_add3_u32 v4, v5, v4, s16
	v_lshrrev_b32_e32 v5, 20, v4
	v_and_b32_e32 v4, 0xff00000, v4
	s_mov_b32 s16, 0x7f00000
	v_mov_b32_e32 v6, 0x7e
	v_cmp_ne_u32_e32 vcc, s16, v4
	v_cndmask_b32_e32 v4, v6, v5, vcc
                                        ; implicit-def: $vgpr5
; %bb.1019:
	s_andn2_saveexec_b64 s[14:15], s[14:15]
; %bb.1020:
	s_mov_b32 s16, 0x46800000
	v_add_f32_e64 v4, |v5|, s16
; %bb.1021:
	s_or_b64 exec, exec, s[14:15]
                                        ; implicit-def: $vgpr6
.LBB31_1022:
	s_andn2_saveexec_b64 s[12:13], s[12:13]
; %bb.1023:
	s_mov_b32 s14, 0x7f800000
	v_mov_b32_e32 v4, 0x7e
	v_mov_b32_e32 v5, 0x7f
	v_cmp_lt_u32_e32 vcc, s14, v6
	v_cndmask_b32_e32 v4, v4, v5, vcc
; %bb.1024:
	s_or_b64 exec, exec, s[12:13]
	v_lshrrev_b32_e32 v0, 8, v0
	s_movk_i32 s12, 0x80
	v_and_or_b32 v0, v0, s12, v4
	global_store_byte v[1:2], v0, off
.LBB31_1025:
	s_mov_b64 s[12:13], 0
.LBB31_1026:
	s_andn2_b64 vcc, exec, s[12:13]
	s_cbranch_vccnz .LBB31_1036
; %bb.1027:
	v_lshlrev_b32_e32 v5, 16, v3
	v_and_b32_e32 v6, 0x7fffffff, v5
	s_mov_b32 s12, 0x47800000
	v_and_b32_e32 v0, 0xffff, v3
	v_cmp_gt_u32_e32 vcc, s12, v6
                                        ; implicit-def: $vgpr4
	s_and_saveexec_b64 s[12:13], vcc
	s_xor_b64 s[12:13], exec, s[12:13]
	s_cbranch_execz .LBB31_1033
; %bb.1028:
	s_mov_b32 s14, 0x387fffff
	v_cmp_lt_u32_e32 vcc, s14, v6
                                        ; implicit-def: $vgpr4
	s_and_saveexec_b64 s[14:15], vcc
	s_xor_b64 s[14:15], exec, s[14:15]
; %bb.1029:
	v_bfe_u32 v4, v0, 5, 1
	s_mov_b32 s16, 0x80fffff
	v_add3_u32 v4, v5, v4, s16
	v_lshrrev_b32_e32 v4, 21, v4
                                        ; implicit-def: $vgpr5
; %bb.1030:
	s_andn2_saveexec_b64 s[14:15], s[14:15]
; %bb.1031:
	s_mov_b32 s16, 0x43000000
	v_add_f32_e64 v4, |v5|, s16
; %bb.1032:
	s_or_b64 exec, exec, s[14:15]
                                        ; implicit-def: $vgpr6
.LBB31_1033:
	s_andn2_saveexec_b64 s[12:13], s[12:13]
; %bb.1034:
	s_mov_b32 s14, 0x7f800000
	v_mov_b32_e32 v4, 0x7c
	v_mov_b32_e32 v5, 0x7f
	v_cmp_lt_u32_e32 vcc, s14, v6
	v_cndmask_b32_e32 v4, v4, v5, vcc
; %bb.1035:
	s_or_b64 exec, exec, s[12:13]
	v_lshrrev_b32_e32 v0, 8, v0
	s_movk_i32 s12, 0x80
	v_and_or_b32 v0, v0, s12, v4
	global_store_byte v[1:2], v0, off
.LBB31_1036:
	s_mov_b64 s[12:13], 0
.LBB31_1037:
	s_andn2_b64 vcc, exec, s[12:13]
	s_mov_b64 s[12:13], 0
	s_cbranch_vccnz .LBB31_1045
; %bb.1038:
	s_cmp_gt_i32 s19, 14
	s_mov_b64 s[14:15], -1
	s_cbranch_scc0 .LBB31_1042
; %bb.1039:
	s_cmp_eq_u32 s19, 15
	s_mov_b64 s[0:1], -1
	s_cbranch_scc0 .LBB31_1041
; %bb.1040:
	global_store_short v[1:2], v3, off
	s_mov_b64 s[0:1], 0
.LBB31_1041:
	s_mov_b64 s[14:15], 0
.LBB31_1042:
	s_and_b64 vcc, exec, s[14:15]
	s_cbranch_vccz .LBB31_1045
; %bb.1043:
	s_cmp_lg_u32 s19, 11
	s_cselect_b64 s[14:15], -1, 0
	s_andn2_b64 s[0:1], s[0:1], exec
	s_and_b64 s[14:15], s[14:15], exec
	s_mov_b64 s[12:13], -1
	s_or_b64 s[0:1], s[0:1], s[14:15]
	s_branch .LBB31_1045
.LBB31_1044:
	s_mov_b64 s[12:13], 0
.LBB31_1045:
	s_andn2_b64 s[14:15], s[52:53], exec
	s_and_b64 s[0:1], s[0:1], exec
	s_and_b64 s[10:11], s[10:11], exec
	;; [unrolled: 1-line block ×3, first 2 shown]
	s_or_b64 s[52:53], s[14:15], s[0:1]
	s_or_b64 exec, exec, s[8:9]
	s_and_saveexec_b64 s[0:1], s[52:53]
	s_cbranch_execz .LBB31_984
.LBB31_1046:
	s_or_b64 s[2:3], s[2:3], exec
	s_andn2_b64 s[12:13], s[12:13], exec
	s_trap 2
	s_or_b64 exec, exec, s[0:1]
	s_and_saveexec_b64 s[0:1], s[12:13]
	s_xor_b64 s[0:1], exec, s[0:1]
	s_cbranch_execnz .LBB31_985
.LBB31_1047:
	s_or_b64 exec, exec, s[0:1]
	s_and_saveexec_b64 s[0:1], s[10:11]
	s_xor_b64 s[0:1], exec, s[0:1]
	s_cbranch_execz .LBB31_1085
.LBB31_1048:
	s_sext_i32_i16 s10, s18
	s_cmp_lt_i32 s10, 5
	s_mov_b64 s[8:9], -1
	s_cbranch_scc1 .LBB31_1069
; %bb.1049:
	s_cmp_lt_i32 s10, 8
	s_cbranch_scc1 .LBB31_1059
; %bb.1050:
	s_cmp_lt_i32 s10, 9
	s_cbranch_scc1 .LBB31_1056
; %bb.1051:
	s_cmp_gt_i32 s10, 9
	s_cbranch_scc0 .LBB31_1053
; %bb.1052:
	s_waitcnt vmcnt(0)
	v_lshlrev_b32_e32 v0, 16, v3
	v_cvt_f64_f32_e32 v[4:5], v0
	v_mov_b32_e32 v6, 0
	v_mov_b32_e32 v7, v6
	s_mov_b64 s[8:9], 0
	global_store_dwordx4 v[1:2], v[4:7], off
.LBB31_1053:
	s_andn2_b64 vcc, exec, s[8:9]
	s_cbranch_vccnz .LBB31_1055
; %bb.1054:
	s_waitcnt vmcnt(0)
	v_lshlrev_b32_e32 v4, 16, v3
	v_mov_b32_e32 v5, 0
	global_store_dwordx2 v[1:2], v[4:5], off
.LBB31_1055:
	s_mov_b64 s[8:9], 0
.LBB31_1056:
	s_andn2_b64 vcc, exec, s[8:9]
	s_cbranch_vccnz .LBB31_1058
; %bb.1057:
	s_waitcnt vmcnt(0)
	v_lshlrev_b32_e32 v0, 16, v3
	v_cvt_f16_f32_e32 v0, v0
	global_store_dword v[1:2], v0, off
.LBB31_1058:
	s_mov_b64 s[8:9], 0
.LBB31_1059:
	s_andn2_b64 vcc, exec, s[8:9]
	s_cbranch_vccnz .LBB31_1068
; %bb.1060:
	s_sext_i32_i16 s10, s18
	s_cmp_lt_i32 s10, 6
	s_mov_b64 s[8:9], -1
	s_cbranch_scc1 .LBB31_1066
; %bb.1061:
	s_cmp_gt_i32 s10, 6
	s_cbranch_scc0 .LBB31_1063
; %bb.1062:
	s_waitcnt vmcnt(0)
	v_lshlrev_b32_e32 v0, 16, v3
	v_cvt_f64_f32_e32 v[4:5], v0
	s_mov_b64 s[8:9], 0
	global_store_dwordx2 v[1:2], v[4:5], off
.LBB31_1063:
	s_andn2_b64 vcc, exec, s[8:9]
	s_cbranch_vccnz .LBB31_1065
; %bb.1064:
	s_waitcnt vmcnt(0)
	v_lshlrev_b32_e32 v0, 16, v3
	global_store_dword v[1:2], v0, off
.LBB31_1065:
	s_mov_b64 s[8:9], 0
.LBB31_1066:
	s_andn2_b64 vcc, exec, s[8:9]
	s_cbranch_vccnz .LBB31_1068
; %bb.1067:
	s_waitcnt vmcnt(0)
	v_lshlrev_b32_e32 v0, 16, v3
	v_cvt_f16_f32_e32 v0, v0
	global_store_short v[1:2], v0, off
.LBB31_1068:
	s_mov_b64 s[8:9], 0
.LBB31_1069:
	s_andn2_b64 vcc, exec, s[8:9]
	s_cbranch_vccnz .LBB31_1085
; %bb.1070:
	s_sext_i32_i16 s10, s18
	s_cmp_lt_i32 s10, 2
	s_mov_b64 s[8:9], -1
	s_cbranch_scc1 .LBB31_1080
; %bb.1071:
	s_cmp_lt_i32 s10, 3
	s_cbranch_scc1 .LBB31_1077
; %bb.1072:
	s_cmp_gt_i32 s10, 3
	s_cbranch_scc0 .LBB31_1074
; %bb.1073:
	s_waitcnt vmcnt(0)
	v_lshlrev_b32_e32 v0, 16, v3
	v_trunc_f32_e32 v0, v0
	s_mov_b32 s8, 0x2f800000
	v_mul_f32_e64 v4, |v0|, s8
	v_floor_f32_e32 v4, v4
	s_mov_b32 s8, 0xcf800000
	v_cvt_u32_f32_e32 v5, v4
	v_fma_f32 v4, v4, s8, |v0|
	v_cvt_u32_f32_e32 v4, v4
	v_ashrrev_i32_e32 v0, 31, v0
	v_xor_b32_e32 v5, v5, v0
	s_mov_b64 s[8:9], 0
	v_xor_b32_e32 v4, v4, v0
	v_sub_co_u32_e32 v4, vcc, v4, v0
	v_subb_co_u32_e32 v5, vcc, v5, v0, vcc
	global_store_dwordx2 v[1:2], v[4:5], off
.LBB31_1074:
	s_andn2_b64 vcc, exec, s[8:9]
	s_cbranch_vccnz .LBB31_1076
; %bb.1075:
	s_waitcnt vmcnt(0)
	v_lshlrev_b32_e32 v0, 16, v3
	v_cvt_i32_f32_e32 v0, v0
	global_store_dword v[1:2], v0, off
.LBB31_1076:
	s_mov_b64 s[8:9], 0
.LBB31_1077:
	s_andn2_b64 vcc, exec, s[8:9]
	s_cbranch_vccnz .LBB31_1079
; %bb.1078:
	s_waitcnt vmcnt(0)
	v_lshlrev_b32_e32 v0, 16, v3
	v_cvt_i32_f32_e32 v0, v0
	global_store_short v[1:2], v0, off
.LBB31_1079:
	s_mov_b64 s[8:9], 0
.LBB31_1080:
	s_andn2_b64 vcc, exec, s[8:9]
	s_cbranch_vccnz .LBB31_1085
; %bb.1081:
	s_sext_i32_i16 s8, s18
	s_cmp_gt_i32 s8, 0
	s_mov_b64 s[8:9], -1
	s_cbranch_scc0 .LBB31_1083
; %bb.1082:
	s_waitcnt vmcnt(0)
	v_lshlrev_b32_e32 v0, 16, v3
	v_cvt_i32_f32_e32 v0, v0
	s_mov_b64 s[8:9], 0
	global_store_byte v[1:2], v0, off
.LBB31_1083:
	s_andn2_b64 vcc, exec, s[8:9]
	s_cbranch_vccnz .LBB31_1085
; %bb.1084:
	s_waitcnt vmcnt(0)
	v_lshlrev_b32_e32 v0, 16, v3
	v_trunc_f32_e32 v0, v0
	s_mov_b32 s8, 0x2f800000
	v_mul_f32_e64 v3, |v0|, s8
	v_floor_f32_e32 v3, v3
	s_mov_b32 s8, 0xcf800000
	v_fma_f32 v3, v3, s8, |v0|
	v_cvt_u32_f32_e32 v3, v3
	v_ashrrev_i32_e32 v0, 31, v0
	v_xor_b32_e32 v3, v3, v0
	v_sub_u32_e32 v0, v3, v0
	global_store_byte v[1:2], v0, off
.LBB31_1085:
	s_or_b64 exec, exec, s[0:1]
	s_and_b64 s[28:29], s[2:3], exec
                                        ; implicit-def: $vgpr15
                                        ; implicit-def: $vgpr8
.LBB31_1086:
	s_or_saveexec_b64 s[30:31], s[42:43]
	s_mov_b64 s[0:1], 0
                                        ; implicit-def: $vgpr0_vgpr1
                                        ; implicit-def: $sgpr14
                                        ; implicit-def: $vgpr2
	s_xor_b64 exec, exec, s[30:31]
	s_cbranch_execz .LBB31_2089
; %bb.1087:
	v_cndmask_b32_e64 v0, 0, 1, s[40:41]
	v_cmp_ne_u32_e64 s[0:1], 1, v0
	s_andn2_b64 vcc, exec, s[40:41]
	s_cbranch_vccnz .LBB31_1093
; %bb.1088:
	s_cmp_lg_u32 s33, 0
	s_mov_b32 s36, 0
	s_cbranch_scc0 .LBB31_1094
; %bb.1089:
	s_min_u32 s37, s72, 15
	s_add_i32 s37, s37, 1
	s_cmp_eq_u32 s72, 2
	s_cbranch_scc1 .LBB31_1095
; %bb.1090:
	s_and_b32 s36, s37, 28
	s_add_u32 s2, s34, 0xc4
	s_addc_u32 s3, s35, 0
	v_mov_b32_e32 v13, 0
	s_mov_b32 s38, 0
	s_mov_b64 s[6:7], s[34:35]
	v_mov_b32_e32 v6, 0
	v_mov_b32_e32 v0, v8
.LBB31_1091:                            ; =>This Inner Loop Header: Depth=1
	s_load_dwordx8 s[16:23], s[6:7], 0x4
	s_load_dwordx4 s[24:27], s[6:7], 0x24
	s_load_dwordx8 s[8:15], s[2:3], 0x0
	s_add_u32 s6, s6, 48
	s_addc_u32 s7, s7, 0
	s_waitcnt lgkmcnt(0)
	v_mul_hi_u32 v1, s17, v0
	s_add_i32 s38, s38, 4
	s_add_u32 s2, s2, 32
	s_addc_u32 s3, s3, 0
	v_add_u32_e32 v1, v0, v1
	v_lshrrev_b32_e32 v1, s18, v1
	v_mul_lo_u32 v2, v1, s16
	s_waitcnt vmcnt(0)
	v_mul_hi_u32 v3, s20, v1
	s_cmp_lg_u32 s36, s38
	v_sub_u32_e32 v0, v0, v2
	v_add_u32_e32 v2, v1, v3
	v_mul_lo_u32 v3, v0, s8
	v_mul_lo_u32 v4, v0, s9
	v_lshrrev_b32_e32 v0, s21, v2
	v_mul_lo_u32 v2, v0, s19
	v_mul_hi_u32 v5, s23, v0
	v_sub_u32_e32 v1, v1, v2
	v_add_u32_e32 v2, v0, v5
	v_lshrrev_b32_e32 v2, s24, v2
	v_mul_hi_u32 v7, s26, v2
	v_mul_lo_u32 v9, v2, s22
	v_mul_lo_u32 v5, v1, s10
	;; [unrolled: 1-line block ×3, first 2 shown]
	v_sub_u32_e32 v9, v0, v9
	v_add_u32_e32 v0, v2, v7
	v_lshrrev_b32_e32 v0, s27, v0
	v_mul_lo_u32 v7, v0, s25
	v_mul_lo_u32 v10, v9, s12
	;; [unrolled: 1-line block ×3, first 2 shown]
	v_add3_u32 v3, v3, v6, v5
	v_sub_u32_e32 v2, v2, v7
	v_mul_lo_u32 v7, v2, s14
	v_mul_lo_u32 v2, v2, s15
	v_add3_u32 v1, v4, v13, v1
	v_add3_u32 v6, v10, v3, v7
	;; [unrolled: 1-line block ×3, first 2 shown]
	s_cbranch_scc1 .LBB31_1091
; %bb.1092:
	s_and_b32 s8, s37, 3
	s_cmp_eq_u32 s8, 0
	s_cbranch_scc0 .LBB31_1096
	s_branch .LBB31_1098
.LBB31_1093:
                                        ; implicit-def: $vgpr6
                                        ; implicit-def: $vgpr13
	s_branch .LBB31_1099
.LBB31_1094:
	v_mov_b32_e32 v6, 0
	v_mov_b32_e32 v13, 0
	s_branch .LBB31_1098
.LBB31_1095:
	v_mov_b32_e32 v6, 0
	v_mov_b32_e32 v13, 0
	;; [unrolled: 1-line block ×3, first 2 shown]
	s_and_b32 s8, s37, 3
	s_cmp_eq_u32 s8, 0
	s_cbranch_scc1 .LBB31_1098
.LBB31_1096:
	s_lshl_b32 s2, s36, 3
	s_add_u32 s2, s34, s2
	s_addc_u32 s3, s35, 0
	s_add_u32 s2, s2, 0xc4
	s_addc_u32 s3, s3, 0
	s_mul_i32 s6, s36, 12
	s_add_u32 s6, s34, s6
	s_addc_u32 s7, s35, 0
.LBB31_1097:                            ; =>This Inner Loop Header: Depth=1
	s_load_dwordx2 s[10:11], s[6:7], 0x4
	s_load_dword s9, s[6:7], 0xc
	s_load_dwordx2 s[12:13], s[2:3], 0x0
	s_add_u32 s6, s6, 12
	s_addc_u32 s7, s7, 0
	s_waitcnt lgkmcnt(0)
	v_mul_hi_u32 v1, s11, v0
	s_add_u32 s2, s2, 8
	s_addc_u32 s3, s3, 0
	s_add_i32 s8, s8, -1
	v_add_u32_e32 v1, v0, v1
	v_lshrrev_b32_e32 v1, s9, v1
	v_mul_lo_u32 v2, v1, s10
	s_cmp_lg_u32 s8, 0
	v_sub_u32_e32 v0, v0, v2
	v_mad_u64_u32 v[6:7], s[10:11], v0, s12, v[6:7]
	v_mad_u64_u32 v[13:14], s[10:11], v0, s13, v[13:14]
	v_mov_b32_e32 v0, v1
	s_cbranch_scc1 .LBB31_1097
.LBB31_1098:
	s_cbranch_execnz .LBB31_1101
.LBB31_1099:
	s_load_dwordx4 s[8:11], s[34:35], 0x4
	s_load_dwordx2 s[2:3], s[34:35], 0xc4
	s_cmp_lt_u32 s33, 2
	s_waitcnt lgkmcnt(0)
	v_mul_hi_u32 v0, s9, v8
	v_add_u32_e32 v0, v8, v0
	v_lshrrev_b32_e32 v0, s10, v0
	v_mul_lo_u32 v1, v0, s8
	v_sub_u32_e32 v1, v8, v1
	v_mul_lo_u32 v6, v1, s2
	v_mul_lo_u32 v13, v1, s3
	s_cbranch_scc1 .LBB31_1101
; %bb.1100:
	s_load_dwordx4 s[8:11], s[34:35], 0x10
	s_load_dwordx2 s[2:3], s[34:35], 0xcc
	s_waitcnt lgkmcnt(0)
	v_mul_hi_u32 v1, s9, v0
	v_add_u32_e32 v1, v0, v1
	v_lshrrev_b32_e32 v1, s10, v1
	v_mul_lo_u32 v1, v1, s8
	v_sub_u32_e32 v0, v0, v1
	v_mad_u64_u32 v[6:7], s[6:7], v0, s2, v[6:7]
	v_mad_u64_u32 v[13:14], s[2:3], v0, s3, v[13:14]
.LBB31_1101:
	s_and_b64 vcc, exec, s[0:1]
	v_add_u32_e32 v0, 0x80, v8
	s_cbranch_vccnz .LBB31_1107
; %bb.1102:
	s_cmp_lg_u32 s33, 0
	s_mov_b32 s36, 0
	s_cbranch_scc0 .LBB31_1108
; %bb.1103:
	s_min_u32 s37, s72, 15
	s_add_i32 s37, s37, 1
	s_cmp_eq_u32 s72, 2
	s_cbranch_scc1 .LBB31_1109
; %bb.1104:
	s_and_b32 s36, s37, 28
	s_add_u32 s2, s34, 0xc4
	s_addc_u32 s3, s35, 0
	v_mov_b32_e32 v11, 0
	s_mov_b32 s38, 0
	s_mov_b64 s[6:7], s[34:35]
	v_mov_b32_e32 v4, 0
	v_mov_b32_e32 v1, v0
.LBB31_1105:                            ; =>This Inner Loop Header: Depth=1
	s_load_dwordx8 s[16:23], s[6:7], 0x4
	s_load_dwordx4 s[24:27], s[6:7], 0x24
	s_load_dwordx8 s[8:15], s[2:3], 0x0
	s_add_u32 s6, s6, 48
	s_addc_u32 s7, s7, 0
	s_waitcnt lgkmcnt(0)
	v_mul_hi_u32 v2, s17, v1
	s_add_i32 s38, s38, 4
	s_add_u32 s2, s2, 32
	s_addc_u32 s3, s3, 0
	v_add_u32_e32 v2, v1, v2
	v_lshrrev_b32_e32 v2, s18, v2
	s_waitcnt vmcnt(0)
	v_mul_lo_u32 v3, v2, s16
	v_mul_hi_u32 v5, s20, v2
	s_cmp_lg_u32 s36, s38
	v_sub_u32_e32 v1, v1, v3
	v_add_u32_e32 v3, v2, v5
	v_mul_lo_u32 v5, v1, s8
	v_mul_lo_u32 v7, v1, s9
	v_lshrrev_b32_e32 v1, s21, v3
	v_mul_lo_u32 v3, v1, s19
	v_mul_hi_u32 v9, s23, v1
	v_sub_u32_e32 v2, v2, v3
	v_add_u32_e32 v3, v1, v9
	v_lshrrev_b32_e32 v3, s24, v3
	v_mul_hi_u32 v10, s26, v3
	v_mul_lo_u32 v12, v3, s22
	v_mul_lo_u32 v9, v2, s10
	;; [unrolled: 1-line block ×3, first 2 shown]
	v_sub_u32_e32 v12, v1, v12
	v_add_u32_e32 v1, v3, v10
	v_lshrrev_b32_e32 v1, s27, v1
	v_mul_lo_u32 v10, v1, s25
	v_mul_lo_u32 v14, v12, s12
	;; [unrolled: 1-line block ×3, first 2 shown]
	v_add3_u32 v4, v5, v4, v9
	v_sub_u32_e32 v3, v3, v10
	v_mul_lo_u32 v10, v3, s14
	v_mul_lo_u32 v3, v3, s15
	v_add3_u32 v2, v7, v11, v2
	v_add3_u32 v4, v14, v4, v10
	;; [unrolled: 1-line block ×3, first 2 shown]
	s_cbranch_scc1 .LBB31_1105
; %bb.1106:
	s_and_b32 s8, s37, 3
	s_cmp_eq_u32 s8, 0
	s_cbranch_scc0 .LBB31_1110
	s_branch .LBB31_1112
.LBB31_1107:
                                        ; implicit-def: $vgpr4
                                        ; implicit-def: $vgpr11
	s_branch .LBB31_1113
.LBB31_1108:
	v_mov_b32_e32 v4, 0
	v_mov_b32_e32 v11, 0
	s_branch .LBB31_1112
.LBB31_1109:
	v_mov_b32_e32 v4, 0
	v_mov_b32_e32 v11, 0
	;; [unrolled: 1-line block ×3, first 2 shown]
	s_and_b32 s8, s37, 3
	s_cmp_eq_u32 s8, 0
	s_cbranch_scc1 .LBB31_1112
.LBB31_1110:
	s_lshl_b32 s2, s36, 3
	s_add_u32 s2, s34, s2
	s_addc_u32 s3, s35, 0
	s_add_u32 s2, s2, 0xc4
	s_addc_u32 s3, s3, 0
	s_mul_i32 s6, s36, 12
	s_add_u32 s6, s34, s6
	s_addc_u32 s7, s35, 0
.LBB31_1111:                            ; =>This Inner Loop Header: Depth=1
	s_load_dwordx2 s[10:11], s[6:7], 0x4
	s_load_dword s9, s[6:7], 0xc
	s_load_dwordx2 s[12:13], s[2:3], 0x0
	s_add_u32 s6, s6, 12
	s_addc_u32 s7, s7, 0
	s_waitcnt lgkmcnt(0)
	v_mul_hi_u32 v2, s11, v1
	s_add_u32 s2, s2, 8
	s_addc_u32 s3, s3, 0
	s_add_i32 s8, s8, -1
	v_add_u32_e32 v2, v1, v2
	v_lshrrev_b32_e32 v2, s9, v2
	s_waitcnt vmcnt(0)
	v_mul_lo_u32 v3, v2, s10
	s_cmp_lg_u32 s8, 0
	v_sub_u32_e32 v1, v1, v3
	v_mad_u64_u32 v[4:5], s[10:11], v1, s12, v[4:5]
	v_mad_u64_u32 v[11:12], s[10:11], v1, s13, v[11:12]
	v_mov_b32_e32 v1, v2
	s_cbranch_scc1 .LBB31_1111
.LBB31_1112:
	s_cbranch_execnz .LBB31_1115
.LBB31_1113:
	s_load_dwordx4 s[8:11], s[34:35], 0x4
	s_load_dwordx2 s[2:3], s[34:35], 0xc4
	s_cmp_lt_u32 s33, 2
	s_waitcnt lgkmcnt(0)
	v_mul_hi_u32 v1, s9, v0
	v_add_u32_e32 v1, v0, v1
	v_lshrrev_b32_e32 v1, s10, v1
	v_mul_lo_u32 v2, v1, s8
	v_sub_u32_e32 v0, v0, v2
	v_mul_lo_u32 v4, v0, s2
	v_mul_lo_u32 v11, v0, s3
	s_cbranch_scc1 .LBB31_1115
; %bb.1114:
	s_load_dwordx4 s[8:11], s[34:35], 0x10
	s_load_dwordx2 s[2:3], s[34:35], 0xcc
	s_waitcnt lgkmcnt(0)
	v_mul_hi_u32 v0, s9, v1
	v_add_u32_e32 v0, v1, v0
	v_lshrrev_b32_e32 v0, s10, v0
	v_mul_lo_u32 v0, v0, s8
	v_sub_u32_e32 v0, v1, v0
	s_waitcnt vmcnt(0)
	v_mad_u64_u32 v[4:5], s[6:7], v0, s2, v[4:5]
	v_mad_u64_u32 v[11:12], s[2:3], v0, s3, v[11:12]
.LBB31_1115:
	s_and_b64 vcc, exec, s[0:1]
	v_add_u32_e32 v0, 0x100, v8
	s_cbranch_vccnz .LBB31_1121
; %bb.1116:
	s_cmp_lg_u32 s33, 0
	s_mov_b32 s36, 0
	s_cbranch_scc0 .LBB31_1122
; %bb.1117:
	s_min_u32 s37, s72, 15
	s_add_i32 s37, s37, 1
	s_cmp_eq_u32 s72, 2
	s_cbranch_scc1 .LBB31_1123
; %bb.1118:
	s_and_b32 s36, s37, 28
	s_add_u32 s2, s34, 0xc4
	s_addc_u32 s3, s35, 0
	v_mov_b32_e32 v9, 0
	s_mov_b32 s38, 0
	s_mov_b64 s[6:7], s[34:35]
	v_mov_b32_e32 v2, 0
	v_mov_b32_e32 v1, v0
.LBB31_1119:                            ; =>This Inner Loop Header: Depth=1
	s_load_dwordx8 s[16:23], s[6:7], 0x4
	s_load_dwordx4 s[24:27], s[6:7], 0x24
	s_load_dwordx8 s[8:15], s[2:3], 0x0
	s_add_u32 s6, s6, 48
	s_addc_u32 s7, s7, 0
	s_waitcnt vmcnt(0) lgkmcnt(0)
	v_mul_hi_u32 v3, s17, v1
	s_add_i32 s38, s38, 4
	s_add_u32 s2, s2, 32
	s_addc_u32 s3, s3, 0
	v_add_u32_e32 v3, v1, v3
	v_lshrrev_b32_e32 v3, s18, v3
	v_mul_lo_u32 v5, v3, s16
	v_mul_hi_u32 v7, s20, v3
	s_cmp_lg_u32 s36, s38
	v_sub_u32_e32 v1, v1, v5
	v_add_u32_e32 v5, v3, v7
	v_mul_lo_u32 v7, v1, s8
	v_mul_lo_u32 v8, v1, s9
	v_lshrrev_b32_e32 v1, s21, v5
	v_mul_lo_u32 v5, v1, s19
	v_mul_hi_u32 v10, s23, v1
	v_sub_u32_e32 v3, v3, v5
	v_add_u32_e32 v5, v1, v10
	v_lshrrev_b32_e32 v5, s24, v5
	v_mul_hi_u32 v12, s26, v5
	v_mul_lo_u32 v14, v5, s22
	v_mul_lo_u32 v10, v3, s10
	;; [unrolled: 1-line block ×3, first 2 shown]
	v_sub_u32_e32 v14, v1, v14
	v_add_u32_e32 v1, v5, v12
	v_lshrrev_b32_e32 v1, s27, v1
	v_mul_lo_u32 v12, v1, s25
	v_mul_lo_u32 v16, v14, s12
	;; [unrolled: 1-line block ×3, first 2 shown]
	v_add3_u32 v2, v7, v2, v10
	v_sub_u32_e32 v5, v5, v12
	v_mul_lo_u32 v12, v5, s14
	v_mul_lo_u32 v5, v5, s15
	v_add3_u32 v3, v8, v9, v3
	v_add3_u32 v2, v16, v2, v12
	;; [unrolled: 1-line block ×3, first 2 shown]
	s_cbranch_scc1 .LBB31_1119
; %bb.1120:
	s_and_b32 s8, s37, 3
	s_cmp_eq_u32 s8, 0
	s_cbranch_scc0 .LBB31_1124
	s_branch .LBB31_1126
.LBB31_1121:
                                        ; implicit-def: $vgpr2
                                        ; implicit-def: $vgpr9
	s_branch .LBB31_1127
.LBB31_1122:
	v_mov_b32_e32 v2, 0
	v_mov_b32_e32 v9, 0
	s_branch .LBB31_1126
.LBB31_1123:
	v_mov_b32_e32 v2, 0
	v_mov_b32_e32 v9, 0
	;; [unrolled: 1-line block ×3, first 2 shown]
	s_and_b32 s8, s37, 3
	s_cmp_eq_u32 s8, 0
	s_cbranch_scc1 .LBB31_1126
.LBB31_1124:
	s_lshl_b32 s2, s36, 3
	s_add_u32 s2, s34, s2
	s_addc_u32 s3, s35, 0
	s_add_u32 s2, s2, 0xc4
	s_addc_u32 s3, s3, 0
	s_mul_i32 s6, s36, 12
	s_add_u32 s6, s34, s6
	s_addc_u32 s7, s35, 0
.LBB31_1125:                            ; =>This Inner Loop Header: Depth=1
	s_load_dwordx2 s[10:11], s[6:7], 0x4
	s_load_dword s9, s[6:7], 0xc
	s_load_dwordx2 s[12:13], s[2:3], 0x0
	s_add_u32 s6, s6, 12
	s_addc_u32 s7, s7, 0
	s_waitcnt vmcnt(0) lgkmcnt(0)
	v_mul_hi_u32 v3, s11, v1
	s_add_u32 s2, s2, 8
	s_addc_u32 s3, s3, 0
	s_add_i32 s8, s8, -1
	v_add_u32_e32 v3, v1, v3
	v_lshrrev_b32_e32 v5, s9, v3
	v_mul_lo_u32 v3, v5, s10
	s_cmp_lg_u32 s8, 0
	v_sub_u32_e32 v1, v1, v3
	v_mad_u64_u32 v[2:3], s[10:11], v1, s12, v[2:3]
	v_mad_u64_u32 v[9:10], s[10:11], v1, s13, v[9:10]
	v_mov_b32_e32 v1, v5
	s_cbranch_scc1 .LBB31_1125
.LBB31_1126:
	s_cbranch_execnz .LBB31_1129
.LBB31_1127:
	s_load_dwordx4 s[8:11], s[34:35], 0x4
	s_load_dwordx2 s[2:3], s[34:35], 0xc4
	s_cmp_lt_u32 s33, 2
	s_waitcnt lgkmcnt(0)
	v_mul_hi_u32 v1, s9, v0
	v_add_u32_e32 v1, v0, v1
	v_lshrrev_b32_e32 v1, s10, v1
	v_mul_lo_u32 v2, v1, s8
	v_sub_u32_e32 v0, v0, v2
	v_mul_lo_u32 v2, v0, s2
	v_mul_lo_u32 v9, v0, s3
	s_cbranch_scc1 .LBB31_1129
; %bb.1128:
	s_load_dwordx4 s[8:11], s[34:35], 0x10
	s_load_dwordx2 s[2:3], s[34:35], 0xcc
	s_waitcnt lgkmcnt(0)
	v_mul_hi_u32 v0, s9, v1
	v_add_u32_e32 v0, v1, v0
	v_lshrrev_b32_e32 v0, s10, v0
	v_mul_lo_u32 v0, v0, s8
	v_sub_u32_e32 v0, v1, v0
	s_waitcnt vmcnt(0)
	v_mad_u64_u32 v[2:3], s[6:7], v0, s2, v[2:3]
	v_mad_u64_u32 v[9:10], s[2:3], v0, s3, v[9:10]
.LBB31_1129:
	s_and_b64 vcc, exec, s[0:1]
	s_cbranch_vccnz .LBB31_1135
; %bb.1130:
	s_cmp_lg_u32 s33, 0
	s_mov_b32 s26, 0
	s_cbranch_scc0 .LBB31_1136
; %bb.1131:
	s_min_u32 s27, s72, 15
	s_add_i32 s27, s27, 1
	s_cmp_eq_u32 s72, 2
	s_cbranch_scc1 .LBB31_1137
; %bb.1132:
	s_and_b32 s26, s27, 28
	s_add_u32 s6, s34, 0xc4
	s_addc_u32 s7, s35, 0
	v_mov_b32_e32 v7, 0
	s_mov_b32 s36, 0
	s_mov_b64 s[24:25], s[34:35]
	v_mov_b32_e32 v0, 0
	v_mov_b32_e32 v1, v15
.LBB31_1133:                            ; =>This Inner Loop Header: Depth=1
	s_load_dwordx8 s[16:23], s[24:25], 0x4
	s_load_dwordx4 s[0:3], s[24:25], 0x24
	s_load_dwordx8 s[8:15], s[6:7], 0x0
	s_add_u32 s24, s24, 48
	s_addc_u32 s25, s25, 0
	s_waitcnt vmcnt(0) lgkmcnt(0)
	v_mul_hi_u32 v3, s17, v1
	s_add_i32 s36, s36, 4
	s_add_u32 s6, s6, 32
	s_addc_u32 s7, s7, 0
	v_add_u32_e32 v3, v1, v3
	v_lshrrev_b32_e32 v3, s18, v3
	v_mul_lo_u32 v5, v3, s16
	v_mul_hi_u32 v8, s20, v3
	s_cmp_lg_u32 s26, s36
	v_sub_u32_e32 v1, v1, v5
	v_add_u32_e32 v5, v3, v8
	v_mul_lo_u32 v8, v1, s8
	v_mul_lo_u32 v10, v1, s9
	v_lshrrev_b32_e32 v1, s21, v5
	v_mul_lo_u32 v5, v1, s19
	v_mul_hi_u32 v12, s23, v1
	v_sub_u32_e32 v3, v3, v5
	v_add_u32_e32 v5, v1, v12
	v_lshrrev_b32_e32 v5, s0, v5
	v_mul_hi_u32 v14, s2, v5
	v_mul_lo_u32 v16, v5, s22
	v_mul_lo_u32 v12, v3, s10
	;; [unrolled: 1-line block ×3, first 2 shown]
	v_sub_u32_e32 v16, v1, v16
	v_add_u32_e32 v1, v5, v14
	v_lshrrev_b32_e32 v1, s3, v1
	v_mul_lo_u32 v14, v1, s1
	v_mul_lo_u32 v17, v16, s12
	;; [unrolled: 1-line block ×3, first 2 shown]
	v_add3_u32 v0, v8, v0, v12
	v_sub_u32_e32 v5, v5, v14
	v_mul_lo_u32 v14, v5, s14
	v_mul_lo_u32 v5, v5, s15
	v_add3_u32 v3, v10, v7, v3
	v_add3_u32 v0, v17, v0, v14
	;; [unrolled: 1-line block ×3, first 2 shown]
	s_cbranch_scc1 .LBB31_1133
; %bb.1134:
	s_and_b32 s6, s27, 3
	s_cmp_eq_u32 s6, 0
	s_cbranch_scc0 .LBB31_1138
	s_branch .LBB31_1140
.LBB31_1135:
                                        ; implicit-def: $vgpr0
                                        ; implicit-def: $vgpr7
	s_branch .LBB31_1141
.LBB31_1136:
	v_mov_b32_e32 v0, 0
	v_mov_b32_e32 v7, 0
	s_branch .LBB31_1140
.LBB31_1137:
	v_mov_b32_e32 v0, 0
	v_mov_b32_e32 v7, 0
	v_mov_b32_e32 v1, v15
	s_and_b32 s6, s27, 3
	s_cmp_eq_u32 s6, 0
	s_cbranch_scc1 .LBB31_1140
.LBB31_1138:
	s_lshl_b32 s0, s26, 3
	s_add_u32 s0, s34, s0
	s_addc_u32 s1, s35, 0
	s_add_u32 s0, s0, 0xc4
	s_addc_u32 s1, s1, 0
	s_mul_i32 s2, s26, 12
	s_add_u32 s2, s34, s2
	s_addc_u32 s3, s35, 0
.LBB31_1139:                            ; =>This Inner Loop Header: Depth=1
	s_load_dwordx2 s[8:9], s[2:3], 0x4
	s_load_dword s7, s[2:3], 0xc
	s_load_dwordx2 s[10:11], s[0:1], 0x0
	s_add_u32 s2, s2, 12
	s_addc_u32 s3, s3, 0
	s_waitcnt vmcnt(0) lgkmcnt(0)
	v_mul_hi_u32 v3, s9, v1
	s_add_u32 s0, s0, 8
	s_addc_u32 s1, s1, 0
	s_add_i32 s6, s6, -1
	v_add_u32_e32 v3, v1, v3
	v_lshrrev_b32_e32 v3, s7, v3
	v_mul_lo_u32 v5, v3, s8
	s_cmp_lg_u32 s6, 0
	v_sub_u32_e32 v5, v1, v5
	v_mad_u64_u32 v[0:1], s[8:9], v5, s10, v[0:1]
	v_mad_u64_u32 v[7:8], s[8:9], v5, s11, v[7:8]
	v_mov_b32_e32 v1, v3
	s_cbranch_scc1 .LBB31_1139
.LBB31_1140:
	s_cbranch_execnz .LBB31_1143
.LBB31_1141:
	s_load_dwordx4 s[0:3], s[34:35], 0x4
	s_load_dwordx2 s[6:7], s[34:35], 0xc4
	s_cmp_lt_u32 s33, 2
	s_waitcnt lgkmcnt(0)
	v_mul_hi_u32 v0, s1, v15
	v_add_u32_e32 v0, v15, v0
	v_lshrrev_b32_e32 v1, s2, v0
	v_mul_lo_u32 v0, v1, s0
	s_waitcnt vmcnt(0)
	v_sub_u32_e32 v3, v15, v0
	v_mul_lo_u32 v0, v3, s6
	v_mul_lo_u32 v7, v3, s7
	s_cbranch_scc1 .LBB31_1143
; %bb.1142:
	s_load_dwordx4 s[0:3], s[34:35], 0x10
	s_load_dwordx2 s[6:7], s[34:35], 0xcc
	s_waitcnt lgkmcnt(0)
	v_mul_hi_u32 v3, s1, v1
	v_add_u32_e32 v3, v1, v3
	v_lshrrev_b32_e32 v3, s2, v3
	v_mul_lo_u32 v3, v3, s0
	v_sub_u32_e32 v3, v1, v3
	v_mad_u64_u32 v[0:1], s[0:1], v3, s6, v[0:1]
	v_mad_u64_u32 v[7:8], s[0:1], v3, s7, v[7:8]
.LBB31_1143:
	s_load_dword s16, s[4:5], 0x160
	s_load_dwordx4 s[8:11], s[34:35], 0x148
	s_waitcnt lgkmcnt(0)
	s_lshr_b32 s14, s16, 24
	v_mov_b32_e32 v1, s11
	v_add_co_u32_e32 v12, vcc, s10, v13
	s_cmp_lt_i32 s14, 11
	v_addc_co_u32_e32 v13, vcc, 0, v1, vcc
	s_cbranch_scc1 .LBB31_1150
; %bb.1144:
	s_and_b32 s15, 0xffff, s14
	s_cmp_gt_i32 s15, 25
	s_mov_b64 s[4:5], 0
	s_cbranch_scc0 .LBB31_1152
; %bb.1145:
	s_cmp_gt_i32 s15, 28
	s_cbranch_scc0 .LBB31_1153
; %bb.1146:
	s_cmp_gt_i32 s15, 43
	;; [unrolled: 3-line block ×3, first 2 shown]
	s_cbranch_scc0 .LBB31_1155
; %bb.1148:
	s_cmp_eq_u32 s15, 46
	s_mov_b64 s[2:3], 0
	s_cbranch_scc0 .LBB31_1158
; %bb.1149:
	global_load_dword v1, v[12:13], off
	s_mov_b64 s[0:1], 0
	s_mov_b64 s[6:7], -1
	s_branch .LBB31_1159
.LBB31_1150:
	s_mov_b64 s[6:7], 0
                                        ; implicit-def: $vgpr1
	s_mov_b64 s[2:3], s[28:29]
	s_cbranch_execnz .LBB31_1221
.LBB31_1151:
	s_andn2_b64 vcc, exec, s[6:7]
	s_cbranch_vccz .LBB31_1266
	s_branch .LBB31_2087
.LBB31_1152:
	s_mov_b64 s[6:7], 0
	s_mov_b64 s[0:1], 0
                                        ; implicit-def: $vgpr1
	s_cbranch_execnz .LBB31_1186
	s_branch .LBB31_1217
.LBB31_1153:
	s_mov_b64 s[6:7], 0
	s_mov_b64 s[0:1], 0
                                        ; implicit-def: $vgpr1
	s_cbranch_execz .LBB31_1185
	s_branch .LBB31_1168
.LBB31_1154:
	s_mov_b64 s[6:7], 0
	s_mov_b64 s[0:1], 0
                                        ; implicit-def: $vgpr1
	s_cbranch_execnz .LBB31_1164
	s_branch .LBB31_1167
.LBB31_1155:
	s_mov_b64 s[2:3], -1
	s_mov_b64 s[6:7], 0
	s_mov_b64 s[0:1], 0
                                        ; implicit-def: $vgpr1
	s_branch .LBB31_1159
.LBB31_1156:
	s_andn2_saveexec_b64 s[14:15], s[14:15]
	s_cbranch_execz .LBB31_999
.LBB31_1157:
	s_mov_b32 s16, 0x46000000
	v_add_f32_e64 v4, |v5|, s16
	v_and_b32_e32 v4, 0xff, v4
	v_cmp_ne_u32_e32 vcc, 0, v4
	s_andn2_b64 s[12:13], s[12:13], exec
	s_and_b64 s[16:17], vcc, exec
	s_or_b64 s[12:13], s[12:13], s[16:17]
	s_or_b64 exec, exec, s[14:15]
	v_mov_b32_e32 v6, 0
	s_and_saveexec_b64 s[14:15], s[12:13]
	s_cbranch_execnz .LBB31_1000
	s_branch .LBB31_1001
.LBB31_1158:
	s_mov_b64 s[0:1], -1
                                        ; implicit-def: $vgpr1
	s_mov_b64 s[6:7], 0
.LBB31_1159:
	s_and_b64 vcc, exec, s[2:3]
	s_cbranch_vccz .LBB31_1162
; %bb.1160:
	s_cmp_eq_u32 s15, 44
	s_cbranch_scc0 .LBB31_1163
; %bb.1161:
	global_load_ubyte v1, v[12:13], off
	s_movk_i32 s2, 0xff
	s_waitcnt vmcnt(1)
	v_mov_b32_e32 v3, 0x7f800001
	v_mov_b32_e32 v5, 0x400000
	;; [unrolled: 1-line block ×3, first 2 shown]
	s_mov_b64 s[0:1], 0
	s_mov_b64 s[6:7], -1
	s_waitcnt vmcnt(0)
	v_lshlrev_b32_e32 v10, 23, v1
	v_cmp_ne_u32_e32 vcc, s2, v1
	v_cndmask_b32_e32 v3, v3, v10, vcc
	v_cmp_ne_u32_e32 vcc, 0, v1
	v_cndmask_b32_e32 v1, v5, v3, vcc
	v_add_u32_e32 v3, 0x7fff, v1
	v_cmp_o_f32_e32 vcc, v1, v1
	v_cndmask_b32_sdwa v1, v8, v3, vcc dst_sel:DWORD dst_unused:UNUSED_PAD src0_sel:DWORD src1_sel:WORD_1
.LBB31_1162:
	s_branch .LBB31_1167
.LBB31_1163:
	s_mov_b64 s[0:1], -1
                                        ; implicit-def: $vgpr1
	s_branch .LBB31_1167
.LBB31_1164:
	s_cmp_eq_u32 s15, 29
	s_cbranch_scc0 .LBB31_1166
; %bb.1165:
	global_load_dwordx2 v[14:15], v[12:13], off
	s_movk_i32 s2, 0x7fff
	s_mov_b64 s[0:1], 0
	s_mov_b64 s[6:7], -1
	s_waitcnt vmcnt(0)
	v_ffbh_u32_e32 v1, v15
	v_min_u32_e32 v1, 32, v1
	v_lshlrev_b64 v[14:15], v1, v[14:15]
	v_sub_u32_e32 v1, 32, v1
	v_min_u32_e32 v3, 1, v14
	v_or_b32_e32 v3, v15, v3
	v_cvt_f32_u32_e32 v3, v3
	v_ldexp_f32 v1, v3, v1
	v_bfe_u32 v3, v1, 16, 1
	v_add3_u32 v1, v1, v3, s2
	v_lshrrev_b32_e32 v1, 16, v1
	s_branch .LBB31_1167
.LBB31_1166:
	s_mov_b64 s[0:1], -1
                                        ; implicit-def: $vgpr1
.LBB31_1167:
	s_branch .LBB31_1185
.LBB31_1168:
	s_cmp_lt_i32 s15, 27
	s_cbranch_scc1 .LBB31_1171
; %bb.1169:
	s_cmp_gt_i32 s15, 27
	s_cbranch_scc0 .LBB31_1172
; %bb.1170:
	global_load_dword v1, v[12:13], off
	s_movk_i32 s2, 0x7fff
	s_waitcnt vmcnt(0)
	v_cvt_f32_u32_e32 v1, v1
	v_bfe_u32 v3, v1, 16, 1
	v_add3_u32 v1, v1, v3, s2
	v_lshrrev_b32_e32 v1, 16, v1
	s_mov_b64 s[2:3], 0
	s_branch .LBB31_1173
.LBB31_1171:
	s_mov_b64 s[2:3], -1
                                        ; implicit-def: $vgpr1
	s_branch .LBB31_1176
.LBB31_1172:
	s_mov_b64 s[2:3], -1
                                        ; implicit-def: $vgpr1
.LBB31_1173:
	s_andn2_b64 vcc, exec, s[2:3]
	s_cbranch_vccnz .LBB31_1175
; %bb.1174:
	global_load_ushort v1, v[12:13], off
	s_movk_i32 s2, 0x7fff
	s_waitcnt vmcnt(0)
	v_cvt_f32_u32_e32 v1, v1
	v_bfe_u32 v3, v1, 16, 1
	v_add3_u32 v1, v1, v3, s2
	v_lshrrev_b32_e32 v1, 16, v1
.LBB31_1175:
	s_mov_b64 s[2:3], 0
.LBB31_1176:
	s_andn2_b64 vcc, exec, s[2:3]
	s_cbranch_vccnz .LBB31_1184
; %bb.1177:
	global_load_ubyte v1, v[12:13], off
	s_movk_i32 s2, 0x7f
	s_waitcnt vmcnt(0)
	v_cmp_lt_i16_e32 vcc, s2, v1
	s_mov_b64 s[2:3], 0
	s_and_saveexec_b64 s[6:7], vcc
	s_xor_b64 s[6:7], exec, s[6:7]
	s_cbranch_execz .LBB31_1197
; %bb.1178:
	s_movk_i32 s2, 0x80
	v_cmp_eq_u16_e32 vcc, s2, v1
	s_mov_b64 s[2:3], -1
	s_and_saveexec_b64 s[12:13], vcc
; %bb.1179:
	s_xor_b64 s[2:3], exec, -1
; %bb.1180:
	s_or_b64 exec, exec, s[12:13]
	s_and_b64 s[2:3], s[2:3], exec
	s_or_saveexec_b64 s[6:7], s[6:7]
	v_mov_b32_e32 v3, 0x7f800001
	s_xor_b64 exec, exec, s[6:7]
	s_cbranch_execnz .LBB31_1198
.LBB31_1181:
	s_or_b64 exec, exec, s[6:7]
	s_and_saveexec_b64 s[6:7], s[2:3]
	s_cbranch_execz .LBB31_1183
.LBB31_1182:
	v_lshlrev_b32_e32 v3, 24, v1
	v_and_b32_e32 v1, 0xffff, v1
	v_and_b32_e32 v5, 7, v1
	v_ffbh_u32_e32 v10, v5
	v_min_u32_e32 v10, 32, v10
	v_subrev_u32_e32 v14, 28, v10
	v_bfe_u32 v8, v1, 3, 4
	v_lshlrev_b32_e32 v1, v14, v1
	v_sub_u32_e32 v10, 29, v10
	v_and_b32_e32 v1, 7, v1
	v_cmp_eq_u32_e32 vcc, 0, v8
	v_cndmask_b32_e32 v8, v8, v10, vcc
	v_cndmask_b32_e32 v1, v5, v1, vcc
	v_mov_b32_e32 v5, 0x3b800000
	v_lshlrev_b32_e32 v1, 20, v1
	v_and_b32_e32 v3, 0x80000000, v3
	v_lshl_add_u32 v5, v8, 23, v5
	v_or3_b32 v3, v3, v5, v1
.LBB31_1183:
	s_or_b64 exec, exec, s[6:7]
	v_bfe_u32 v1, v3, 16, 1
	s_movk_i32 s2, 0x7fff
	v_add3_u32 v1, v3, v1, s2
	v_cmp_o_f32_e32 vcc, v3, v3
	v_mov_b32_e32 v3, 0x7fc0
	v_cndmask_b32_sdwa v1, v3, v1, vcc dst_sel:DWORD dst_unused:UNUSED_PAD src0_sel:DWORD src1_sel:WORD_1
.LBB31_1184:
	s_mov_b64 s[6:7], -1
.LBB31_1185:
	s_branch .LBB31_1217
.LBB31_1186:
	s_cmp_gt_i32 s15, 22
	s_cbranch_scc0 .LBB31_1196
; %bb.1187:
	s_cmp_lt_i32 s15, 24
	s_cbranch_scc1 .LBB31_1199
; %bb.1188:
	s_cmp_gt_i32 s15, 24
	s_cbranch_scc0 .LBB31_1200
; %bb.1189:
	global_load_ubyte v1, v[12:13], off
	s_movk_i32 s2, 0x7f
	s_waitcnt vmcnt(0)
	v_cmp_lt_i16_e32 vcc, s2, v1
	s_mov_b64 s[2:3], 0
	s_and_saveexec_b64 s[4:5], vcc
	s_xor_b64 s[4:5], exec, s[4:5]
	s_cbranch_execz .LBB31_1211
; %bb.1190:
	s_movk_i32 s2, 0x80
	v_cmp_eq_u16_e32 vcc, s2, v1
	s_mov_b64 s[2:3], -1
	s_and_saveexec_b64 s[6:7], vcc
; %bb.1191:
	s_xor_b64 s[2:3], exec, -1
; %bb.1192:
	s_or_b64 exec, exec, s[6:7]
	s_and_b64 s[2:3], s[2:3], exec
	s_or_saveexec_b64 s[4:5], s[4:5]
	v_mov_b32_e32 v3, 0x7f800001
	s_xor_b64 exec, exec, s[4:5]
	s_cbranch_execnz .LBB31_1212
.LBB31_1193:
	s_or_b64 exec, exec, s[4:5]
	s_and_saveexec_b64 s[4:5], s[2:3]
	s_cbranch_execz .LBB31_1195
.LBB31_1194:
	v_lshlrev_b32_e32 v3, 24, v1
	v_and_b32_e32 v1, 0xffff, v1
	v_and_b32_e32 v5, 3, v1
	v_ffbh_u32_e32 v10, v5
	v_min_u32_e32 v10, 32, v10
	v_subrev_u32_e32 v14, 29, v10
	v_bfe_u32 v8, v1, 2, 5
	v_lshlrev_b32_e32 v1, v14, v1
	v_sub_u32_e32 v10, 30, v10
	v_and_b32_e32 v1, 3, v1
	v_cmp_eq_u32_e32 vcc, 0, v8
	v_cndmask_b32_e32 v8, v8, v10, vcc
	v_cndmask_b32_e32 v1, v5, v1, vcc
	v_mov_b32_e32 v5, 0x37800000
	v_lshlrev_b32_e32 v1, 21, v1
	v_and_b32_e32 v3, 0x80000000, v3
	v_lshl_add_u32 v5, v8, 23, v5
	v_or3_b32 v3, v3, v5, v1
.LBB31_1195:
	s_or_b64 exec, exec, s[4:5]
	v_bfe_u32 v1, v3, 16, 1
	s_movk_i32 s2, 0x7fff
	v_add3_u32 v1, v3, v1, s2
	v_cmp_o_f32_e32 vcc, v3, v3
	v_mov_b32_e32 v3, 0x7fc0
	v_cndmask_b32_sdwa v1, v3, v1, vcc dst_sel:DWORD dst_unused:UNUSED_PAD src0_sel:DWORD src1_sel:WORD_1
	s_mov_b64 s[2:3], 0
	s_branch .LBB31_1201
.LBB31_1196:
                                        ; implicit-def: $vgpr1
	s_mov_b64 s[4:5], 0
	s_branch .LBB31_1207
.LBB31_1197:
	s_or_saveexec_b64 s[6:7], s[6:7]
	v_mov_b32_e32 v3, 0x7f800001
	s_xor_b64 exec, exec, s[6:7]
	s_cbranch_execz .LBB31_1181
.LBB31_1198:
	v_cmp_ne_u16_e32 vcc, 0, v1
	s_andn2_b64 s[2:3], s[2:3], exec
	s_and_b64 s[12:13], vcc, exec
	v_mov_b32_e32 v3, 0
	s_or_b64 s[2:3], s[2:3], s[12:13]
	s_or_b64 exec, exec, s[6:7]
	s_and_saveexec_b64 s[6:7], s[2:3]
	s_cbranch_execnz .LBB31_1182
	s_branch .LBB31_1183
.LBB31_1199:
	s_mov_b64 s[2:3], -1
                                        ; implicit-def: $vgpr1
	s_branch .LBB31_1204
.LBB31_1200:
	s_mov_b64 s[2:3], -1
                                        ; implicit-def: $vgpr1
.LBB31_1201:
	s_and_b64 vcc, exec, s[2:3]
	s_cbranch_vccz .LBB31_1203
; %bb.1202:
	global_load_ubyte v1, v[12:13], off
	s_mov_b32 s2, 0x7f800000
	s_brev_b32 s3, 1
	s_movk_i32 s4, 0x7fff
	s_waitcnt vmcnt(0)
	v_lshlrev_b32_e32 v1, 24, v1
	v_and_b32_e32 v3, 0x7f000000, v1
	v_ffbh_u32_e32 v5, v3
	v_min_u32_e32 v5, 32, v5
	v_sub_u32_e64 v5, v5, 4 clamp
	v_lshlrev_b32_e32 v10, v5, v3
	v_lshlrev_b32_e32 v5, 23, v5
	v_lshrrev_b32_e32 v10, 4, v10
	v_add_u32_e32 v8, 0x1000000, v3
	v_sub_u32_e32 v5, v10, v5
	v_ashrrev_i32_e32 v8, 8, v8
	v_add_u32_e32 v5, 0x3c000000, v5
	v_and_or_b32 v5, v8, s2, v5
	v_cmp_ne_u32_e32 vcc, 0, v3
	v_cndmask_b32_e32 v3, 0, v5, vcc
	v_and_or_b32 v1, v1, s3, v3
	v_bfe_u32 v3, v3, 16, 1
	v_add3_u32 v3, v1, v3, s4
	v_cmp_o_f32_e32 vcc, v1, v1
	v_mov_b32_e32 v1, 0x7fc0
	v_cndmask_b32_sdwa v1, v1, v3, vcc dst_sel:DWORD dst_unused:UNUSED_PAD src0_sel:DWORD src1_sel:WORD_1
.LBB31_1203:
	s_mov_b64 s[2:3], 0
.LBB31_1204:
	s_andn2_b64 vcc, exec, s[2:3]
	s_cbranch_vccnz .LBB31_1206
; %bb.1205:
	global_load_ubyte v1, v[12:13], off
	s_movk_i32 s2, 0x7f00
	s_brev_b32 s3, 16
	s_brev_b32 s4, 1
	s_movk_i32 s5, 0x7fff
	s_waitcnt vmcnt(0)
	v_lshlrev_b16_e32 v3, 8, v1
	v_lshlrev_b32_e32 v1, 25, v1
	v_lshrrev_b32_e32 v5, 4, v1
	v_and_or_b32 v8, v3, s2, 0.5
	v_or_b32_e32 v5, 0x70000000, v5
	v_add_f32_e32 v8, -0.5, v8
	v_mul_f32_e32 v5, 0x7800000, v5
	v_cmp_gt_u32_e32 vcc, s3, v1
	v_bfe_i32 v3, v3, 0, 16
	v_cndmask_b32_e32 v1, v5, v8, vcc
	v_and_or_b32 v3, v3, s4, v1
	v_bfe_u32 v1, v1, 16, 1
	v_add3_u32 v1, v3, v1, s5
	v_cmp_o_f32_e32 vcc, v3, v3
	v_mov_b32_e32 v3, 0x7fc0
	v_cndmask_b32_sdwa v1, v3, v1, vcc dst_sel:DWORD dst_unused:UNUSED_PAD src0_sel:DWORD src1_sel:WORD_1
.LBB31_1206:
	s_mov_b64 s[6:7], -1
	s_mov_b64 s[4:5], 0
	s_cbranch_execnz .LBB31_1217
.LBB31_1207:
	s_cmp_gt_i32 s15, 14
	s_cbranch_scc0 .LBB31_1210
; %bb.1208:
	s_cmp_eq_u32 s15, 15
	s_cbranch_scc0 .LBB31_1213
; %bb.1209:
	global_load_ushort v1, v[12:13], off
	s_mov_b64 s[0:1], 0
	s_mov_b64 s[6:7], -1
	s_branch .LBB31_1214
.LBB31_1210:
	s_mov_b64 s[2:3], -1
                                        ; implicit-def: $vgpr1
	s_branch .LBB31_1215
.LBB31_1211:
	s_or_saveexec_b64 s[4:5], s[4:5]
	v_mov_b32_e32 v3, 0x7f800001
	s_xor_b64 exec, exec, s[4:5]
	s_cbranch_execz .LBB31_1193
.LBB31_1212:
	v_cmp_ne_u16_e32 vcc, 0, v1
	s_andn2_b64 s[2:3], s[2:3], exec
	s_and_b64 s[6:7], vcc, exec
	v_mov_b32_e32 v3, 0
	s_or_b64 s[2:3], s[2:3], s[6:7]
	s_or_b64 exec, exec, s[4:5]
	s_and_saveexec_b64 s[4:5], s[2:3]
	s_cbranch_execnz .LBB31_1194
	s_branch .LBB31_1195
.LBB31_1213:
	s_mov_b64 s[0:1], -1
                                        ; implicit-def: $vgpr1
.LBB31_1214:
	s_mov_b64 s[2:3], 0
.LBB31_1215:
	s_and_b64 vcc, exec, s[2:3]
	s_cbranch_vccz .LBB31_1217
; %bb.1216:
	s_cmp_lg_u32 s15, 11
	s_mov_b64 s[4:5], -1
	s_cselect_b64 s[0:1], -1, 0
.LBB31_1217:
	s_and_b64 vcc, exec, s[0:1]
	s_mov_b64 s[2:3], s[28:29]
	s_cbranch_vccnz .LBB31_1278
; %bb.1218:
	s_andn2_b64 vcc, exec, s[4:5]
	s_cbranch_vccnz .LBB31_1220
.LBB31_1219:
	global_load_ubyte v1, v[12:13], off
	s_mov_b64 s[6:7], -1
	s_waitcnt vmcnt(0)
	v_cmp_ne_u16_e32 vcc, 0, v1
	v_cndmask_b32_e64 v1, 0, 1.0, vcc
	v_lshrrev_b32_e32 v1, 16, v1
.LBB31_1220:
	s_branch .LBB31_1151
.LBB31_1221:
	s_and_b32 s4, 0xffff, s14
	s_cmp_lt_i32 s4, 5
	s_cbranch_scc1 .LBB31_1226
; %bb.1222:
	s_cmp_lt_i32 s4, 8
	s_cbranch_scc1 .LBB31_1227
; %bb.1223:
	;; [unrolled: 3-line block ×3, first 2 shown]
	s_cmp_gt_i32 s4, 9
	s_cbranch_scc0 .LBB31_1229
; %bb.1225:
	global_load_dwordx2 v[14:15], v[12:13], off
	s_movk_i32 s0, 0x7fff
	s_waitcnt vmcnt(1)
	v_mov_b32_e32 v3, 0x7fc0
	s_waitcnt vmcnt(0)
	v_cvt_f32_f64_e32 v1, v[14:15]
	v_bfe_u32 v5, v1, 16, 1
	v_cmp_o_f32_e32 vcc, v1, v1
	v_add3_u32 v1, v1, v5, s0
	v_cndmask_b32_sdwa v1, v3, v1, vcc dst_sel:DWORD dst_unused:UNUSED_PAD src0_sel:DWORD src1_sel:WORD_1
	s_mov_b64 s[0:1], 0
	s_branch .LBB31_1230
.LBB31_1226:
                                        ; implicit-def: $vgpr1
	s_branch .LBB31_1247
.LBB31_1227:
                                        ; implicit-def: $vgpr1
	s_branch .LBB31_1236
.LBB31_1228:
	s_mov_b64 s[0:1], -1
                                        ; implicit-def: $vgpr1
	s_branch .LBB31_1233
.LBB31_1229:
	s_mov_b64 s[0:1], -1
                                        ; implicit-def: $vgpr1
.LBB31_1230:
	s_andn2_b64 vcc, exec, s[0:1]
	s_cbranch_vccnz .LBB31_1232
; %bb.1231:
	global_load_dword v1, v[12:13], off
	s_movk_i32 s0, 0x7fff
	s_waitcnt vmcnt(1)
	v_mov_b32_e32 v3, 0x7fc0
	s_waitcnt vmcnt(0)
	v_bfe_u32 v5, v1, 16, 1
	v_cmp_o_f32_e32 vcc, v1, v1
	v_add3_u32 v1, v1, v5, s0
	v_cndmask_b32_sdwa v1, v3, v1, vcc dst_sel:DWORD dst_unused:UNUSED_PAD src0_sel:DWORD src1_sel:WORD_1
.LBB31_1232:
	s_mov_b64 s[0:1], 0
.LBB31_1233:
	s_andn2_b64 vcc, exec, s[0:1]
	s_cbranch_vccnz .LBB31_1235
; %bb.1234:
	global_load_dword v1, v[12:13], off
	s_movk_i32 s0, 0x7fff
	s_waitcnt vmcnt(1)
	v_mov_b32_e32 v5, 0x7fc0
	s_waitcnt vmcnt(0)
	v_cvt_f32_f16_e32 v3, v1
	v_cmp_o_f16_e32 vcc, v1, v1
	v_bfe_u32 v1, v3, 16, 1
	v_add3_u32 v1, v3, v1, s0
	v_cndmask_b32_sdwa v1, v5, v1, vcc dst_sel:DWORD dst_unused:UNUSED_PAD src0_sel:DWORD src1_sel:WORD_1
.LBB31_1235:
	s_cbranch_execnz .LBB31_1246
.LBB31_1236:
	s_cmp_lt_i32 s4, 6
	s_cbranch_scc1 .LBB31_1239
; %bb.1237:
	s_cmp_gt_i32 s4, 6
	s_cbranch_scc0 .LBB31_1240
; %bb.1238:
	global_load_dwordx2 v[14:15], v[12:13], off
	s_movk_i32 s0, 0x7fff
	s_waitcnt vmcnt(1)
	v_mov_b32_e32 v3, 0x7fc0
	s_waitcnt vmcnt(0)
	v_cvt_f32_f64_e32 v1, v[14:15]
	v_bfe_u32 v5, v1, 16, 1
	v_cmp_o_f32_e32 vcc, v1, v1
	v_add3_u32 v1, v1, v5, s0
	v_cndmask_b32_sdwa v1, v3, v1, vcc dst_sel:DWORD dst_unused:UNUSED_PAD src0_sel:DWORD src1_sel:WORD_1
	s_mov_b64 s[0:1], 0
	s_branch .LBB31_1241
.LBB31_1239:
	s_mov_b64 s[0:1], -1
                                        ; implicit-def: $vgpr1
	s_branch .LBB31_1244
.LBB31_1240:
	s_mov_b64 s[0:1], -1
                                        ; implicit-def: $vgpr1
.LBB31_1241:
	s_andn2_b64 vcc, exec, s[0:1]
	s_cbranch_vccnz .LBB31_1243
; %bb.1242:
	global_load_dword v1, v[12:13], off
	s_movk_i32 s0, 0x7fff
	s_waitcnt vmcnt(1)
	v_mov_b32_e32 v3, 0x7fc0
	s_waitcnt vmcnt(0)
	v_bfe_u32 v5, v1, 16, 1
	v_cmp_o_f32_e32 vcc, v1, v1
	v_add3_u32 v1, v1, v5, s0
	v_cndmask_b32_sdwa v1, v3, v1, vcc dst_sel:DWORD dst_unused:UNUSED_PAD src0_sel:DWORD src1_sel:WORD_1
.LBB31_1243:
	s_mov_b64 s[0:1], 0
.LBB31_1244:
	s_andn2_b64 vcc, exec, s[0:1]
	s_cbranch_vccnz .LBB31_1246
; %bb.1245:
	global_load_ushort v1, v[12:13], off
	s_movk_i32 s0, 0x7fff
	s_waitcnt vmcnt(1)
	v_mov_b32_e32 v5, 0x7fc0
	s_waitcnt vmcnt(0)
	v_cvt_f32_f16_e32 v3, v1
	v_cmp_o_f16_e32 vcc, v1, v1
	v_bfe_u32 v1, v3, 16, 1
	v_add3_u32 v1, v3, v1, s0
	v_cndmask_b32_sdwa v1, v5, v1, vcc dst_sel:DWORD dst_unused:UNUSED_PAD src0_sel:DWORD src1_sel:WORD_1
.LBB31_1246:
	s_cbranch_execnz .LBB31_1265
.LBB31_1247:
	s_cmp_lt_i32 s4, 2
	s_cbranch_scc1 .LBB31_1251
; %bb.1248:
	s_cmp_lt_i32 s4, 3
	s_cbranch_scc1 .LBB31_1252
; %bb.1249:
	s_cmp_gt_i32 s4, 3
	s_cbranch_scc0 .LBB31_1253
; %bb.1250:
	global_load_dwordx2 v[14:15], v[12:13], off
	s_movk_i32 s0, 0x7fff
	s_waitcnt vmcnt(0)
	v_xor_b32_e32 v3, v14, v15
	v_ffbh_i32_e32 v1, v15
	v_ashrrev_i32_e32 v3, 31, v3
	v_add_u32_e32 v1, -1, v1
	v_add_u32_e32 v3, 32, v3
	v_min_u32_e32 v1, v1, v3
	v_lshlrev_b64 v[14:15], v1, v[14:15]
	v_sub_u32_e32 v1, 32, v1
	v_min_u32_e32 v3, 1, v14
	v_or_b32_e32 v3, v15, v3
	v_cvt_f32_i32_e32 v3, v3
	v_ldexp_f32 v1, v3, v1
	v_bfe_u32 v3, v1, 16, 1
	v_add3_u32 v1, v1, v3, s0
	v_lshrrev_b32_e32 v1, 16, v1
	s_mov_b64 s[0:1], 0
	s_branch .LBB31_1254
.LBB31_1251:
                                        ; implicit-def: $vgpr1
	s_branch .LBB31_1260
.LBB31_1252:
	s_mov_b64 s[0:1], -1
                                        ; implicit-def: $vgpr1
	s_branch .LBB31_1257
.LBB31_1253:
	s_mov_b64 s[0:1], -1
                                        ; implicit-def: $vgpr1
.LBB31_1254:
	s_andn2_b64 vcc, exec, s[0:1]
	s_cbranch_vccnz .LBB31_1256
; %bb.1255:
	global_load_dword v1, v[12:13], off
	s_movk_i32 s0, 0x7fff
	s_waitcnt vmcnt(0)
	v_cvt_f32_i32_e32 v1, v1
	v_bfe_u32 v3, v1, 16, 1
	v_add3_u32 v1, v1, v3, s0
	v_lshrrev_b32_e32 v1, 16, v1
.LBB31_1256:
	s_mov_b64 s[0:1], 0
.LBB31_1257:
	s_andn2_b64 vcc, exec, s[0:1]
	s_cbranch_vccnz .LBB31_1259
; %bb.1258:
	global_load_sshort v1, v[12:13], off
	s_movk_i32 s0, 0x7fff
	s_waitcnt vmcnt(0)
	v_cvt_f32_i32_e32 v1, v1
	v_bfe_u32 v3, v1, 16, 1
	v_add3_u32 v1, v1, v3, s0
	v_lshrrev_b32_e32 v1, 16, v1
.LBB31_1259:
	s_cbranch_execnz .LBB31_1265
.LBB31_1260:
	s_cmp_gt_i32 s4, 0
	s_cbranch_scc0 .LBB31_1262
; %bb.1261:
	global_load_sbyte v1, v[12:13], off
	s_movk_i32 s0, 0x7fff
	s_waitcnt vmcnt(0)
	v_cvt_f32_i32_e32 v1, v1
	v_bfe_u32 v3, v1, 16, 1
	v_add3_u32 v1, v1, v3, s0
	v_lshrrev_b32_e32 v1, 16, v1
	s_mov_b64 s[0:1], 0
	s_branch .LBB31_1263
.LBB31_1262:
	s_mov_b64 s[0:1], -1
                                        ; implicit-def: $vgpr1
.LBB31_1263:
	s_andn2_b64 vcc, exec, s[0:1]
	s_cbranch_vccnz .LBB31_1265
; %bb.1264:
	global_load_ubyte v1, v[12:13], off
	s_movk_i32 s0, 0x7fff
	s_waitcnt vmcnt(0)
	v_cvt_f32_ubyte0_e32 v1, v1
	v_bfe_u32 v3, v1, 16, 1
	v_add3_u32 v1, v1, v3, s0
	v_lshrrev_b32_e32 v1, 16, v1
.LBB31_1265:
.LBB31_1266:
	s_waitcnt vmcnt(0)
	v_mov_b32_e32 v3, s11
	s_and_b32 s17, 0xffff, s14
	v_add_co_u32_e32 v10, vcc, s10, v11
	s_cmp_lt_i32 s17, 11
	v_addc_co_u32_e32 v11, vcc, 0, v3, vcc
	s_cbranch_scc1 .LBB31_1273
; %bb.1267:
	s_cmp_gt_i32 s17, 25
	s_mov_b64 s[4:5], 0
	s_cbranch_scc0 .LBB31_1275
; %bb.1268:
	s_cmp_gt_i32 s17, 28
	s_cbranch_scc0 .LBB31_1276
; %bb.1269:
	s_cmp_gt_i32 s17, 43
	;; [unrolled: 3-line block ×3, first 2 shown]
	s_cbranch_scc0 .LBB31_1279
; %bb.1271:
	s_cmp_eq_u32 s17, 46
	s_mov_b64 s[12:13], 0
	s_cbranch_scc0 .LBB31_1282
; %bb.1272:
	global_load_dword v3, v[10:11], off
	s_mov_b64 s[0:1], 0
	s_mov_b64 s[6:7], -1
	s_branch .LBB31_1283
.LBB31_1273:
	s_mov_b64 s[6:7], 0
                                        ; implicit-def: $vgpr3
	s_cbranch_execnz .LBB31_1348
.LBB31_1274:
	s_andn2_b64 vcc, exec, s[6:7]
	s_cbranch_vccnz .LBB31_2087
	s_branch .LBB31_1395
.LBB31_1275:
	s_mov_b64 s[6:7], 0
	s_mov_b64 s[0:1], 0
                                        ; implicit-def: $vgpr3
	s_cbranch_execnz .LBB31_1312
	s_branch .LBB31_1344
.LBB31_1276:
	s_mov_b64 s[12:13], -1
	s_mov_b64 s[6:7], 0
	s_mov_b64 s[0:1], 0
                                        ; implicit-def: $vgpr3
	s_branch .LBB31_1293
.LBB31_1277:
	s_mov_b64 s[12:13], -1
	s_mov_b64 s[6:7], 0
	s_mov_b64 s[0:1], 0
                                        ; implicit-def: $vgpr3
	s_branch .LBB31_1288
.LBB31_1278:
	s_or_b64 s[2:3], s[28:29], exec
	s_trap 2
	s_cbranch_execz .LBB31_1219
	s_branch .LBB31_1220
.LBB31_1279:
	s_mov_b64 s[12:13], -1
	s_mov_b64 s[6:7], 0
	s_mov_b64 s[0:1], 0
                                        ; implicit-def: $vgpr3
	s_branch .LBB31_1283
.LBB31_1280:
	s_andn2_saveexec_b64 s[16:17], s[16:17]
	s_cbranch_execz .LBB31_1011
.LBB31_1281:
	s_mov_b32 s20, 0x42800000
	v_add_f32_e64 v4, |v5|, s20
	v_and_b32_e32 v4, 0xff, v4
	v_cmp_ne_u32_e32 vcc, 0, v4
	s_andn2_b64 s[14:15], s[14:15], exec
	s_and_b64 s[20:21], vcc, exec
	s_or_b64 s[14:15], s[14:15], s[20:21]
	s_or_b64 exec, exec, s[16:17]
	v_mov_b32_e32 v6, 0
	s_and_saveexec_b64 s[16:17], s[14:15]
	s_cbranch_execnz .LBB31_1012
	s_branch .LBB31_1013
.LBB31_1282:
	s_mov_b64 s[0:1], -1
                                        ; implicit-def: $vgpr3
	s_mov_b64 s[6:7], 0
.LBB31_1283:
	s_and_b64 vcc, exec, s[12:13]
	s_cbranch_vccz .LBB31_1287
; %bb.1284:
	s_cmp_eq_u32 s17, 44
	s_cbranch_scc0 .LBB31_1286
; %bb.1285:
	global_load_ubyte v3, v[10:11], off
	s_movk_i32 s6, 0xff
	v_mov_b32_e32 v5, 0x7f800001
	v_mov_b32_e32 v8, 0x400000
	;; [unrolled: 1-line block ×3, first 2 shown]
	s_mov_b64 s[0:1], 0
	s_waitcnt vmcnt(0)
	v_lshlrev_b32_e32 v13, 23, v3
	v_cmp_ne_u32_e32 vcc, s6, v3
	v_cndmask_b32_e32 v5, v5, v13, vcc
	v_cmp_ne_u32_e32 vcc, 0, v3
	v_cndmask_b32_e32 v3, v8, v5, vcc
	v_add_u32_e32 v5, 0x7fff, v3
	v_cmp_o_f32_e32 vcc, v3, v3
	v_cndmask_b32_sdwa v3, v12, v5, vcc dst_sel:DWORD dst_unused:UNUSED_PAD src0_sel:DWORD src1_sel:WORD_1
	s_mov_b64 s[6:7], -1
	s_branch .LBB31_1287
.LBB31_1286:
	s_mov_b64 s[0:1], -1
                                        ; implicit-def: $vgpr3
.LBB31_1287:
	s_mov_b64 s[12:13], 0
.LBB31_1288:
	s_and_b64 vcc, exec, s[12:13]
	s_cbranch_vccz .LBB31_1292
; %bb.1289:
	s_cmp_eq_u32 s17, 29
	s_cbranch_scc0 .LBB31_1291
; %bb.1290:
	global_load_dwordx2 v[12:13], v[10:11], off
	s_movk_i32 s6, 0x7fff
	s_mov_b64 s[0:1], 0
	s_mov_b64 s[12:13], 0
	s_waitcnt vmcnt(0)
	v_ffbh_u32_e32 v3, v13
	v_min_u32_e32 v3, 32, v3
	v_lshlrev_b64 v[12:13], v3, v[12:13]
	v_sub_u32_e32 v3, 32, v3
	v_min_u32_e32 v5, 1, v12
	v_or_b32_e32 v5, v13, v5
	v_cvt_f32_u32_e32 v5, v5
	v_ldexp_f32 v3, v5, v3
	v_bfe_u32 v5, v3, 16, 1
	v_add3_u32 v3, v3, v5, s6
	v_lshrrev_b32_e32 v3, 16, v3
	s_mov_b64 s[6:7], -1
	s_branch .LBB31_1293
.LBB31_1291:
	s_mov_b64 s[0:1], -1
                                        ; implicit-def: $vgpr3
.LBB31_1292:
	s_mov_b64 s[12:13], 0
.LBB31_1293:
	s_and_b64 vcc, exec, s[12:13]
	s_cbranch_vccz .LBB31_1311
; %bb.1294:
	s_cmp_lt_i32 s17, 27
	s_cbranch_scc1 .LBB31_1297
; %bb.1295:
	s_cmp_gt_i32 s17, 27
	s_cbranch_scc0 .LBB31_1298
; %bb.1296:
	global_load_dword v3, v[10:11], off
	s_movk_i32 s6, 0x7fff
	s_waitcnt vmcnt(0)
	v_cvt_f32_u32_e32 v3, v3
	v_bfe_u32 v5, v3, 16, 1
	v_add3_u32 v3, v3, v5, s6
	v_lshrrev_b32_e32 v3, 16, v3
	s_mov_b64 s[6:7], 0
	s_branch .LBB31_1299
.LBB31_1297:
	s_mov_b64 s[6:7], -1
                                        ; implicit-def: $vgpr3
	s_branch .LBB31_1302
.LBB31_1298:
	s_mov_b64 s[6:7], -1
                                        ; implicit-def: $vgpr3
.LBB31_1299:
	s_andn2_b64 vcc, exec, s[6:7]
	s_cbranch_vccnz .LBB31_1301
; %bb.1300:
	global_load_ushort v3, v[10:11], off
	s_movk_i32 s6, 0x7fff
	s_waitcnt vmcnt(0)
	v_cvt_f32_u32_e32 v3, v3
	v_bfe_u32 v5, v3, 16, 1
	v_add3_u32 v3, v3, v5, s6
	v_lshrrev_b32_e32 v3, 16, v3
.LBB31_1301:
	s_mov_b64 s[6:7], 0
.LBB31_1302:
	s_andn2_b64 vcc, exec, s[6:7]
	s_cbranch_vccnz .LBB31_1310
; %bb.1303:
	global_load_ubyte v3, v[10:11], off
	s_movk_i32 s6, 0x7f
	s_waitcnt vmcnt(0)
	v_cmp_lt_i16_e32 vcc, s6, v3
	s_mov_b64 s[6:7], 0
	s_and_saveexec_b64 s[12:13], vcc
	s_xor_b64 s[12:13], exec, s[12:13]
	s_cbranch_execz .LBB31_1323
; %bb.1304:
	s_movk_i32 s6, 0x80
	v_cmp_eq_u16_e32 vcc, s6, v3
	s_mov_b64 s[6:7], -1
	s_and_saveexec_b64 s[14:15], vcc
; %bb.1305:
	s_xor_b64 s[6:7], exec, -1
; %bb.1306:
	s_or_b64 exec, exec, s[14:15]
	s_and_b64 s[6:7], s[6:7], exec
	s_or_saveexec_b64 s[12:13], s[12:13]
	v_mov_b32_e32 v5, 0x7f800001
	s_xor_b64 exec, exec, s[12:13]
	s_cbranch_execnz .LBB31_1324
.LBB31_1307:
	s_or_b64 exec, exec, s[12:13]
	s_and_saveexec_b64 s[12:13], s[6:7]
	s_cbranch_execz .LBB31_1309
.LBB31_1308:
	v_lshlrev_b32_e32 v5, 24, v3
	v_and_b32_e32 v3, 0xffff, v3
	v_and_b32_e32 v8, 7, v3
	v_ffbh_u32_e32 v13, v8
	v_min_u32_e32 v13, 32, v13
	v_subrev_u32_e32 v14, 28, v13
	v_bfe_u32 v12, v3, 3, 4
	v_lshlrev_b32_e32 v3, v14, v3
	v_sub_u32_e32 v13, 29, v13
	v_and_b32_e32 v3, 7, v3
	v_cmp_eq_u32_e32 vcc, 0, v12
	v_cndmask_b32_e32 v12, v12, v13, vcc
	v_cndmask_b32_e32 v3, v8, v3, vcc
	v_mov_b32_e32 v8, 0x3b800000
	v_lshlrev_b32_e32 v3, 20, v3
	v_and_b32_e32 v5, 0x80000000, v5
	v_lshl_add_u32 v8, v12, 23, v8
	v_or3_b32 v5, v5, v8, v3
.LBB31_1309:
	s_or_b64 exec, exec, s[12:13]
	v_bfe_u32 v3, v5, 16, 1
	s_movk_i32 s6, 0x7fff
	v_add3_u32 v3, v5, v3, s6
	v_cmp_o_f32_e32 vcc, v5, v5
	v_mov_b32_e32 v5, 0x7fc0
	v_cndmask_b32_sdwa v3, v5, v3, vcc dst_sel:DWORD dst_unused:UNUSED_PAD src0_sel:DWORD src1_sel:WORD_1
.LBB31_1310:
	s_mov_b64 s[6:7], -1
.LBB31_1311:
	s_branch .LBB31_1344
.LBB31_1312:
	s_cmp_gt_i32 s17, 22
	s_cbranch_scc0 .LBB31_1322
; %bb.1313:
	s_cmp_lt_i32 s17, 24
	s_cbranch_scc1 .LBB31_1325
; %bb.1314:
	s_cmp_gt_i32 s17, 24
	s_cbranch_scc0 .LBB31_1326
; %bb.1315:
	global_load_ubyte v3, v[10:11], off
	s_movk_i32 s4, 0x7f
	s_waitcnt vmcnt(0)
	v_cmp_lt_i16_e32 vcc, s4, v3
	s_mov_b64 s[4:5], 0
	s_and_saveexec_b64 s[6:7], vcc
	s_xor_b64 s[6:7], exec, s[6:7]
	s_cbranch_execz .LBB31_1338
; %bb.1316:
	s_movk_i32 s4, 0x80
	v_cmp_eq_u16_e32 vcc, s4, v3
	s_mov_b64 s[4:5], -1
	s_and_saveexec_b64 s[12:13], vcc
; %bb.1317:
	s_xor_b64 s[4:5], exec, -1
; %bb.1318:
	s_or_b64 exec, exec, s[12:13]
	s_and_b64 s[4:5], s[4:5], exec
	s_or_saveexec_b64 s[6:7], s[6:7]
	v_mov_b32_e32 v5, 0x7f800001
	s_xor_b64 exec, exec, s[6:7]
	s_cbranch_execnz .LBB31_1339
.LBB31_1319:
	s_or_b64 exec, exec, s[6:7]
	s_and_saveexec_b64 s[6:7], s[4:5]
	s_cbranch_execz .LBB31_1321
.LBB31_1320:
	v_lshlrev_b32_e32 v5, 24, v3
	v_and_b32_e32 v3, 0xffff, v3
	v_and_b32_e32 v8, 3, v3
	v_ffbh_u32_e32 v13, v8
	v_min_u32_e32 v13, 32, v13
	v_subrev_u32_e32 v14, 29, v13
	v_bfe_u32 v12, v3, 2, 5
	v_lshlrev_b32_e32 v3, v14, v3
	v_sub_u32_e32 v13, 30, v13
	v_and_b32_e32 v3, 3, v3
	v_cmp_eq_u32_e32 vcc, 0, v12
	v_cndmask_b32_e32 v12, v12, v13, vcc
	v_cndmask_b32_e32 v3, v8, v3, vcc
	v_mov_b32_e32 v8, 0x37800000
	v_lshlrev_b32_e32 v3, 21, v3
	v_and_b32_e32 v5, 0x80000000, v5
	v_lshl_add_u32 v8, v12, 23, v8
	v_or3_b32 v5, v5, v8, v3
.LBB31_1321:
	s_or_b64 exec, exec, s[6:7]
	v_bfe_u32 v3, v5, 16, 1
	s_movk_i32 s4, 0x7fff
	v_add3_u32 v3, v5, v3, s4
	v_cmp_o_f32_e32 vcc, v5, v5
	v_mov_b32_e32 v5, 0x7fc0
	v_cndmask_b32_sdwa v3, v5, v3, vcc dst_sel:DWORD dst_unused:UNUSED_PAD src0_sel:DWORD src1_sel:WORD_1
	s_mov_b64 s[4:5], 0
	s_branch .LBB31_1327
.LBB31_1322:
	s_mov_b64 s[4:5], -1
                                        ; implicit-def: $vgpr3
	s_branch .LBB31_1333
.LBB31_1323:
	s_or_saveexec_b64 s[12:13], s[12:13]
	v_mov_b32_e32 v5, 0x7f800001
	s_xor_b64 exec, exec, s[12:13]
	s_cbranch_execz .LBB31_1307
.LBB31_1324:
	v_cmp_ne_u16_e32 vcc, 0, v3
	s_andn2_b64 s[6:7], s[6:7], exec
	s_and_b64 s[14:15], vcc, exec
	v_mov_b32_e32 v5, 0
	s_or_b64 s[6:7], s[6:7], s[14:15]
	s_or_b64 exec, exec, s[12:13]
	s_and_saveexec_b64 s[12:13], s[6:7]
	s_cbranch_execnz .LBB31_1308
	s_branch .LBB31_1309
.LBB31_1325:
	s_mov_b64 s[4:5], -1
                                        ; implicit-def: $vgpr3
	s_branch .LBB31_1330
.LBB31_1326:
	s_mov_b64 s[4:5], -1
                                        ; implicit-def: $vgpr3
.LBB31_1327:
	s_and_b64 vcc, exec, s[4:5]
	s_cbranch_vccz .LBB31_1329
; %bb.1328:
	global_load_ubyte v3, v[10:11], off
	s_mov_b32 s4, 0x7f800000
	s_brev_b32 s5, 1
	s_movk_i32 s6, 0x7fff
	s_waitcnt vmcnt(0)
	v_lshlrev_b32_e32 v3, 24, v3
	v_and_b32_e32 v5, 0x7f000000, v3
	v_ffbh_u32_e32 v8, v5
	v_min_u32_e32 v8, 32, v8
	v_sub_u32_e64 v8, v8, 4 clamp
	v_lshlrev_b32_e32 v13, v8, v5
	v_lshlrev_b32_e32 v8, 23, v8
	v_lshrrev_b32_e32 v13, 4, v13
	v_add_u32_e32 v12, 0x1000000, v5
	v_sub_u32_e32 v8, v13, v8
	v_ashrrev_i32_e32 v12, 8, v12
	v_add_u32_e32 v8, 0x3c000000, v8
	v_and_or_b32 v8, v12, s4, v8
	v_cmp_ne_u32_e32 vcc, 0, v5
	v_cndmask_b32_e32 v5, 0, v8, vcc
	v_and_or_b32 v3, v3, s5, v5
	v_bfe_u32 v5, v5, 16, 1
	v_add3_u32 v5, v3, v5, s6
	v_cmp_o_f32_e32 vcc, v3, v3
	v_mov_b32_e32 v3, 0x7fc0
	v_cndmask_b32_sdwa v3, v3, v5, vcc dst_sel:DWORD dst_unused:UNUSED_PAD src0_sel:DWORD src1_sel:WORD_1
.LBB31_1329:
	s_mov_b64 s[4:5], 0
.LBB31_1330:
	s_andn2_b64 vcc, exec, s[4:5]
	s_cbranch_vccnz .LBB31_1332
; %bb.1331:
	global_load_ubyte v3, v[10:11], off
	s_movk_i32 s4, 0x7f00
	s_brev_b32 s5, 16
	s_brev_b32 s6, 1
	s_movk_i32 s7, 0x7fff
	s_waitcnt vmcnt(0)
	v_lshlrev_b16_e32 v5, 8, v3
	v_lshlrev_b32_e32 v3, 25, v3
	v_lshrrev_b32_e32 v8, 4, v3
	v_and_or_b32 v12, v5, s4, 0.5
	v_or_b32_e32 v8, 0x70000000, v8
	v_add_f32_e32 v12, -0.5, v12
	v_mul_f32_e32 v8, 0x7800000, v8
	v_cmp_gt_u32_e32 vcc, s5, v3
	v_bfe_i32 v5, v5, 0, 16
	v_cndmask_b32_e32 v3, v8, v12, vcc
	v_and_or_b32 v5, v5, s6, v3
	v_bfe_u32 v3, v3, 16, 1
	v_add3_u32 v3, v5, v3, s7
	v_cmp_o_f32_e32 vcc, v5, v5
	v_mov_b32_e32 v5, 0x7fc0
	v_cndmask_b32_sdwa v3, v5, v3, vcc dst_sel:DWORD dst_unused:UNUSED_PAD src0_sel:DWORD src1_sel:WORD_1
.LBB31_1332:
	s_mov_b64 s[4:5], 0
	s_mov_b64 s[6:7], -1
.LBB31_1333:
	s_andn2_b64 vcc, exec, s[4:5]
	s_mov_b64 s[4:5], 0
	s_cbranch_vccnz .LBB31_1344
; %bb.1334:
	s_cmp_gt_i32 s17, 14
	s_cbranch_scc0 .LBB31_1337
; %bb.1335:
	s_cmp_eq_u32 s17, 15
	s_cbranch_scc0 .LBB31_1340
; %bb.1336:
	global_load_ushort v3, v[10:11], off
	s_mov_b64 s[0:1], 0
	s_mov_b64 s[6:7], -1
	s_branch .LBB31_1341
.LBB31_1337:
	s_mov_b64 s[12:13], -1
                                        ; implicit-def: $vgpr3
	s_branch .LBB31_1342
.LBB31_1338:
	s_or_saveexec_b64 s[6:7], s[6:7]
	v_mov_b32_e32 v5, 0x7f800001
	s_xor_b64 exec, exec, s[6:7]
	s_cbranch_execz .LBB31_1319
.LBB31_1339:
	v_cmp_ne_u16_e32 vcc, 0, v3
	s_andn2_b64 s[4:5], s[4:5], exec
	s_and_b64 s[12:13], vcc, exec
	v_mov_b32_e32 v5, 0
	s_or_b64 s[4:5], s[4:5], s[12:13]
	s_or_b64 exec, exec, s[6:7]
	s_and_saveexec_b64 s[6:7], s[4:5]
	s_cbranch_execnz .LBB31_1320
	s_branch .LBB31_1321
.LBB31_1340:
	s_mov_b64 s[0:1], -1
                                        ; implicit-def: $vgpr3
.LBB31_1341:
	s_mov_b64 s[12:13], 0
.LBB31_1342:
	s_and_b64 vcc, exec, s[12:13]
	s_cbranch_vccz .LBB31_1344
; %bb.1343:
	s_cmp_lg_u32 s17, 11
	s_mov_b64 s[4:5], -1
	s_cselect_b64 s[0:1], -1, 0
.LBB31_1344:
	s_and_b64 vcc, exec, s[0:1]
	s_cbranch_vccnz .LBB31_1407
; %bb.1345:
	s_andn2_b64 vcc, exec, s[4:5]
	s_cbranch_vccnz .LBB31_1347
.LBB31_1346:
	global_load_ubyte v3, v[10:11], off
	s_mov_b64 s[6:7], -1
	s_waitcnt vmcnt(0)
	v_cmp_ne_u16_e32 vcc, 0, v3
	v_cndmask_b32_e64 v3, 0, 1.0, vcc
	v_lshrrev_b32_e32 v3, 16, v3
.LBB31_1347:
	s_branch .LBB31_1274
.LBB31_1348:
	s_cmp_lt_i32 s17, 5
	s_cbranch_scc1 .LBB31_1353
; %bb.1349:
	s_cmp_lt_i32 s17, 8
	s_cbranch_scc1 .LBB31_1354
; %bb.1350:
	;; [unrolled: 3-line block ×3, first 2 shown]
	s_cmp_gt_i32 s17, 9
	s_cbranch_scc0 .LBB31_1356
; %bb.1352:
	global_load_dwordx2 v[12:13], v[10:11], off
	s_movk_i32 s0, 0x7fff
	v_mov_b32_e32 v5, 0x7fc0
	s_waitcnt vmcnt(0)
	v_cvt_f32_f64_e32 v3, v[12:13]
	v_bfe_u32 v8, v3, 16, 1
	v_cmp_o_f32_e32 vcc, v3, v3
	v_add3_u32 v3, v3, v8, s0
	v_cndmask_b32_sdwa v3, v5, v3, vcc dst_sel:DWORD dst_unused:UNUSED_PAD src0_sel:DWORD src1_sel:WORD_1
	s_mov_b64 s[0:1], 0
	s_branch .LBB31_1357
.LBB31_1353:
                                        ; implicit-def: $vgpr3
	s_branch .LBB31_1375
.LBB31_1354:
	s_mov_b64 s[0:1], -1
                                        ; implicit-def: $vgpr3
	s_branch .LBB31_1363
.LBB31_1355:
	s_mov_b64 s[0:1], -1
                                        ; implicit-def: $vgpr3
	s_branch .LBB31_1360
.LBB31_1356:
	s_mov_b64 s[0:1], -1
                                        ; implicit-def: $vgpr3
.LBB31_1357:
	s_andn2_b64 vcc, exec, s[0:1]
	s_cbranch_vccnz .LBB31_1359
; %bb.1358:
	global_load_dword v3, v[10:11], off
	s_movk_i32 s0, 0x7fff
	v_mov_b32_e32 v5, 0x7fc0
	s_waitcnt vmcnt(0)
	v_bfe_u32 v8, v3, 16, 1
	v_cmp_o_f32_e32 vcc, v3, v3
	v_add3_u32 v3, v3, v8, s0
	v_cndmask_b32_sdwa v3, v5, v3, vcc dst_sel:DWORD dst_unused:UNUSED_PAD src0_sel:DWORD src1_sel:WORD_1
.LBB31_1359:
	s_mov_b64 s[0:1], 0
.LBB31_1360:
	s_andn2_b64 vcc, exec, s[0:1]
	s_cbranch_vccnz .LBB31_1362
; %bb.1361:
	global_load_dword v3, v[10:11], off
	s_movk_i32 s0, 0x7fff
	v_mov_b32_e32 v8, 0x7fc0
	s_waitcnt vmcnt(0)
	v_cvt_f32_f16_e32 v5, v3
	v_cmp_o_f16_e32 vcc, v3, v3
	v_bfe_u32 v3, v5, 16, 1
	v_add3_u32 v3, v5, v3, s0
	v_cndmask_b32_sdwa v3, v8, v3, vcc dst_sel:DWORD dst_unused:UNUSED_PAD src0_sel:DWORD src1_sel:WORD_1
.LBB31_1362:
	s_mov_b64 s[0:1], 0
.LBB31_1363:
	s_andn2_b64 vcc, exec, s[0:1]
	s_cbranch_vccnz .LBB31_1374
; %bb.1364:
	s_cmp_lt_i32 s17, 6
	s_cbranch_scc1 .LBB31_1367
; %bb.1365:
	s_cmp_gt_i32 s17, 6
	s_cbranch_scc0 .LBB31_1368
; %bb.1366:
	global_load_dwordx2 v[12:13], v[10:11], off
	s_movk_i32 s0, 0x7fff
	v_mov_b32_e32 v5, 0x7fc0
	s_waitcnt vmcnt(0)
	v_cvt_f32_f64_e32 v3, v[12:13]
	v_bfe_u32 v8, v3, 16, 1
	v_cmp_o_f32_e32 vcc, v3, v3
	v_add3_u32 v3, v3, v8, s0
	v_cndmask_b32_sdwa v3, v5, v3, vcc dst_sel:DWORD dst_unused:UNUSED_PAD src0_sel:DWORD src1_sel:WORD_1
	s_mov_b64 s[0:1], 0
	s_branch .LBB31_1369
.LBB31_1367:
	s_mov_b64 s[0:1], -1
                                        ; implicit-def: $vgpr3
	s_branch .LBB31_1372
.LBB31_1368:
	s_mov_b64 s[0:1], -1
                                        ; implicit-def: $vgpr3
.LBB31_1369:
	s_andn2_b64 vcc, exec, s[0:1]
	s_cbranch_vccnz .LBB31_1371
; %bb.1370:
	global_load_dword v3, v[10:11], off
	s_movk_i32 s0, 0x7fff
	v_mov_b32_e32 v5, 0x7fc0
	s_waitcnt vmcnt(0)
	v_bfe_u32 v8, v3, 16, 1
	v_cmp_o_f32_e32 vcc, v3, v3
	v_add3_u32 v3, v3, v8, s0
	v_cndmask_b32_sdwa v3, v5, v3, vcc dst_sel:DWORD dst_unused:UNUSED_PAD src0_sel:DWORD src1_sel:WORD_1
.LBB31_1371:
	s_mov_b64 s[0:1], 0
.LBB31_1372:
	s_andn2_b64 vcc, exec, s[0:1]
	s_cbranch_vccnz .LBB31_1374
; %bb.1373:
	global_load_ushort v3, v[10:11], off
	s_movk_i32 s0, 0x7fff
	v_mov_b32_e32 v8, 0x7fc0
	s_waitcnt vmcnt(0)
	v_cvt_f32_f16_e32 v5, v3
	v_cmp_o_f16_e32 vcc, v3, v3
	v_bfe_u32 v3, v5, 16, 1
	v_add3_u32 v3, v5, v3, s0
	v_cndmask_b32_sdwa v3, v8, v3, vcc dst_sel:DWORD dst_unused:UNUSED_PAD src0_sel:DWORD src1_sel:WORD_1
.LBB31_1374:
	s_cbranch_execnz .LBB31_1394
.LBB31_1375:
	s_cmp_lt_i32 s17, 2
	s_cbranch_scc1 .LBB31_1379
; %bb.1376:
	s_cmp_lt_i32 s17, 3
	s_cbranch_scc1 .LBB31_1380
; %bb.1377:
	s_cmp_gt_i32 s17, 3
	s_cbranch_scc0 .LBB31_1381
; %bb.1378:
	global_load_dwordx2 v[12:13], v[10:11], off
	s_movk_i32 s0, 0x7fff
	s_waitcnt vmcnt(0)
	v_xor_b32_e32 v5, v12, v13
	v_ffbh_i32_e32 v3, v13
	v_ashrrev_i32_e32 v5, 31, v5
	v_add_u32_e32 v3, -1, v3
	v_add_u32_e32 v5, 32, v5
	v_min_u32_e32 v3, v3, v5
	v_lshlrev_b64 v[12:13], v3, v[12:13]
	v_sub_u32_e32 v3, 32, v3
	v_min_u32_e32 v5, 1, v12
	v_or_b32_e32 v5, v13, v5
	v_cvt_f32_i32_e32 v5, v5
	v_ldexp_f32 v3, v5, v3
	v_bfe_u32 v5, v3, 16, 1
	v_add3_u32 v3, v3, v5, s0
	v_lshrrev_b32_e32 v3, 16, v3
	s_mov_b64 s[0:1], 0
	s_branch .LBB31_1382
.LBB31_1379:
	s_mov_b64 s[0:1], -1
                                        ; implicit-def: $vgpr3
	s_branch .LBB31_1388
.LBB31_1380:
	s_mov_b64 s[0:1], -1
                                        ; implicit-def: $vgpr3
	s_branch .LBB31_1385
.LBB31_1381:
	s_mov_b64 s[0:1], -1
                                        ; implicit-def: $vgpr3
.LBB31_1382:
	s_andn2_b64 vcc, exec, s[0:1]
	s_cbranch_vccnz .LBB31_1384
; %bb.1383:
	global_load_dword v3, v[10:11], off
	s_movk_i32 s0, 0x7fff
	s_waitcnt vmcnt(0)
	v_cvt_f32_i32_e32 v3, v3
	v_bfe_u32 v5, v3, 16, 1
	v_add3_u32 v3, v3, v5, s0
	v_lshrrev_b32_e32 v3, 16, v3
.LBB31_1384:
	s_mov_b64 s[0:1], 0
.LBB31_1385:
	s_andn2_b64 vcc, exec, s[0:1]
	s_cbranch_vccnz .LBB31_1387
; %bb.1386:
	global_load_sshort v3, v[10:11], off
	s_movk_i32 s0, 0x7fff
	s_waitcnt vmcnt(0)
	v_cvt_f32_i32_e32 v3, v3
	v_bfe_u32 v5, v3, 16, 1
	v_add3_u32 v3, v3, v5, s0
	v_lshrrev_b32_e32 v3, 16, v3
.LBB31_1387:
	s_mov_b64 s[0:1], 0
.LBB31_1388:
	s_andn2_b64 vcc, exec, s[0:1]
	s_cbranch_vccnz .LBB31_1394
; %bb.1389:
	s_cmp_gt_i32 s17, 0
	s_cbranch_scc0 .LBB31_1391
; %bb.1390:
	global_load_sbyte v3, v[10:11], off
	s_movk_i32 s0, 0x7fff
	s_waitcnt vmcnt(0)
	v_cvt_f32_i32_e32 v3, v3
	v_bfe_u32 v5, v3, 16, 1
	v_add3_u32 v3, v3, v5, s0
	v_lshrrev_b32_e32 v3, 16, v3
	s_mov_b64 s[0:1], 0
	s_branch .LBB31_1392
.LBB31_1391:
	s_mov_b64 s[0:1], -1
                                        ; implicit-def: $vgpr3
.LBB31_1392:
	s_andn2_b64 vcc, exec, s[0:1]
	s_cbranch_vccnz .LBB31_1394
; %bb.1393:
	global_load_ubyte v3, v[10:11], off
	s_movk_i32 s0, 0x7fff
	s_waitcnt vmcnt(0)
	v_cvt_f32_ubyte0_e32 v3, v3
	v_bfe_u32 v5, v3, 16, 1
	v_add3_u32 v3, v3, v5, s0
	v_lshrrev_b32_e32 v3, 16, v3
.LBB31_1394:
.LBB31_1395:
	v_mov_b32_e32 v5, s11
	v_add_co_u32_e32 v8, vcc, s10, v9
	s_cmp_lt_i32 s17, 11
	v_addc_co_u32_e32 v9, vcc, 0, v5, vcc
	s_cbranch_scc1 .LBB31_1402
; %bb.1396:
	s_cmp_gt_i32 s17, 25
	s_mov_b64 s[4:5], 0
	s_cbranch_scc0 .LBB31_1404
; %bb.1397:
	s_cmp_gt_i32 s17, 28
	s_cbranch_scc0 .LBB31_1405
; %bb.1398:
	s_cmp_gt_i32 s17, 43
	;; [unrolled: 3-line block ×3, first 2 shown]
	s_cbranch_scc0 .LBB31_1408
; %bb.1400:
	s_cmp_eq_u32 s17, 46
	s_mov_b64 s[12:13], 0
	s_cbranch_scc0 .LBB31_1409
; %bb.1401:
	global_load_dword v10, v[8:9], off
	s_mov_b64 s[0:1], 0
	s_mov_b64 s[6:7], -1
	s_branch .LBB31_1410
.LBB31_1402:
	s_mov_b64 s[6:7], 0
                                        ; implicit-def: $vgpr10
	s_cbranch_execnz .LBB31_1476
.LBB31_1403:
	s_andn2_b64 vcc, exec, s[6:7]
	s_cbranch_vccnz .LBB31_2087
	s_branch .LBB31_1524
.LBB31_1404:
	s_mov_b64 s[12:13], -1
	s_mov_b64 s[6:7], 0
	s_mov_b64 s[0:1], 0
                                        ; implicit-def: $vgpr10
	s_branch .LBB31_1439
.LBB31_1405:
	s_mov_b64 s[12:13], -1
	s_mov_b64 s[6:7], 0
	s_mov_b64 s[0:1], 0
                                        ; implicit-def: $vgpr10
	s_branch .LBB31_1420
.LBB31_1406:
	s_mov_b64 s[12:13], -1
	s_mov_b64 s[6:7], 0
	s_mov_b64 s[0:1], 0
                                        ; implicit-def: $vgpr10
	s_branch .LBB31_1415
.LBB31_1407:
	s_trap 2
	s_or_b64 s[2:3], s[2:3], exec
	s_cbranch_execz .LBB31_1346
	s_branch .LBB31_1347
.LBB31_1408:
	s_mov_b64 s[12:13], -1
	s_mov_b64 s[6:7], 0
	s_mov_b64 s[0:1], 0
                                        ; implicit-def: $vgpr10
	s_branch .LBB31_1410
.LBB31_1409:
	s_mov_b64 s[0:1], -1
                                        ; implicit-def: $vgpr10
	s_mov_b64 s[6:7], 0
.LBB31_1410:
	s_and_b64 vcc, exec, s[12:13]
	s_cbranch_vccz .LBB31_1414
; %bb.1411:
	s_cmp_eq_u32 s17, 44
	s_cbranch_scc0 .LBB31_1413
; %bb.1412:
	global_load_ubyte v5, v[8:9], off
	s_movk_i32 s6, 0xff
	s_waitcnt vmcnt(1)
	v_mov_b32_e32 v10, 0x7f800001
	v_mov_b32_e32 v11, 0x400000
	;; [unrolled: 1-line block ×3, first 2 shown]
	s_mov_b64 s[0:1], 0
	s_waitcnt vmcnt(0)
	v_lshlrev_b32_e32 v13, 23, v5
	v_cmp_ne_u32_e32 vcc, s6, v5
	v_cndmask_b32_e32 v10, v10, v13, vcc
	v_cmp_ne_u32_e32 vcc, 0, v5
	v_cndmask_b32_e32 v5, v11, v10, vcc
	v_add_u32_e32 v10, 0x7fff, v5
	v_cmp_o_f32_e32 vcc, v5, v5
	v_cndmask_b32_sdwa v10, v12, v10, vcc dst_sel:DWORD dst_unused:UNUSED_PAD src0_sel:DWORD src1_sel:WORD_1
	s_mov_b64 s[6:7], -1
	s_branch .LBB31_1414
.LBB31_1413:
	s_mov_b64 s[0:1], -1
                                        ; implicit-def: $vgpr10
.LBB31_1414:
	s_mov_b64 s[12:13], 0
.LBB31_1415:
	s_and_b64 vcc, exec, s[12:13]
	s_cbranch_vccz .LBB31_1419
; %bb.1416:
	s_cmp_eq_u32 s17, 29
	s_cbranch_scc0 .LBB31_1418
; %bb.1417:
	global_load_dwordx2 v[10:11], v[8:9], off
	s_movk_i32 s6, 0x7fff
	s_mov_b64 s[0:1], 0
	s_mov_b64 s[12:13], 0
	s_waitcnt vmcnt(0)
	v_ffbh_u32_e32 v5, v11
	v_min_u32_e32 v5, 32, v5
	v_lshlrev_b64 v[10:11], v5, v[10:11]
	v_sub_u32_e32 v5, 32, v5
	v_min_u32_e32 v10, 1, v10
	v_or_b32_e32 v10, v11, v10
	v_cvt_f32_u32_e32 v10, v10
	v_ldexp_f32 v5, v10, v5
	v_bfe_u32 v10, v5, 16, 1
	v_add3_u32 v5, v5, v10, s6
	v_lshrrev_b32_e32 v10, 16, v5
	s_mov_b64 s[6:7], -1
	s_branch .LBB31_1420
.LBB31_1418:
	s_mov_b64 s[0:1], -1
                                        ; implicit-def: $vgpr10
.LBB31_1419:
	s_mov_b64 s[12:13], 0
.LBB31_1420:
	s_and_b64 vcc, exec, s[12:13]
	s_cbranch_vccz .LBB31_1438
; %bb.1421:
	s_cmp_lt_i32 s17, 27
	s_cbranch_scc1 .LBB31_1424
; %bb.1422:
	s_cmp_gt_i32 s17, 27
	s_cbranch_scc0 .LBB31_1425
; %bb.1423:
	global_load_dword v5, v[8:9], off
	s_movk_i32 s6, 0x7fff
	s_waitcnt vmcnt(0)
	v_cvt_f32_u32_e32 v5, v5
	v_bfe_u32 v10, v5, 16, 1
	v_add3_u32 v5, v5, v10, s6
	v_lshrrev_b32_e32 v10, 16, v5
	s_mov_b64 s[6:7], 0
	s_branch .LBB31_1426
.LBB31_1424:
	s_mov_b64 s[6:7], -1
                                        ; implicit-def: $vgpr10
	s_branch .LBB31_1429
.LBB31_1425:
	s_mov_b64 s[6:7], -1
                                        ; implicit-def: $vgpr10
.LBB31_1426:
	s_andn2_b64 vcc, exec, s[6:7]
	s_cbranch_vccnz .LBB31_1428
; %bb.1427:
	global_load_ushort v5, v[8:9], off
	s_movk_i32 s6, 0x7fff
	s_waitcnt vmcnt(0)
	v_cvt_f32_u32_e32 v5, v5
	v_bfe_u32 v10, v5, 16, 1
	v_add3_u32 v5, v5, v10, s6
	v_lshrrev_b32_e32 v10, 16, v5
.LBB31_1428:
	s_mov_b64 s[6:7], 0
.LBB31_1429:
	s_andn2_b64 vcc, exec, s[6:7]
	s_cbranch_vccnz .LBB31_1437
; %bb.1430:
	global_load_ubyte v5, v[8:9], off
	s_movk_i32 s6, 0x7f
	s_waitcnt vmcnt(0)
	v_cmp_lt_i16_e32 vcc, s6, v5
	s_mov_b64 s[6:7], 0
	s_and_saveexec_b64 s[12:13], vcc
	s_xor_b64 s[12:13], exec, s[12:13]
	s_cbranch_execz .LBB31_1451
; %bb.1431:
	s_movk_i32 s6, 0x80
	v_cmp_eq_u16_e32 vcc, s6, v5
	s_mov_b64 s[6:7], -1
	s_and_saveexec_b64 s[14:15], vcc
; %bb.1432:
	s_xor_b64 s[6:7], exec, -1
; %bb.1433:
	s_or_b64 exec, exec, s[14:15]
	s_and_b64 s[6:7], s[6:7], exec
	s_or_saveexec_b64 s[12:13], s[12:13]
	v_mov_b32_e32 v10, 0x7f800001
	s_xor_b64 exec, exec, s[12:13]
	s_cbranch_execnz .LBB31_1452
.LBB31_1434:
	s_or_b64 exec, exec, s[12:13]
	s_and_saveexec_b64 s[12:13], s[6:7]
	s_cbranch_execz .LBB31_1436
.LBB31_1435:
	v_lshlrev_b32_e32 v10, 24, v5
	v_and_b32_e32 v5, 0xffff, v5
	v_and_b32_e32 v11, 7, v5
	v_ffbh_u32_e32 v13, v11
	v_min_u32_e32 v13, 32, v13
	v_subrev_u32_e32 v14, 28, v13
	v_bfe_u32 v12, v5, 3, 4
	v_lshlrev_b32_e32 v5, v14, v5
	v_sub_u32_e32 v13, 29, v13
	v_and_b32_e32 v5, 7, v5
	v_cmp_eq_u32_e32 vcc, 0, v12
	v_cndmask_b32_e32 v12, v12, v13, vcc
	v_cndmask_b32_e32 v5, v11, v5, vcc
	v_mov_b32_e32 v11, 0x3b800000
	v_lshlrev_b32_e32 v5, 20, v5
	v_and_b32_e32 v10, 0x80000000, v10
	v_lshl_add_u32 v11, v12, 23, v11
	v_or3_b32 v10, v10, v11, v5
.LBB31_1436:
	s_or_b64 exec, exec, s[12:13]
	v_bfe_u32 v5, v10, 16, 1
	s_movk_i32 s6, 0x7fff
	v_add3_u32 v5, v10, v5, s6
	v_cmp_o_f32_e32 vcc, v10, v10
	v_mov_b32_e32 v10, 0x7fc0
	v_cndmask_b32_sdwa v10, v10, v5, vcc dst_sel:DWORD dst_unused:UNUSED_PAD src0_sel:DWORD src1_sel:WORD_1
.LBB31_1437:
	s_mov_b64 s[6:7], -1
.LBB31_1438:
	s_mov_b64 s[12:13], 0
.LBB31_1439:
	s_and_b64 vcc, exec, s[12:13]
	s_cbranch_vccz .LBB31_1472
; %bb.1440:
	s_cmp_gt_i32 s17, 22
	s_cbranch_scc0 .LBB31_1450
; %bb.1441:
	s_cmp_lt_i32 s17, 24
	s_cbranch_scc1 .LBB31_1453
; %bb.1442:
	s_cmp_gt_i32 s17, 24
	s_cbranch_scc0 .LBB31_1454
; %bb.1443:
	global_load_ubyte v5, v[8:9], off
	s_movk_i32 s4, 0x7f
	s_waitcnt vmcnt(0)
	v_cmp_lt_i16_e32 vcc, s4, v5
	s_mov_b64 s[4:5], 0
	s_and_saveexec_b64 s[6:7], vcc
	s_xor_b64 s[6:7], exec, s[6:7]
	s_cbranch_execz .LBB31_1466
; %bb.1444:
	s_movk_i32 s4, 0x80
	v_cmp_eq_u16_e32 vcc, s4, v5
	s_mov_b64 s[4:5], -1
	s_and_saveexec_b64 s[12:13], vcc
; %bb.1445:
	s_xor_b64 s[4:5], exec, -1
; %bb.1446:
	s_or_b64 exec, exec, s[12:13]
	s_and_b64 s[4:5], s[4:5], exec
	s_or_saveexec_b64 s[6:7], s[6:7]
	v_mov_b32_e32 v10, 0x7f800001
	s_xor_b64 exec, exec, s[6:7]
	s_cbranch_execnz .LBB31_1467
.LBB31_1447:
	s_or_b64 exec, exec, s[6:7]
	s_and_saveexec_b64 s[6:7], s[4:5]
	s_cbranch_execz .LBB31_1449
.LBB31_1448:
	v_lshlrev_b32_e32 v10, 24, v5
	v_and_b32_e32 v5, 0xffff, v5
	v_and_b32_e32 v11, 3, v5
	v_ffbh_u32_e32 v13, v11
	v_min_u32_e32 v13, 32, v13
	v_subrev_u32_e32 v14, 29, v13
	v_bfe_u32 v12, v5, 2, 5
	v_lshlrev_b32_e32 v5, v14, v5
	v_sub_u32_e32 v13, 30, v13
	v_and_b32_e32 v5, 3, v5
	v_cmp_eq_u32_e32 vcc, 0, v12
	v_cndmask_b32_e32 v12, v12, v13, vcc
	v_cndmask_b32_e32 v5, v11, v5, vcc
	v_mov_b32_e32 v11, 0x37800000
	v_lshlrev_b32_e32 v5, 21, v5
	v_and_b32_e32 v10, 0x80000000, v10
	v_lshl_add_u32 v11, v12, 23, v11
	v_or3_b32 v10, v10, v11, v5
.LBB31_1449:
	s_or_b64 exec, exec, s[6:7]
	v_bfe_u32 v5, v10, 16, 1
	s_movk_i32 s4, 0x7fff
	v_add3_u32 v5, v10, v5, s4
	v_cmp_o_f32_e32 vcc, v10, v10
	v_mov_b32_e32 v10, 0x7fc0
	v_cndmask_b32_sdwa v10, v10, v5, vcc dst_sel:DWORD dst_unused:UNUSED_PAD src0_sel:DWORD src1_sel:WORD_1
	s_mov_b64 s[4:5], 0
	s_branch .LBB31_1455
.LBB31_1450:
	s_mov_b64 s[4:5], -1
                                        ; implicit-def: $vgpr10
	s_branch .LBB31_1461
.LBB31_1451:
	s_or_saveexec_b64 s[12:13], s[12:13]
	v_mov_b32_e32 v10, 0x7f800001
	s_xor_b64 exec, exec, s[12:13]
	s_cbranch_execz .LBB31_1434
.LBB31_1452:
	v_cmp_ne_u16_e32 vcc, 0, v5
	s_andn2_b64 s[6:7], s[6:7], exec
	s_and_b64 s[14:15], vcc, exec
	v_mov_b32_e32 v10, 0
	s_or_b64 s[6:7], s[6:7], s[14:15]
	s_or_b64 exec, exec, s[12:13]
	s_and_saveexec_b64 s[12:13], s[6:7]
	s_cbranch_execnz .LBB31_1435
	s_branch .LBB31_1436
.LBB31_1453:
	s_mov_b64 s[4:5], -1
                                        ; implicit-def: $vgpr10
	s_branch .LBB31_1458
.LBB31_1454:
	s_mov_b64 s[4:5], -1
                                        ; implicit-def: $vgpr10
.LBB31_1455:
	s_and_b64 vcc, exec, s[4:5]
	s_cbranch_vccz .LBB31_1457
; %bb.1456:
	global_load_ubyte v5, v[8:9], off
	s_mov_b32 s4, 0x7f800000
	s_brev_b32 s5, 1
	s_movk_i32 s6, 0x7fff
	s_waitcnt vmcnt(0)
	v_lshlrev_b32_e32 v5, 24, v5
	v_and_b32_e32 v10, 0x7f000000, v5
	v_ffbh_u32_e32 v11, v10
	v_min_u32_e32 v11, 32, v11
	v_sub_u32_e64 v11, v11, 4 clamp
	v_lshlrev_b32_e32 v13, v11, v10
	v_lshlrev_b32_e32 v11, 23, v11
	v_lshrrev_b32_e32 v13, 4, v13
	v_add_u32_e32 v12, 0x1000000, v10
	v_sub_u32_e32 v11, v13, v11
	v_ashrrev_i32_e32 v12, 8, v12
	v_add_u32_e32 v11, 0x3c000000, v11
	v_and_or_b32 v11, v12, s4, v11
	v_cmp_ne_u32_e32 vcc, 0, v10
	v_cndmask_b32_e32 v10, 0, v11, vcc
	v_and_or_b32 v5, v5, s5, v10
	v_bfe_u32 v10, v10, 16, 1
	v_add3_u32 v10, v5, v10, s6
	v_cmp_o_f32_e32 vcc, v5, v5
	v_mov_b32_e32 v5, 0x7fc0
	v_cndmask_b32_sdwa v10, v5, v10, vcc dst_sel:DWORD dst_unused:UNUSED_PAD src0_sel:DWORD src1_sel:WORD_1
.LBB31_1457:
	s_mov_b64 s[4:5], 0
.LBB31_1458:
	s_andn2_b64 vcc, exec, s[4:5]
	s_cbranch_vccnz .LBB31_1460
; %bb.1459:
	global_load_ubyte v5, v[8:9], off
	s_movk_i32 s4, 0x7f00
	s_brev_b32 s5, 16
	s_brev_b32 s6, 1
	s_movk_i32 s7, 0x7fff
	s_waitcnt vmcnt(0)
	v_lshlrev_b16_e32 v10, 8, v5
	v_lshlrev_b32_e32 v5, 25, v5
	v_lshrrev_b32_e32 v11, 4, v5
	v_and_or_b32 v12, v10, s4, 0.5
	v_or_b32_e32 v11, 0x70000000, v11
	v_add_f32_e32 v12, -0.5, v12
	v_mul_f32_e32 v11, 0x7800000, v11
	v_cmp_gt_u32_e32 vcc, s5, v5
	v_bfe_i32 v10, v10, 0, 16
	v_cndmask_b32_e32 v5, v11, v12, vcc
	v_and_or_b32 v10, v10, s6, v5
	v_bfe_u32 v5, v5, 16, 1
	v_add3_u32 v5, v10, v5, s7
	v_cmp_o_f32_e32 vcc, v10, v10
	v_mov_b32_e32 v10, 0x7fc0
	v_cndmask_b32_sdwa v10, v10, v5, vcc dst_sel:DWORD dst_unused:UNUSED_PAD src0_sel:DWORD src1_sel:WORD_1
.LBB31_1460:
	s_mov_b64 s[4:5], 0
	s_mov_b64 s[6:7], -1
.LBB31_1461:
	s_andn2_b64 vcc, exec, s[4:5]
	s_mov_b64 s[4:5], 0
	s_cbranch_vccnz .LBB31_1472
; %bb.1462:
	s_cmp_gt_i32 s17, 14
	s_cbranch_scc0 .LBB31_1465
; %bb.1463:
	s_cmp_eq_u32 s17, 15
	s_cbranch_scc0 .LBB31_1468
; %bb.1464:
	global_load_ushort v10, v[8:9], off
	s_mov_b64 s[0:1], 0
	s_mov_b64 s[6:7], -1
	s_branch .LBB31_1469
.LBB31_1465:
	s_mov_b64 s[12:13], -1
                                        ; implicit-def: $vgpr10
	s_branch .LBB31_1470
.LBB31_1466:
	s_or_saveexec_b64 s[6:7], s[6:7]
	v_mov_b32_e32 v10, 0x7f800001
	s_xor_b64 exec, exec, s[6:7]
	s_cbranch_execz .LBB31_1447
.LBB31_1467:
	v_cmp_ne_u16_e32 vcc, 0, v5
	s_andn2_b64 s[4:5], s[4:5], exec
	s_and_b64 s[12:13], vcc, exec
	v_mov_b32_e32 v10, 0
	s_or_b64 s[4:5], s[4:5], s[12:13]
	s_or_b64 exec, exec, s[6:7]
	s_and_saveexec_b64 s[6:7], s[4:5]
	s_cbranch_execnz .LBB31_1448
	s_branch .LBB31_1449
.LBB31_1468:
	s_mov_b64 s[0:1], -1
                                        ; implicit-def: $vgpr10
.LBB31_1469:
	s_mov_b64 s[12:13], 0
.LBB31_1470:
	s_and_b64 vcc, exec, s[12:13]
	s_cbranch_vccz .LBB31_1472
; %bb.1471:
	s_cmp_lg_u32 s17, 11
	s_mov_b64 s[4:5], -1
	s_cselect_b64 s[0:1], -1, 0
.LBB31_1472:
	s_and_b64 vcc, exec, s[0:1]
	s_cbranch_vccnz .LBB31_1535
; %bb.1473:
	s_andn2_b64 vcc, exec, s[4:5]
	s_cbranch_vccnz .LBB31_1475
.LBB31_1474:
	global_load_ubyte v5, v[8:9], off
	s_mov_b64 s[6:7], -1
	s_waitcnt vmcnt(0)
	v_cmp_ne_u16_e32 vcc, 0, v5
	v_cndmask_b32_e64 v5, 0, 1.0, vcc
	v_lshrrev_b32_e32 v10, 16, v5
.LBB31_1475:
	s_branch .LBB31_1403
.LBB31_1476:
	s_cmp_lt_i32 s17, 5
	s_cbranch_scc1 .LBB31_1481
; %bb.1477:
	s_cmp_lt_i32 s17, 8
	s_cbranch_scc1 .LBB31_1482
; %bb.1478:
	;; [unrolled: 3-line block ×3, first 2 shown]
	s_cmp_gt_i32 s17, 9
	s_cbranch_scc0 .LBB31_1484
; %bb.1480:
	global_load_dwordx2 v[10:11], v[8:9], off
	s_movk_i32 s0, 0x7fff
	s_waitcnt vmcnt(0)
	v_cvt_f32_f64_e32 v5, v[10:11]
	v_mov_b32_e32 v10, 0x7fc0
	v_bfe_u32 v11, v5, 16, 1
	v_cmp_o_f32_e32 vcc, v5, v5
	v_add3_u32 v5, v5, v11, s0
	v_cndmask_b32_sdwa v10, v10, v5, vcc dst_sel:DWORD dst_unused:UNUSED_PAD src0_sel:DWORD src1_sel:WORD_1
	s_mov_b64 s[0:1], 0
	s_branch .LBB31_1485
.LBB31_1481:
	s_mov_b64 s[0:1], -1
                                        ; implicit-def: $vgpr10
	s_branch .LBB31_1503
.LBB31_1482:
	s_mov_b64 s[0:1], -1
                                        ; implicit-def: $vgpr10
	s_branch .LBB31_1491
.LBB31_1483:
	s_mov_b64 s[0:1], -1
                                        ; implicit-def: $vgpr10
	s_branch .LBB31_1488
.LBB31_1484:
	s_mov_b64 s[0:1], -1
                                        ; implicit-def: $vgpr10
.LBB31_1485:
	s_andn2_b64 vcc, exec, s[0:1]
	s_cbranch_vccnz .LBB31_1487
; %bb.1486:
	global_load_dword v5, v[8:9], off
	s_movk_i32 s0, 0x7fff
	s_waitcnt vmcnt(1)
	v_mov_b32_e32 v10, 0x7fc0
	s_waitcnt vmcnt(0)
	v_bfe_u32 v11, v5, 16, 1
	v_cmp_o_f32_e32 vcc, v5, v5
	v_add3_u32 v5, v5, v11, s0
	v_cndmask_b32_sdwa v10, v10, v5, vcc dst_sel:DWORD dst_unused:UNUSED_PAD src0_sel:DWORD src1_sel:WORD_1
.LBB31_1487:
	s_mov_b64 s[0:1], 0
.LBB31_1488:
	s_andn2_b64 vcc, exec, s[0:1]
	s_cbranch_vccnz .LBB31_1490
; %bb.1489:
	global_load_dword v5, v[8:9], off
	s_movk_i32 s0, 0x7fff
	v_mov_b32_e32 v11, 0x7fc0
	s_waitcnt vmcnt(0)
	v_cvt_f32_f16_e32 v10, v5
	v_cmp_o_f16_e32 vcc, v5, v5
	v_bfe_u32 v5, v10, 16, 1
	v_add3_u32 v5, v10, v5, s0
	v_cndmask_b32_sdwa v10, v11, v5, vcc dst_sel:DWORD dst_unused:UNUSED_PAD src0_sel:DWORD src1_sel:WORD_1
.LBB31_1490:
	s_mov_b64 s[0:1], 0
.LBB31_1491:
	s_andn2_b64 vcc, exec, s[0:1]
	s_cbranch_vccnz .LBB31_1502
; %bb.1492:
	s_cmp_lt_i32 s17, 6
	s_cbranch_scc1 .LBB31_1495
; %bb.1493:
	s_cmp_gt_i32 s17, 6
	s_cbranch_scc0 .LBB31_1496
; %bb.1494:
	global_load_dwordx2 v[10:11], v[8:9], off
	s_movk_i32 s0, 0x7fff
	s_waitcnt vmcnt(0)
	v_cvt_f32_f64_e32 v5, v[10:11]
	v_mov_b32_e32 v10, 0x7fc0
	v_bfe_u32 v11, v5, 16, 1
	v_cmp_o_f32_e32 vcc, v5, v5
	v_add3_u32 v5, v5, v11, s0
	v_cndmask_b32_sdwa v10, v10, v5, vcc dst_sel:DWORD dst_unused:UNUSED_PAD src0_sel:DWORD src1_sel:WORD_1
	s_mov_b64 s[0:1], 0
	s_branch .LBB31_1497
.LBB31_1495:
	s_mov_b64 s[0:1], -1
                                        ; implicit-def: $vgpr10
	s_branch .LBB31_1500
.LBB31_1496:
	s_mov_b64 s[0:1], -1
                                        ; implicit-def: $vgpr10
.LBB31_1497:
	s_andn2_b64 vcc, exec, s[0:1]
	s_cbranch_vccnz .LBB31_1499
; %bb.1498:
	global_load_dword v5, v[8:9], off
	s_movk_i32 s0, 0x7fff
	s_waitcnt vmcnt(1)
	v_mov_b32_e32 v10, 0x7fc0
	s_waitcnt vmcnt(0)
	v_bfe_u32 v11, v5, 16, 1
	v_cmp_o_f32_e32 vcc, v5, v5
	v_add3_u32 v5, v5, v11, s0
	v_cndmask_b32_sdwa v10, v10, v5, vcc dst_sel:DWORD dst_unused:UNUSED_PAD src0_sel:DWORD src1_sel:WORD_1
.LBB31_1499:
	s_mov_b64 s[0:1], 0
.LBB31_1500:
	s_andn2_b64 vcc, exec, s[0:1]
	s_cbranch_vccnz .LBB31_1502
; %bb.1501:
	global_load_ushort v5, v[8:9], off
	s_movk_i32 s0, 0x7fff
	v_mov_b32_e32 v11, 0x7fc0
	s_waitcnt vmcnt(0)
	v_cvt_f32_f16_e32 v10, v5
	v_cmp_o_f16_e32 vcc, v5, v5
	v_bfe_u32 v5, v10, 16, 1
	v_add3_u32 v5, v10, v5, s0
	v_cndmask_b32_sdwa v10, v11, v5, vcc dst_sel:DWORD dst_unused:UNUSED_PAD src0_sel:DWORD src1_sel:WORD_1
.LBB31_1502:
	s_mov_b64 s[0:1], 0
.LBB31_1503:
	s_andn2_b64 vcc, exec, s[0:1]
	s_cbranch_vccnz .LBB31_1523
; %bb.1504:
	s_cmp_lt_i32 s17, 2
	s_cbranch_scc1 .LBB31_1508
; %bb.1505:
	s_cmp_lt_i32 s17, 3
	s_cbranch_scc1 .LBB31_1509
; %bb.1506:
	s_cmp_gt_i32 s17, 3
	s_cbranch_scc0 .LBB31_1510
; %bb.1507:
	global_load_dwordx2 v[10:11], v[8:9], off
	s_movk_i32 s0, 0x7fff
	s_waitcnt vmcnt(0)
	v_xor_b32_e32 v12, v10, v11
	v_ffbh_i32_e32 v5, v11
	v_ashrrev_i32_e32 v12, 31, v12
	v_add_u32_e32 v5, -1, v5
	v_add_u32_e32 v12, 32, v12
	v_min_u32_e32 v5, v5, v12
	v_lshlrev_b64 v[10:11], v5, v[10:11]
	v_sub_u32_e32 v5, 32, v5
	v_min_u32_e32 v10, 1, v10
	v_or_b32_e32 v10, v11, v10
	v_cvt_f32_i32_e32 v10, v10
	v_ldexp_f32 v5, v10, v5
	v_bfe_u32 v10, v5, 16, 1
	v_add3_u32 v5, v5, v10, s0
	v_lshrrev_b32_e32 v10, 16, v5
	s_mov_b64 s[0:1], 0
	s_branch .LBB31_1511
.LBB31_1508:
	s_mov_b64 s[0:1], -1
                                        ; implicit-def: $vgpr10
	s_branch .LBB31_1517
.LBB31_1509:
	s_mov_b64 s[0:1], -1
                                        ; implicit-def: $vgpr10
	s_branch .LBB31_1514
.LBB31_1510:
	s_mov_b64 s[0:1], -1
                                        ; implicit-def: $vgpr10
.LBB31_1511:
	s_andn2_b64 vcc, exec, s[0:1]
	s_cbranch_vccnz .LBB31_1513
; %bb.1512:
	global_load_dword v5, v[8:9], off
	s_movk_i32 s0, 0x7fff
	s_waitcnt vmcnt(0)
	v_cvt_f32_i32_e32 v5, v5
	v_bfe_u32 v10, v5, 16, 1
	v_add3_u32 v5, v5, v10, s0
	v_lshrrev_b32_e32 v10, 16, v5
.LBB31_1513:
	s_mov_b64 s[0:1], 0
.LBB31_1514:
	s_andn2_b64 vcc, exec, s[0:1]
	s_cbranch_vccnz .LBB31_1516
; %bb.1515:
	global_load_sshort v5, v[8:9], off
	s_movk_i32 s0, 0x7fff
	s_waitcnt vmcnt(0)
	v_cvt_f32_i32_e32 v5, v5
	v_bfe_u32 v10, v5, 16, 1
	v_add3_u32 v5, v5, v10, s0
	v_lshrrev_b32_e32 v10, 16, v5
.LBB31_1516:
	s_mov_b64 s[0:1], 0
.LBB31_1517:
	s_andn2_b64 vcc, exec, s[0:1]
	s_cbranch_vccnz .LBB31_1523
; %bb.1518:
	s_cmp_gt_i32 s17, 0
	s_cbranch_scc0 .LBB31_1520
; %bb.1519:
	global_load_sbyte v5, v[8:9], off
	s_movk_i32 s0, 0x7fff
	s_waitcnt vmcnt(0)
	v_cvt_f32_i32_e32 v5, v5
	v_bfe_u32 v10, v5, 16, 1
	v_add3_u32 v5, v5, v10, s0
	v_lshrrev_b32_e32 v10, 16, v5
	s_mov_b64 s[0:1], 0
	s_branch .LBB31_1521
.LBB31_1520:
	s_mov_b64 s[0:1], -1
                                        ; implicit-def: $vgpr10
.LBB31_1521:
	s_andn2_b64 vcc, exec, s[0:1]
	s_cbranch_vccnz .LBB31_1523
; %bb.1522:
	global_load_ubyte v5, v[8:9], off
	s_movk_i32 s0, 0x7fff
	s_waitcnt vmcnt(0)
	v_cvt_f32_ubyte0_e32 v5, v5
	v_bfe_u32 v8, v5, 16, 1
	v_add3_u32 v5, v5, v8, s0
	v_lshrrev_b32_e32 v10, 16, v5
.LBB31_1523:
.LBB31_1524:
	v_mov_b32_e32 v5, s11
	v_add_co_u32_e32 v7, vcc, s10, v7
	s_cmp_lt_i32 s17, 11
	v_addc_co_u32_e32 v8, vcc, 0, v5, vcc
	s_cbranch_scc1 .LBB31_1531
; %bb.1525:
	s_cmp_gt_i32 s17, 25
	s_mov_b64 s[4:5], 0
	s_cbranch_scc0 .LBB31_1532
; %bb.1526:
	s_cmp_gt_i32 s17, 28
	s_cbranch_scc0 .LBB31_1533
; %bb.1527:
	s_cmp_gt_i32 s17, 43
	;; [unrolled: 3-line block ×3, first 2 shown]
	s_cbranch_scc0 .LBB31_1536
; %bb.1529:
	s_cmp_eq_u32 s17, 46
	s_mov_b64 s[10:11], 0
	s_cbranch_scc0 .LBB31_1537
; %bb.1530:
	global_load_dword v9, v[7:8], off
	s_mov_b64 s[0:1], 0
	s_mov_b64 s[6:7], -1
	s_branch .LBB31_1538
.LBB31_1531:
	s_mov_b64 s[0:1], -1
	s_mov_b64 s[6:7], 0
                                        ; implicit-def: $vgpr9
	s_branch .LBB31_1604
.LBB31_1532:
	s_mov_b64 s[10:11], -1
	s_mov_b64 s[6:7], 0
	s_mov_b64 s[0:1], 0
                                        ; implicit-def: $vgpr9
	s_branch .LBB31_1567
.LBB31_1533:
	s_mov_b64 s[10:11], -1
	s_mov_b64 s[6:7], 0
	s_mov_b64 s[0:1], 0
                                        ; implicit-def: $vgpr9
	s_branch .LBB31_1548
.LBB31_1534:
	s_mov_b64 s[10:11], -1
	s_mov_b64 s[6:7], 0
	s_mov_b64 s[0:1], 0
                                        ; implicit-def: $vgpr9
	s_branch .LBB31_1543
.LBB31_1535:
	s_trap 2
	s_or_b64 s[2:3], s[2:3], exec
	s_cbranch_execz .LBB31_1474
	s_branch .LBB31_1475
.LBB31_1536:
	s_mov_b64 s[10:11], -1
	s_mov_b64 s[6:7], 0
	s_mov_b64 s[0:1], 0
                                        ; implicit-def: $vgpr9
	s_branch .LBB31_1538
.LBB31_1537:
	s_mov_b64 s[0:1], -1
                                        ; implicit-def: $vgpr9
	s_mov_b64 s[6:7], 0
.LBB31_1538:
	s_and_b64 vcc, exec, s[10:11]
	s_cbranch_vccz .LBB31_1542
; %bb.1539:
	s_cmp_eq_u32 s17, 44
	s_cbranch_scc0 .LBB31_1541
; %bb.1540:
	global_load_ubyte v5, v[7:8], off
	s_movk_i32 s6, 0xff
	s_waitcnt vmcnt(1)
	v_mov_b32_e32 v9, 0x7f800001
	v_mov_b32_e32 v11, 0x400000
	;; [unrolled: 1-line block ×3, first 2 shown]
	s_mov_b64 s[0:1], 0
	s_waitcnt vmcnt(0)
	v_lshlrev_b32_e32 v13, 23, v5
	v_cmp_ne_u32_e32 vcc, s6, v5
	v_cndmask_b32_e32 v9, v9, v13, vcc
	v_cmp_ne_u32_e32 vcc, 0, v5
	v_cndmask_b32_e32 v5, v11, v9, vcc
	v_add_u32_e32 v9, 0x7fff, v5
	v_cmp_o_f32_e32 vcc, v5, v5
	v_cndmask_b32_sdwa v9, v12, v9, vcc dst_sel:DWORD dst_unused:UNUSED_PAD src0_sel:DWORD src1_sel:WORD_1
	s_mov_b64 s[6:7], -1
	s_branch .LBB31_1542
.LBB31_1541:
	s_mov_b64 s[0:1], -1
                                        ; implicit-def: $vgpr9
.LBB31_1542:
	s_mov_b64 s[10:11], 0
.LBB31_1543:
	s_and_b64 vcc, exec, s[10:11]
	s_cbranch_vccz .LBB31_1547
; %bb.1544:
	s_cmp_eq_u32 s17, 29
	s_cbranch_scc0 .LBB31_1546
; %bb.1545:
	global_load_dwordx2 v[11:12], v[7:8], off
	s_movk_i32 s6, 0x7fff
	s_mov_b64 s[0:1], 0
	s_mov_b64 s[10:11], 0
	s_waitcnt vmcnt(0)
	v_ffbh_u32_e32 v5, v12
	v_min_u32_e32 v5, 32, v5
	v_lshlrev_b64 v[11:12], v5, v[11:12]
	v_sub_u32_e32 v5, 32, v5
	v_min_u32_e32 v9, 1, v11
	v_or_b32_e32 v9, v12, v9
	v_cvt_f32_u32_e32 v9, v9
	v_ldexp_f32 v5, v9, v5
	v_bfe_u32 v9, v5, 16, 1
	v_add3_u32 v5, v5, v9, s6
	v_lshrrev_b32_e32 v9, 16, v5
	s_mov_b64 s[6:7], -1
	s_branch .LBB31_1548
.LBB31_1546:
	s_mov_b64 s[0:1], -1
                                        ; implicit-def: $vgpr9
.LBB31_1547:
	s_mov_b64 s[10:11], 0
.LBB31_1548:
	s_and_b64 vcc, exec, s[10:11]
	s_cbranch_vccz .LBB31_1566
; %bb.1549:
	s_cmp_lt_i32 s17, 27
	s_cbranch_scc1 .LBB31_1552
; %bb.1550:
	s_cmp_gt_i32 s17, 27
	s_cbranch_scc0 .LBB31_1553
; %bb.1551:
	global_load_dword v5, v[7:8], off
	s_movk_i32 s6, 0x7fff
	s_waitcnt vmcnt(0)
	v_cvt_f32_u32_e32 v5, v5
	v_bfe_u32 v9, v5, 16, 1
	v_add3_u32 v5, v5, v9, s6
	v_lshrrev_b32_e32 v9, 16, v5
	s_mov_b64 s[6:7], 0
	s_branch .LBB31_1554
.LBB31_1552:
	s_mov_b64 s[6:7], -1
                                        ; implicit-def: $vgpr9
	s_branch .LBB31_1557
.LBB31_1553:
	s_mov_b64 s[6:7], -1
                                        ; implicit-def: $vgpr9
.LBB31_1554:
	s_andn2_b64 vcc, exec, s[6:7]
	s_cbranch_vccnz .LBB31_1556
; %bb.1555:
	global_load_ushort v5, v[7:8], off
	s_movk_i32 s6, 0x7fff
	s_waitcnt vmcnt(0)
	v_cvt_f32_u32_e32 v5, v5
	v_bfe_u32 v9, v5, 16, 1
	v_add3_u32 v5, v5, v9, s6
	v_lshrrev_b32_e32 v9, 16, v5
.LBB31_1556:
	s_mov_b64 s[6:7], 0
.LBB31_1557:
	s_andn2_b64 vcc, exec, s[6:7]
	s_cbranch_vccnz .LBB31_1565
; %bb.1558:
	global_load_ubyte v5, v[7:8], off
	s_movk_i32 s6, 0x7f
	s_waitcnt vmcnt(0)
	v_cmp_lt_i16_e32 vcc, s6, v5
	s_mov_b64 s[6:7], 0
	s_and_saveexec_b64 s[10:11], vcc
	s_xor_b64 s[10:11], exec, s[10:11]
	s_cbranch_execz .LBB31_1579
; %bb.1559:
	s_movk_i32 s6, 0x80
	v_cmp_eq_u16_e32 vcc, s6, v5
	s_mov_b64 s[6:7], -1
	s_and_saveexec_b64 s[12:13], vcc
; %bb.1560:
	s_xor_b64 s[6:7], exec, -1
; %bb.1561:
	s_or_b64 exec, exec, s[12:13]
	s_and_b64 s[6:7], s[6:7], exec
	s_or_saveexec_b64 s[10:11], s[10:11]
	v_mov_b32_e32 v9, 0x7f800001
	s_xor_b64 exec, exec, s[10:11]
	s_cbranch_execnz .LBB31_1580
.LBB31_1562:
	s_or_b64 exec, exec, s[10:11]
	s_and_saveexec_b64 s[10:11], s[6:7]
	s_cbranch_execz .LBB31_1564
.LBB31_1563:
	v_lshlrev_b32_e32 v9, 24, v5
	v_and_b32_e32 v5, 0xffff, v5
	v_and_b32_e32 v11, 7, v5
	v_ffbh_u32_e32 v13, v11
	v_min_u32_e32 v13, 32, v13
	v_subrev_u32_e32 v14, 28, v13
	v_bfe_u32 v12, v5, 3, 4
	v_lshlrev_b32_e32 v5, v14, v5
	v_sub_u32_e32 v13, 29, v13
	v_and_b32_e32 v5, 7, v5
	v_cmp_eq_u32_e32 vcc, 0, v12
	v_cndmask_b32_e32 v12, v12, v13, vcc
	v_cndmask_b32_e32 v5, v11, v5, vcc
	v_mov_b32_e32 v11, 0x3b800000
	v_lshlrev_b32_e32 v5, 20, v5
	v_and_b32_e32 v9, 0x80000000, v9
	v_lshl_add_u32 v11, v12, 23, v11
	v_or3_b32 v9, v9, v11, v5
.LBB31_1564:
	s_or_b64 exec, exec, s[10:11]
	v_bfe_u32 v5, v9, 16, 1
	s_movk_i32 s6, 0x7fff
	v_add3_u32 v5, v9, v5, s6
	v_cmp_o_f32_e32 vcc, v9, v9
	v_mov_b32_e32 v9, 0x7fc0
	v_cndmask_b32_sdwa v9, v9, v5, vcc dst_sel:DWORD dst_unused:UNUSED_PAD src0_sel:DWORD src1_sel:WORD_1
.LBB31_1565:
	s_mov_b64 s[6:7], -1
.LBB31_1566:
	s_mov_b64 s[10:11], 0
.LBB31_1567:
	s_and_b64 vcc, exec, s[10:11]
	s_cbranch_vccz .LBB31_1600
; %bb.1568:
	s_cmp_gt_i32 s17, 22
	s_cbranch_scc0 .LBB31_1578
; %bb.1569:
	s_cmp_lt_i32 s17, 24
	s_cbranch_scc1 .LBB31_1581
; %bb.1570:
	s_cmp_gt_i32 s17, 24
	s_cbranch_scc0 .LBB31_1582
; %bb.1571:
	global_load_ubyte v5, v[7:8], off
	s_movk_i32 s4, 0x7f
	s_waitcnt vmcnt(0)
	v_cmp_lt_i16_e32 vcc, s4, v5
	s_mov_b64 s[4:5], 0
	s_and_saveexec_b64 s[6:7], vcc
	s_xor_b64 s[6:7], exec, s[6:7]
	s_cbranch_execz .LBB31_1594
; %bb.1572:
	s_movk_i32 s4, 0x80
	v_cmp_eq_u16_e32 vcc, s4, v5
	s_mov_b64 s[4:5], -1
	s_and_saveexec_b64 s[10:11], vcc
; %bb.1573:
	s_xor_b64 s[4:5], exec, -1
; %bb.1574:
	s_or_b64 exec, exec, s[10:11]
	s_and_b64 s[4:5], s[4:5], exec
	s_or_saveexec_b64 s[6:7], s[6:7]
	v_mov_b32_e32 v9, 0x7f800001
	s_xor_b64 exec, exec, s[6:7]
	s_cbranch_execnz .LBB31_1595
.LBB31_1575:
	s_or_b64 exec, exec, s[6:7]
	s_and_saveexec_b64 s[6:7], s[4:5]
	s_cbranch_execz .LBB31_1577
.LBB31_1576:
	v_lshlrev_b32_e32 v9, 24, v5
	v_and_b32_e32 v5, 0xffff, v5
	v_and_b32_e32 v11, 3, v5
	v_ffbh_u32_e32 v13, v11
	v_min_u32_e32 v13, 32, v13
	v_subrev_u32_e32 v14, 29, v13
	v_bfe_u32 v12, v5, 2, 5
	v_lshlrev_b32_e32 v5, v14, v5
	v_sub_u32_e32 v13, 30, v13
	v_and_b32_e32 v5, 3, v5
	v_cmp_eq_u32_e32 vcc, 0, v12
	v_cndmask_b32_e32 v12, v12, v13, vcc
	v_cndmask_b32_e32 v5, v11, v5, vcc
	v_mov_b32_e32 v11, 0x37800000
	v_lshlrev_b32_e32 v5, 21, v5
	v_and_b32_e32 v9, 0x80000000, v9
	v_lshl_add_u32 v11, v12, 23, v11
	v_or3_b32 v9, v9, v11, v5
.LBB31_1577:
	s_or_b64 exec, exec, s[6:7]
	v_bfe_u32 v5, v9, 16, 1
	s_movk_i32 s4, 0x7fff
	v_add3_u32 v5, v9, v5, s4
	v_cmp_o_f32_e32 vcc, v9, v9
	v_mov_b32_e32 v9, 0x7fc0
	v_cndmask_b32_sdwa v9, v9, v5, vcc dst_sel:DWORD dst_unused:UNUSED_PAD src0_sel:DWORD src1_sel:WORD_1
	s_mov_b64 s[4:5], 0
	s_branch .LBB31_1583
.LBB31_1578:
	s_mov_b64 s[4:5], -1
                                        ; implicit-def: $vgpr9
	s_branch .LBB31_1589
.LBB31_1579:
	s_or_saveexec_b64 s[10:11], s[10:11]
	v_mov_b32_e32 v9, 0x7f800001
	s_xor_b64 exec, exec, s[10:11]
	s_cbranch_execz .LBB31_1562
.LBB31_1580:
	v_cmp_ne_u16_e32 vcc, 0, v5
	s_andn2_b64 s[6:7], s[6:7], exec
	s_and_b64 s[12:13], vcc, exec
	v_mov_b32_e32 v9, 0
	s_or_b64 s[6:7], s[6:7], s[12:13]
	s_or_b64 exec, exec, s[10:11]
	s_and_saveexec_b64 s[10:11], s[6:7]
	s_cbranch_execnz .LBB31_1563
	s_branch .LBB31_1564
.LBB31_1581:
	s_mov_b64 s[4:5], -1
                                        ; implicit-def: $vgpr9
	s_branch .LBB31_1586
.LBB31_1582:
	s_mov_b64 s[4:5], -1
                                        ; implicit-def: $vgpr9
.LBB31_1583:
	s_and_b64 vcc, exec, s[4:5]
	s_cbranch_vccz .LBB31_1585
; %bb.1584:
	global_load_ubyte v5, v[7:8], off
	s_mov_b32 s4, 0x7f800000
	s_brev_b32 s5, 1
	s_movk_i32 s6, 0x7fff
	s_waitcnt vmcnt(0)
	v_lshlrev_b32_e32 v5, 24, v5
	v_and_b32_e32 v9, 0x7f000000, v5
	v_ffbh_u32_e32 v11, v9
	v_min_u32_e32 v11, 32, v11
	v_sub_u32_e64 v11, v11, 4 clamp
	v_lshlrev_b32_e32 v13, v11, v9
	v_lshlrev_b32_e32 v11, 23, v11
	v_lshrrev_b32_e32 v13, 4, v13
	v_add_u32_e32 v12, 0x1000000, v9
	v_sub_u32_e32 v11, v13, v11
	v_ashrrev_i32_e32 v12, 8, v12
	v_add_u32_e32 v11, 0x3c000000, v11
	v_and_or_b32 v11, v12, s4, v11
	v_cmp_ne_u32_e32 vcc, 0, v9
	v_cndmask_b32_e32 v9, 0, v11, vcc
	v_and_or_b32 v5, v5, s5, v9
	v_bfe_u32 v9, v9, 16, 1
	v_add3_u32 v9, v5, v9, s6
	v_cmp_o_f32_e32 vcc, v5, v5
	v_mov_b32_e32 v5, 0x7fc0
	v_cndmask_b32_sdwa v9, v5, v9, vcc dst_sel:DWORD dst_unused:UNUSED_PAD src0_sel:DWORD src1_sel:WORD_1
.LBB31_1585:
	s_mov_b64 s[4:5], 0
.LBB31_1586:
	s_andn2_b64 vcc, exec, s[4:5]
	s_cbranch_vccnz .LBB31_1588
; %bb.1587:
	global_load_ubyte v5, v[7:8], off
	s_movk_i32 s4, 0x7f00
	s_brev_b32 s5, 16
	s_brev_b32 s6, 1
	s_movk_i32 s7, 0x7fff
	s_waitcnt vmcnt(0)
	v_lshlrev_b16_e32 v9, 8, v5
	v_lshlrev_b32_e32 v5, 25, v5
	v_lshrrev_b32_e32 v11, 4, v5
	v_and_or_b32 v12, v9, s4, 0.5
	v_or_b32_e32 v11, 0x70000000, v11
	v_add_f32_e32 v12, -0.5, v12
	v_mul_f32_e32 v11, 0x7800000, v11
	v_cmp_gt_u32_e32 vcc, s5, v5
	v_bfe_i32 v9, v9, 0, 16
	v_cndmask_b32_e32 v5, v11, v12, vcc
	v_and_or_b32 v9, v9, s6, v5
	v_bfe_u32 v5, v5, 16, 1
	v_add3_u32 v5, v9, v5, s7
	v_cmp_o_f32_e32 vcc, v9, v9
	v_mov_b32_e32 v9, 0x7fc0
	v_cndmask_b32_sdwa v9, v9, v5, vcc dst_sel:DWORD dst_unused:UNUSED_PAD src0_sel:DWORD src1_sel:WORD_1
.LBB31_1588:
	s_mov_b64 s[4:5], 0
	s_mov_b64 s[6:7], -1
.LBB31_1589:
	s_andn2_b64 vcc, exec, s[4:5]
	s_mov_b64 s[4:5], 0
	s_cbranch_vccnz .LBB31_1600
; %bb.1590:
	s_cmp_gt_i32 s17, 14
	s_cbranch_scc0 .LBB31_1593
; %bb.1591:
	s_cmp_eq_u32 s17, 15
	s_cbranch_scc0 .LBB31_1596
; %bb.1592:
	global_load_ushort v9, v[7:8], off
	s_mov_b64 s[0:1], 0
	s_mov_b64 s[6:7], -1
	s_branch .LBB31_1597
.LBB31_1593:
	s_mov_b64 s[10:11], -1
                                        ; implicit-def: $vgpr9
	s_branch .LBB31_1598
.LBB31_1594:
	s_or_saveexec_b64 s[6:7], s[6:7]
	v_mov_b32_e32 v9, 0x7f800001
	s_xor_b64 exec, exec, s[6:7]
	s_cbranch_execz .LBB31_1575
.LBB31_1595:
	v_cmp_ne_u16_e32 vcc, 0, v5
	s_andn2_b64 s[4:5], s[4:5], exec
	s_and_b64 s[10:11], vcc, exec
	v_mov_b32_e32 v9, 0
	s_or_b64 s[4:5], s[4:5], s[10:11]
	s_or_b64 exec, exec, s[6:7]
	s_and_saveexec_b64 s[6:7], s[4:5]
	s_cbranch_execnz .LBB31_1576
	s_branch .LBB31_1577
.LBB31_1596:
	s_mov_b64 s[0:1], -1
                                        ; implicit-def: $vgpr9
.LBB31_1597:
	s_mov_b64 s[10:11], 0
.LBB31_1598:
	s_and_b64 vcc, exec, s[10:11]
	s_cbranch_vccz .LBB31_1600
; %bb.1599:
	s_cmp_lg_u32 s17, 11
	s_mov_b64 s[4:5], -1
	s_cselect_b64 s[0:1], -1, 0
.LBB31_1600:
	s_and_b64 vcc, exec, s[0:1]
	s_cbranch_vccnz .LBB31_2133
; %bb.1601:
	s_andn2_b64 vcc, exec, s[4:5]
	s_cbranch_vccnz .LBB31_1603
.LBB31_1602:
	global_load_ubyte v5, v[7:8], off
	s_mov_b64 s[6:7], -1
	s_waitcnt vmcnt(0)
	v_cmp_ne_u16_e32 vcc, 0, v5
	v_cndmask_b32_e64 v5, 0, 1.0, vcc
	v_lshrrev_b32_e32 v9, 16, v5
.LBB31_1603:
	s_mov_b64 s[0:1], 0
.LBB31_1604:
	s_and_b64 vcc, exec, s[0:1]
	s_cbranch_vccz .LBB31_1653
; %bb.1605:
	s_cmp_lt_i32 s17, 5
	s_cbranch_scc1 .LBB31_1610
; %bb.1606:
	s_cmp_lt_i32 s17, 8
	s_cbranch_scc1 .LBB31_1611
; %bb.1607:
	s_cmp_lt_i32 s17, 9
	s_cbranch_scc1 .LBB31_1612
; %bb.1608:
	s_cmp_gt_i32 s17, 9
	s_cbranch_scc0 .LBB31_1613
; %bb.1609:
	global_load_dwordx2 v[11:12], v[7:8], off
	s_movk_i32 s0, 0x7fff
	s_waitcnt vmcnt(1)
	v_mov_b32_e32 v9, 0x7fc0
	s_waitcnt vmcnt(0)
	v_cvt_f32_f64_e32 v5, v[11:12]
	v_bfe_u32 v11, v5, 16, 1
	v_cmp_o_f32_e32 vcc, v5, v5
	v_add3_u32 v5, v5, v11, s0
	v_cndmask_b32_sdwa v9, v9, v5, vcc dst_sel:DWORD dst_unused:UNUSED_PAD src0_sel:DWORD src1_sel:WORD_1
	s_mov_b64 s[0:1], 0
	s_branch .LBB31_1614
.LBB31_1610:
	s_mov_b64 s[0:1], -1
                                        ; implicit-def: $vgpr9
	s_branch .LBB31_1632
.LBB31_1611:
	s_mov_b64 s[0:1], -1
                                        ; implicit-def: $vgpr9
	s_branch .LBB31_1620
.LBB31_1612:
	s_mov_b64 s[0:1], -1
                                        ; implicit-def: $vgpr9
	s_branch .LBB31_1617
.LBB31_1613:
	s_mov_b64 s[0:1], -1
                                        ; implicit-def: $vgpr9
.LBB31_1614:
	s_andn2_b64 vcc, exec, s[0:1]
	s_cbranch_vccnz .LBB31_1616
; %bb.1615:
	global_load_dword v5, v[7:8], off
	s_movk_i32 s0, 0x7fff
	s_waitcnt vmcnt(1)
	v_mov_b32_e32 v9, 0x7fc0
	s_waitcnt vmcnt(0)
	v_bfe_u32 v11, v5, 16, 1
	v_cmp_o_f32_e32 vcc, v5, v5
	v_add3_u32 v5, v5, v11, s0
	v_cndmask_b32_sdwa v9, v9, v5, vcc dst_sel:DWORD dst_unused:UNUSED_PAD src0_sel:DWORD src1_sel:WORD_1
.LBB31_1616:
	s_mov_b64 s[0:1], 0
.LBB31_1617:
	s_andn2_b64 vcc, exec, s[0:1]
	s_cbranch_vccnz .LBB31_1619
; %bb.1618:
	global_load_dword v5, v[7:8], off
	s_movk_i32 s0, 0x7fff
	v_mov_b32_e32 v11, 0x7fc0
	s_waitcnt vmcnt(0)
	v_cvt_f32_f16_e32 v9, v5
	v_cmp_o_f16_e32 vcc, v5, v5
	v_bfe_u32 v5, v9, 16, 1
	v_add3_u32 v5, v9, v5, s0
	v_cndmask_b32_sdwa v9, v11, v5, vcc dst_sel:DWORD dst_unused:UNUSED_PAD src0_sel:DWORD src1_sel:WORD_1
.LBB31_1619:
	s_mov_b64 s[0:1], 0
.LBB31_1620:
	s_andn2_b64 vcc, exec, s[0:1]
	s_cbranch_vccnz .LBB31_1631
; %bb.1621:
	s_cmp_lt_i32 s17, 6
	s_cbranch_scc1 .LBB31_1624
; %bb.1622:
	s_cmp_gt_i32 s17, 6
	s_cbranch_scc0 .LBB31_1625
; %bb.1623:
	global_load_dwordx2 v[11:12], v[7:8], off
	s_movk_i32 s0, 0x7fff
	s_waitcnt vmcnt(1)
	v_mov_b32_e32 v9, 0x7fc0
	s_waitcnt vmcnt(0)
	v_cvt_f32_f64_e32 v5, v[11:12]
	v_bfe_u32 v11, v5, 16, 1
	v_cmp_o_f32_e32 vcc, v5, v5
	v_add3_u32 v5, v5, v11, s0
	v_cndmask_b32_sdwa v9, v9, v5, vcc dst_sel:DWORD dst_unused:UNUSED_PAD src0_sel:DWORD src1_sel:WORD_1
	s_mov_b64 s[0:1], 0
	s_branch .LBB31_1626
.LBB31_1624:
	s_mov_b64 s[0:1], -1
                                        ; implicit-def: $vgpr9
	s_branch .LBB31_1629
.LBB31_1625:
	s_mov_b64 s[0:1], -1
                                        ; implicit-def: $vgpr9
.LBB31_1626:
	s_andn2_b64 vcc, exec, s[0:1]
	s_cbranch_vccnz .LBB31_1628
; %bb.1627:
	global_load_dword v5, v[7:8], off
	s_movk_i32 s0, 0x7fff
	s_waitcnt vmcnt(1)
	v_mov_b32_e32 v9, 0x7fc0
	s_waitcnt vmcnt(0)
	v_bfe_u32 v11, v5, 16, 1
	v_cmp_o_f32_e32 vcc, v5, v5
	v_add3_u32 v5, v5, v11, s0
	v_cndmask_b32_sdwa v9, v9, v5, vcc dst_sel:DWORD dst_unused:UNUSED_PAD src0_sel:DWORD src1_sel:WORD_1
.LBB31_1628:
	s_mov_b64 s[0:1], 0
.LBB31_1629:
	s_andn2_b64 vcc, exec, s[0:1]
	s_cbranch_vccnz .LBB31_1631
; %bb.1630:
	global_load_ushort v5, v[7:8], off
	s_movk_i32 s0, 0x7fff
	v_mov_b32_e32 v11, 0x7fc0
	s_waitcnt vmcnt(0)
	v_cvt_f32_f16_e32 v9, v5
	v_cmp_o_f16_e32 vcc, v5, v5
	v_bfe_u32 v5, v9, 16, 1
	v_add3_u32 v5, v9, v5, s0
	v_cndmask_b32_sdwa v9, v11, v5, vcc dst_sel:DWORD dst_unused:UNUSED_PAD src0_sel:DWORD src1_sel:WORD_1
.LBB31_1631:
	s_mov_b64 s[0:1], 0
.LBB31_1632:
	s_andn2_b64 vcc, exec, s[0:1]
	s_cbranch_vccnz .LBB31_1652
; %bb.1633:
	s_cmp_lt_i32 s17, 2
	s_cbranch_scc1 .LBB31_1637
; %bb.1634:
	s_cmp_lt_i32 s17, 3
	s_cbranch_scc1 .LBB31_1638
; %bb.1635:
	s_cmp_gt_i32 s17, 3
	s_cbranch_scc0 .LBB31_1639
; %bb.1636:
	global_load_dwordx2 v[11:12], v[7:8], off
	s_movk_i32 s0, 0x7fff
	s_waitcnt vmcnt(0)
	v_xor_b32_e32 v9, v11, v12
	v_ffbh_i32_e32 v5, v12
	v_ashrrev_i32_e32 v9, 31, v9
	v_add_u32_e32 v5, -1, v5
	v_add_u32_e32 v9, 32, v9
	v_min_u32_e32 v5, v5, v9
	v_lshlrev_b64 v[11:12], v5, v[11:12]
	v_sub_u32_e32 v5, 32, v5
	v_min_u32_e32 v9, 1, v11
	v_or_b32_e32 v9, v12, v9
	v_cvt_f32_i32_e32 v9, v9
	v_ldexp_f32 v5, v9, v5
	v_bfe_u32 v9, v5, 16, 1
	v_add3_u32 v5, v5, v9, s0
	v_lshrrev_b32_e32 v9, 16, v5
	s_mov_b64 s[0:1], 0
	s_branch .LBB31_1640
.LBB31_1637:
	s_mov_b64 s[0:1], -1
                                        ; implicit-def: $vgpr9
	s_branch .LBB31_1646
.LBB31_1638:
	s_mov_b64 s[0:1], -1
                                        ; implicit-def: $vgpr9
	s_branch .LBB31_1643
.LBB31_1639:
	s_mov_b64 s[0:1], -1
                                        ; implicit-def: $vgpr9
.LBB31_1640:
	s_andn2_b64 vcc, exec, s[0:1]
	s_cbranch_vccnz .LBB31_1642
; %bb.1641:
	global_load_dword v5, v[7:8], off
	s_movk_i32 s0, 0x7fff
	s_waitcnt vmcnt(0)
	v_cvt_f32_i32_e32 v5, v5
	v_bfe_u32 v9, v5, 16, 1
	v_add3_u32 v5, v5, v9, s0
	v_lshrrev_b32_e32 v9, 16, v5
.LBB31_1642:
	s_mov_b64 s[0:1], 0
.LBB31_1643:
	s_andn2_b64 vcc, exec, s[0:1]
	s_cbranch_vccnz .LBB31_1645
; %bb.1644:
	global_load_sshort v5, v[7:8], off
	s_movk_i32 s0, 0x7fff
	s_waitcnt vmcnt(0)
	v_cvt_f32_i32_e32 v5, v5
	v_bfe_u32 v9, v5, 16, 1
	v_add3_u32 v5, v5, v9, s0
	v_lshrrev_b32_e32 v9, 16, v5
.LBB31_1645:
	s_mov_b64 s[0:1], 0
.LBB31_1646:
	s_andn2_b64 vcc, exec, s[0:1]
	s_cbranch_vccnz .LBB31_1652
; %bb.1647:
	s_cmp_gt_i32 s17, 0
	s_cbranch_scc0 .LBB31_1649
; %bb.1648:
	global_load_sbyte v5, v[7:8], off
	s_movk_i32 s0, 0x7fff
	s_waitcnt vmcnt(0)
	v_cvt_f32_i32_e32 v5, v5
	v_bfe_u32 v9, v5, 16, 1
	v_add3_u32 v5, v5, v9, s0
	v_lshrrev_b32_e32 v9, 16, v5
	s_mov_b64 s[0:1], 0
	s_branch .LBB31_1650
.LBB31_1649:
	s_mov_b64 s[0:1], -1
                                        ; implicit-def: $vgpr9
.LBB31_1650:
	s_andn2_b64 vcc, exec, s[0:1]
	s_cbranch_vccnz .LBB31_1652
; %bb.1651:
	global_load_ubyte v5, v[7:8], off
	s_movk_i32 s0, 0x7fff
	s_waitcnt vmcnt(0)
	v_cvt_f32_ubyte0_e32 v5, v5
	v_bfe_u32 v7, v5, 16, 1
	v_add3_u32 v5, v5, v7, s0
	v_lshrrev_b32_e32 v9, 16, v5
.LBB31_1652:
	s_mov_b64 s[6:7], -1
.LBB31_1653:
	s_andn2_b64 vcc, exec, s[6:7]
	s_cbranch_vccnz .LBB31_2087
; %bb.1654:
	s_load_dword s0, s[34:35], 0x158
	v_mov_b32_e32 v5, 0x7fc00000
	v_lshlrev_b32_e32 v8, 16, v1
	s_bfe_u32 s14, s16, 0x80010
	s_waitcnt lgkmcnt(0)
	s_lshl_b32 s15, s0, 16
	s_xor_b32 s0, s15, 0x80000000
	s_bfe_u32 s1, s0, 0x10010
	s_add_i32 s0, s0, s1
	s_addk_i32 s0, 0x7fff
	s_and_b32 s0, s0, 0xffff0000
	v_mov_b32_e32 v7, s0
	v_cmp_o_f32_e64 vcc, s15, s15
	v_cndmask_b32_e32 v7, v5, v7, vcc
	v_cmp_nle_f32_e32 vcc, v7, v8
	v_cmp_nge_f32_e64 s[0:1], s15, v8
	s_or_b64 vcc, s[0:1], vcc
	v_cndmask_b32_e32 v1, 0, v1, vcc
	v_mov_b32_e32 v8, s9
	v_add_co_u32_e32 v5, vcc, s8, v6
	s_cmp_lt_i32 s14, 11
	v_addc_co_u32_e32 v6, vcc, 0, v8, vcc
	s_cbranch_scc1 .LBB31_1732
; %bb.1655:
	s_and_b32 s17, 0xffff, s14
	s_mov_b64 s[10:11], -1
	s_mov_b64 s[4:5], 0
	s_cmp_gt_i32 s17, 25
	s_mov_b64 s[6:7], 0
	s_mov_b64 s[0:1], 0
	s_cbranch_scc0 .LBB31_1688
; %bb.1656:
	s_cmp_gt_i32 s17, 28
	s_cbranch_scc0 .LBB31_1671
; %bb.1657:
	s_cmp_gt_i32 s17, 43
	;; [unrolled: 3-line block ×3, first 2 shown]
	s_cbranch_scc0 .LBB31_1661
; %bb.1659:
	s_mov_b64 s[0:1], -1
	s_mov_b64 s[10:11], 0
	s_cmp_eq_u32 s17, 46
	s_cbranch_scc0 .LBB31_1661
; %bb.1660:
	v_and_b32_e32 v8, 0xffff, v1
	global_store_dword v[5:6], v8, off
	s_mov_b64 s[0:1], 0
	s_mov_b64 s[6:7], -1
.LBB31_1661:
	s_and_b64 vcc, exec, s[10:11]
	s_cbranch_vccz .LBB31_1666
; %bb.1662:
	s_cmp_eq_u32 s17, 44
	s_mov_b64 s[0:1], -1
	s_cbranch_scc0 .LBB31_1666
; %bb.1663:
	v_and_b32_e32 v11, 0xffff, v1
	v_bfe_u32 v8, v11, 7, 8
	s_movk_i32 s0, 0xff
	v_cmp_ne_u32_e32 vcc, s0, v8
	v_mov_b32_e32 v12, 0xff
	s_and_saveexec_b64 s[6:7], vcc
	s_cbranch_execz .LBB31_1665
; %bb.1664:
	v_lshlrev_b32_e32 v13, 16, v11
	s_mov_b32 s0, 0x3f0000
	v_lshrrev_b32_e32 v12, 7, v11
	v_and_b32_e32 v11, 64, v11
	v_and_or_b32 v8, v13, s0, v8
	v_cmp_ne_u32_e32 vcc, 0, v11
	v_cmp_ne_u32_e64 s[0:1], 0, v8
	s_and_b64 s[0:1], vcc, s[0:1]
	v_cndmask_b32_e64 v8, 0, 1, s[0:1]
	v_add_u32_e32 v12, v12, v8
.LBB31_1665:
	s_or_b64 exec, exec, s[6:7]
	s_mov_b64 s[0:1], 0
	s_mov_b64 s[6:7], -1
	global_store_byte v[5:6], v12, off
.LBB31_1666:
	s_mov_b64 s[10:11], 0
.LBB31_1667:
	s_and_b64 vcc, exec, s[10:11]
	s_cbranch_vccz .LBB31_1670
; %bb.1668:
	s_cmp_eq_u32 s17, 29
	s_mov_b64 s[0:1], -1
	s_cbranch_scc0 .LBB31_1670
; %bb.1669:
	v_lshlrev_b32_e32 v8, 16, v1
	v_trunc_f32_e32 v8, v8
	v_mul_f32_e32 v11, 0x2f800000, v8
	v_floor_f32_e32 v11, v11
	v_fmac_f32_e32 v8, 0xcf800000, v11
	v_cvt_u32_f32_e32 v12, v11
	v_cvt_u32_f32_e32 v11, v8
	s_mov_b64 s[0:1], 0
	s_mov_b64 s[6:7], -1
	global_store_dwordx2 v[5:6], v[11:12], off
.LBB31_1670:
	s_mov_b64 s[10:11], 0
.LBB31_1671:
	s_and_b64 vcc, exec, s[10:11]
	s_cbranch_vccz .LBB31_1687
; %bb.1672:
	s_cmp_lt_i32 s17, 27
	s_mov_b64 s[6:7], -1
	s_cbranch_scc1 .LBB31_1678
; %bb.1673:
	s_cmp_gt_i32 s17, 27
	s_cbranch_scc0 .LBB31_1675
; %bb.1674:
	v_lshlrev_b32_e32 v8, 16, v1
	v_cvt_u32_f32_e32 v8, v8
	s_mov_b64 s[6:7], 0
	global_store_dword v[5:6], v8, off
.LBB31_1675:
	s_andn2_b64 vcc, exec, s[6:7]
	s_cbranch_vccnz .LBB31_1677
; %bb.1676:
	v_lshlrev_b32_e32 v8, 16, v1
	v_cvt_u32_f32_e32 v8, v8
	global_store_short v[5:6], v8, off
.LBB31_1677:
	s_mov_b64 s[6:7], 0
.LBB31_1678:
	s_andn2_b64 vcc, exec, s[6:7]
	s_cbranch_vccnz .LBB31_1686
; %bb.1679:
	v_lshlrev_b32_e32 v12, 16, v1
	v_and_b32_e32 v11, 0x7fffffff, v12
	s_mov_b32 s6, 0x43800000
	v_cmp_gt_u32_e32 vcc, s6, v11
	v_mov_b32_e32 v13, 0x80
	s_and_saveexec_b64 s[6:7], vcc
	s_cbranch_execz .LBB31_1685
; %bb.1680:
	s_mov_b32 s10, 0x3bffffff
	v_and_b32_e32 v8, 0xffff, v1
	v_cmp_lt_u32_e32 vcc, s10, v11
	s_mov_b64 s[10:11], 0
                                        ; implicit-def: $vgpr11
	s_and_saveexec_b64 s[12:13], vcc
	s_xor_b64 s[12:13], exec, s[12:13]
	s_cbranch_execz .LBB31_2134
; %bb.1681:
	v_bfe_u32 v11, v8, 4, 1
	s_mov_b32 s18, 0x487ffff
	v_add3_u32 v11, v12, v11, s18
	s_mov_b64 s[10:11], exec
	v_lshrrev_b32_e32 v11, 20, v11
                                        ; implicit-def: $vgpr12
	s_andn2_saveexec_b64 s[12:13], s[12:13]
	s_cbranch_execnz .LBB31_2135
.LBB31_1682:
	s_or_b64 exec, exec, s[12:13]
	v_mov_b32_e32 v13, 0
	s_and_saveexec_b64 s[12:13], s[10:11]
.LBB31_1683:
	v_lshrrev_b32_e32 v8, 8, v8
	s_movk_i32 s10, 0x80
	v_and_or_b32 v13, v8, s10, v11
.LBB31_1684:
	s_or_b64 exec, exec, s[12:13]
.LBB31_1685:
	s_or_b64 exec, exec, s[6:7]
	global_store_byte v[5:6], v13, off
.LBB31_1686:
	s_mov_b64 s[6:7], -1
.LBB31_1687:
	s_mov_b64 s[10:11], 0
.LBB31_1688:
	s_and_b64 vcc, exec, s[10:11]
	s_cbranch_vccz .LBB31_1728
; %bb.1689:
	s_cmp_gt_i32 s17, 22
	s_mov_b64 s[4:5], -1
	s_cbranch_scc0 .LBB31_1721
; %bb.1690:
	s_cmp_lt_i32 s17, 24
	s_cbranch_scc1 .LBB31_1710
; %bb.1691:
	s_cmp_gt_i32 s17, 24
	s_cbranch_scc0 .LBB31_1699
; %bb.1692:
	v_lshlrev_b32_e32 v12, 16, v1
	v_and_b32_e32 v11, 0x7fffffff, v12
	s_mov_b32 s4, 0x47800000
	v_cmp_gt_u32_e32 vcc, s4, v11
	v_mov_b32_e32 v13, 0x80
	s_and_saveexec_b64 s[4:5], vcc
	s_cbranch_execz .LBB31_1698
; %bb.1693:
	s_mov_b32 s6, 0x37ffffff
	v_and_b32_e32 v8, 0xffff, v1
	v_cmp_lt_u32_e32 vcc, s6, v11
	s_mov_b64 s[6:7], 0
                                        ; implicit-def: $vgpr11
	s_and_saveexec_b64 s[10:11], vcc
	s_xor_b64 s[10:11], exec, s[10:11]
	s_cbranch_execz .LBB31_2137
; %bb.1694:
	v_bfe_u32 v11, v8, 5, 1
	s_mov_b32 s12, 0x88fffff
	v_add3_u32 v11, v12, v11, s12
	s_mov_b64 s[6:7], exec
	v_lshrrev_b32_e32 v11, 21, v11
                                        ; implicit-def: $vgpr12
	s_andn2_saveexec_b64 s[10:11], s[10:11]
	s_cbranch_execnz .LBB31_2138
.LBB31_1695:
	s_or_b64 exec, exec, s[10:11]
	v_mov_b32_e32 v13, 0
	s_and_saveexec_b64 s[10:11], s[6:7]
.LBB31_1696:
	v_lshrrev_b32_e32 v8, 8, v8
	s_movk_i32 s6, 0x80
	v_and_or_b32 v13, v8, s6, v11
.LBB31_1697:
	s_or_b64 exec, exec, s[10:11]
.LBB31_1698:
	s_or_b64 exec, exec, s[4:5]
	s_mov_b64 s[4:5], 0
	global_store_byte v[5:6], v13, off
.LBB31_1699:
	s_and_b64 vcc, exec, s[4:5]
	s_cbranch_vccz .LBB31_1709
; %bb.1700:
	v_lshlrev_b32_e32 v12, 16, v1
	v_and_b32_e32 v13, 0x7fffffff, v12
	s_mov_b32 s4, 0x43f00000
	v_and_b32_e32 v8, 0xffff, v1
	v_cmp_gt_u32_e32 vcc, s4, v13
                                        ; implicit-def: $vgpr11
	s_and_saveexec_b64 s[4:5], vcc
	s_xor_b64 s[4:5], exec, s[4:5]
	s_cbranch_execz .LBB31_1706
; %bb.1701:
	s_mov_b32 s6, 0x3c7fffff
	v_cmp_lt_u32_e32 vcc, s6, v13
                                        ; implicit-def: $vgpr11
	s_and_saveexec_b64 s[6:7], vcc
	s_xor_b64 s[6:7], exec, s[6:7]
; %bb.1702:
	v_bfe_u32 v11, v8, 4, 1
	s_mov_b32 s10, 0x407ffff
	v_add3_u32 v11, v12, v11, s10
	v_lshrrev_b32_e32 v12, 20, v11
	v_and_b32_e32 v11, 0xff00000, v11
	s_mov_b32 s10, 0x7f00000
	v_mov_b32_e32 v13, 0x7e
	v_cmp_ne_u32_e32 vcc, s10, v11
	v_cndmask_b32_e32 v11, v13, v12, vcc
                                        ; implicit-def: $vgpr12
; %bb.1703:
	s_andn2_saveexec_b64 s[6:7], s[6:7]
; %bb.1704:
	s_mov_b32 s10, 0x46800000
	v_add_f32_e64 v11, |v12|, s10
; %bb.1705:
	s_or_b64 exec, exec, s[6:7]
                                        ; implicit-def: $vgpr13
.LBB31_1706:
	s_andn2_saveexec_b64 s[4:5], s[4:5]
; %bb.1707:
	s_mov_b32 s6, 0x7f800000
	v_mov_b32_e32 v11, 0x7e
	v_mov_b32_e32 v12, 0x7f
	v_cmp_lt_u32_e32 vcc, s6, v13
	v_cndmask_b32_e32 v11, v11, v12, vcc
; %bb.1708:
	s_or_b64 exec, exec, s[4:5]
	v_lshrrev_b32_e32 v8, 8, v8
	s_movk_i32 s4, 0x80
	v_and_or_b32 v8, v8, s4, v11
	global_store_byte v[5:6], v8, off
.LBB31_1709:
	s_mov_b64 s[4:5], 0
.LBB31_1710:
	s_andn2_b64 vcc, exec, s[4:5]
	s_cbranch_vccnz .LBB31_1720
; %bb.1711:
	v_lshlrev_b32_e32 v12, 16, v1
	v_and_b32_e32 v13, 0x7fffffff, v12
	s_mov_b32 s4, 0x47800000
	v_and_b32_e32 v8, 0xffff, v1
	v_cmp_gt_u32_e32 vcc, s4, v13
                                        ; implicit-def: $vgpr11
	s_and_saveexec_b64 s[4:5], vcc
	s_xor_b64 s[4:5], exec, s[4:5]
	s_cbranch_execz .LBB31_1717
; %bb.1712:
	s_mov_b32 s6, 0x387fffff
	v_cmp_lt_u32_e32 vcc, s6, v13
                                        ; implicit-def: $vgpr11
	s_and_saveexec_b64 s[6:7], vcc
	s_xor_b64 s[6:7], exec, s[6:7]
; %bb.1713:
	v_bfe_u32 v11, v8, 5, 1
	s_mov_b32 s10, 0x80fffff
	v_add3_u32 v11, v12, v11, s10
	v_lshrrev_b32_e32 v11, 21, v11
                                        ; implicit-def: $vgpr12
; %bb.1714:
	s_andn2_saveexec_b64 s[6:7], s[6:7]
; %bb.1715:
	s_mov_b32 s10, 0x43000000
	v_add_f32_e64 v11, |v12|, s10
; %bb.1716:
	s_or_b64 exec, exec, s[6:7]
                                        ; implicit-def: $vgpr13
.LBB31_1717:
	s_andn2_saveexec_b64 s[4:5], s[4:5]
; %bb.1718:
	s_mov_b32 s6, 0x7f800000
	v_mov_b32_e32 v11, 0x7c
	v_mov_b32_e32 v12, 0x7f
	v_cmp_lt_u32_e32 vcc, s6, v13
	v_cndmask_b32_e32 v11, v11, v12, vcc
; %bb.1719:
	s_or_b64 exec, exec, s[4:5]
	v_lshrrev_b32_e32 v8, 8, v8
	s_movk_i32 s4, 0x80
	v_and_or_b32 v8, v8, s4, v11
	global_store_byte v[5:6], v8, off
.LBB31_1720:
	s_mov_b64 s[4:5], 0
	s_mov_b64 s[6:7], -1
.LBB31_1721:
	s_andn2_b64 vcc, exec, s[4:5]
	s_mov_b64 s[4:5], 0
	s_cbranch_vccnz .LBB31_1728
; %bb.1722:
	s_cmp_gt_i32 s17, 14
	s_mov_b64 s[10:11], -1
	s_cbranch_scc0 .LBB31_1726
; %bb.1723:
	s_cmp_eq_u32 s17, 15
	s_mov_b64 s[0:1], -1
	s_cbranch_scc0 .LBB31_1725
; %bb.1724:
	global_store_short v[5:6], v1, off
	s_mov_b64 s[0:1], 0
	s_mov_b64 s[6:7], -1
.LBB31_1725:
	s_mov_b64 s[10:11], 0
.LBB31_1726:
	s_and_b64 vcc, exec, s[10:11]
	s_cbranch_vccz .LBB31_1728
; %bb.1727:
	s_cmp_lg_u32 s17, 11
	s_mov_b64 s[4:5], -1
	s_cselect_b64 s[0:1], -1, 0
.LBB31_1728:
	s_and_b64 vcc, exec, s[0:1]
	s_cbranch_vccnz .LBB31_2136
; %bb.1729:
	s_andn2_b64 vcc, exec, s[4:5]
	s_cbranch_vccnz .LBB31_1731
.LBB31_1730:
	v_and_b32_e32 v8, 0x7fff, v1
	v_cmp_ne_u16_e32 vcc, 0, v8
	v_cndmask_b32_e64 v8, 0, 1, vcc
	s_mov_b64 s[6:7], -1
	global_store_byte v[5:6], v8, off
.LBB31_1731:
	s_mov_b64 s[0:1], 0
	s_branch .LBB31_1733
.LBB31_1732:
	s_mov_b64 s[0:1], -1
	s_mov_b64 s[6:7], 0
.LBB31_1733:
	s_and_b64 vcc, exec, s[0:1]
	s_cbranch_vccz .LBB31_1772
; %bb.1734:
	s_and_b32 s4, 0xffff, s14
	s_cmp_lt_i32 s4, 5
	s_mov_b64 s[0:1], -1
	s_cbranch_scc1 .LBB31_1755
; %bb.1735:
	s_cmp_lt_i32 s4, 8
	s_cbranch_scc1 .LBB31_1745
; %bb.1736:
	s_cmp_lt_i32 s4, 9
	s_cbranch_scc1 .LBB31_1742
; %bb.1737:
	s_cmp_gt_i32 s4, 9
	s_cbranch_scc0 .LBB31_1739
; %bb.1738:
	v_lshlrev_b32_e32 v8, 16, v1
	v_cvt_f64_f32_e32 v[11:12], v8
	v_mov_b32_e32 v13, 0
	v_mov_b32_e32 v14, v13
	s_mov_b64 s[0:1], 0
	global_store_dwordx4 v[5:6], v[11:14], off
.LBB31_1739:
	s_andn2_b64 vcc, exec, s[0:1]
	s_cbranch_vccnz .LBB31_1741
; %bb.1740:
	v_lshlrev_b32_e32 v11, 16, v1
	v_mov_b32_e32 v12, 0
	global_store_dwordx2 v[5:6], v[11:12], off
.LBB31_1741:
	s_mov_b64 s[0:1], 0
.LBB31_1742:
	s_andn2_b64 vcc, exec, s[0:1]
	s_cbranch_vccnz .LBB31_1744
; %bb.1743:
	v_lshlrev_b32_e32 v8, 16, v1
	v_cvt_f16_f32_e32 v8, v8
	global_store_dword v[5:6], v8, off
.LBB31_1744:
	s_mov_b64 s[0:1], 0
.LBB31_1745:
	s_andn2_b64 vcc, exec, s[0:1]
	s_cbranch_vccnz .LBB31_1754
; %bb.1746:
	s_cmp_lt_i32 s4, 6
	s_mov_b64 s[0:1], -1
	s_cbranch_scc1 .LBB31_1752
; %bb.1747:
	s_cmp_gt_i32 s4, 6
	s_cbranch_scc0 .LBB31_1749
; %bb.1748:
	v_lshlrev_b32_e32 v8, 16, v1
	v_cvt_f64_f32_e32 v[11:12], v8
	s_mov_b64 s[0:1], 0
	global_store_dwordx2 v[5:6], v[11:12], off
.LBB31_1749:
	s_andn2_b64 vcc, exec, s[0:1]
	s_cbranch_vccnz .LBB31_1751
; %bb.1750:
	v_lshlrev_b32_e32 v8, 16, v1
	global_store_dword v[5:6], v8, off
.LBB31_1751:
	s_mov_b64 s[0:1], 0
.LBB31_1752:
	s_andn2_b64 vcc, exec, s[0:1]
	s_cbranch_vccnz .LBB31_1754
; %bb.1753:
	v_lshlrev_b32_e32 v8, 16, v1
	v_cvt_f16_f32_e32 v8, v8
	global_store_short v[5:6], v8, off
.LBB31_1754:
	s_mov_b64 s[0:1], 0
.LBB31_1755:
	s_andn2_b64 vcc, exec, s[0:1]
	s_cbranch_vccnz .LBB31_1771
; %bb.1756:
	s_cmp_lt_i32 s4, 2
	s_mov_b64 s[0:1], -1
	s_cbranch_scc1 .LBB31_1766
; %bb.1757:
	s_cmp_lt_i32 s4, 3
	s_cbranch_scc1 .LBB31_1763
; %bb.1758:
	s_cmp_gt_i32 s4, 3
	s_cbranch_scc0 .LBB31_1760
; %bb.1759:
	v_lshlrev_b32_e32 v8, 16, v1
	v_trunc_f32_e32 v8, v8
	s_mov_b32 s0, 0x2f800000
	v_mul_f32_e64 v11, |v8|, s0
	v_floor_f32_e32 v11, v11
	s_mov_b32 s0, 0xcf800000
	v_cvt_u32_f32_e32 v12, v11
	v_fma_f32 v11, v11, s0, |v8|
	v_cvt_u32_f32_e32 v11, v11
	v_ashrrev_i32_e32 v8, 31, v8
	v_xor_b32_e32 v12, v12, v8
	s_mov_b64 s[0:1], 0
	v_xor_b32_e32 v11, v11, v8
	v_sub_co_u32_e32 v11, vcc, v11, v8
	v_subb_co_u32_e32 v12, vcc, v12, v8, vcc
	global_store_dwordx2 v[5:6], v[11:12], off
.LBB31_1760:
	s_andn2_b64 vcc, exec, s[0:1]
	s_cbranch_vccnz .LBB31_1762
; %bb.1761:
	v_lshlrev_b32_e32 v8, 16, v1
	v_cvt_i32_f32_e32 v8, v8
	global_store_dword v[5:6], v8, off
.LBB31_1762:
	s_mov_b64 s[0:1], 0
.LBB31_1763:
	s_andn2_b64 vcc, exec, s[0:1]
	s_cbranch_vccnz .LBB31_1765
; %bb.1764:
	v_lshlrev_b32_e32 v8, 16, v1
	v_cvt_i32_f32_e32 v8, v8
	global_store_short v[5:6], v8, off
.LBB31_1765:
	s_mov_b64 s[0:1], 0
.LBB31_1766:
	s_andn2_b64 vcc, exec, s[0:1]
	s_cbranch_vccnz .LBB31_1771
; %bb.1767:
	s_mov_b64 s[0:1], -1
	s_cmp_gt_i32 s4, 0
	v_lshlrev_b32_e32 v1, 16, v1
	s_cbranch_scc0 .LBB31_1769
; %bb.1768:
	v_cvt_i32_f32_e32 v8, v1
	s_mov_b64 s[0:1], 0
	global_store_byte v[5:6], v8, off
.LBB31_1769:
	s_andn2_b64 vcc, exec, s[0:1]
	s_cbranch_vccnz .LBB31_1771
; %bb.1770:
	v_trunc_f32_e32 v1, v1
	s_mov_b32 s0, 0x2f800000
	v_mul_f32_e64 v8, |v1|, s0
	v_floor_f32_e32 v8, v8
	s_mov_b32 s0, 0xcf800000
	v_fma_f32 v8, v8, s0, |v1|
	v_cvt_u32_f32_e32 v8, v8
	v_ashrrev_i32_e32 v1, 31, v1
	v_xor_b32_e32 v8, v8, v1
	v_sub_u32_e32 v1, v8, v1
	global_store_byte v[5:6], v1, off
.LBB31_1771:
	s_mov_b64 s[6:7], -1
.LBB31_1772:
	s_andn2_b64 vcc, exec, s[6:7]
	s_cbranch_vccnz .LBB31_2087
; %bb.1773:
	s_lshr_b32 s0, s16, 16
	s_waitcnt vmcnt(0)
	v_lshlrev_b32_e32 v1, 16, v3
	s_and_b32 s14, s0, 0xff
	v_cmp_nle_f32_e32 vcc, v7, v1
	v_cmp_nge_f32_e64 s[0:1], s15, v1
	s_or_b64 vcc, s[0:1], vcc
	v_cndmask_b32_e32 v1, 0, v3, vcc
	v_mov_b32_e32 v5, s9
	v_add_co_u32_e32 v3, vcc, s8, v4
	s_cmp_lt_i32 s14, 11
	v_addc_co_u32_e32 v4, vcc, 0, v5, vcc
	s_cbranch_scc1 .LBB31_1851
; %bb.1774:
	s_and_b32 s16, 0xffff, s14
	s_mov_b64 s[10:11], -1
	s_mov_b64 s[4:5], 0
	s_cmp_gt_i32 s16, 25
	s_mov_b64 s[6:7], 0
	s_mov_b64 s[0:1], 0
	s_cbranch_scc0 .LBB31_1807
; %bb.1775:
	s_cmp_gt_i32 s16, 28
	s_cbranch_scc0 .LBB31_1790
; %bb.1776:
	s_cmp_gt_i32 s16, 43
	;; [unrolled: 3-line block ×3, first 2 shown]
	s_cbranch_scc0 .LBB31_1780
; %bb.1778:
	s_mov_b64 s[0:1], -1
	s_mov_b64 s[10:11], 0
	s_cmp_eq_u32 s16, 46
	s_cbranch_scc0 .LBB31_1780
; %bb.1779:
	v_and_b32_e32 v5, 0xffff, v1
	global_store_dword v[3:4], v5, off
	s_mov_b64 s[0:1], 0
	s_mov_b64 s[6:7], -1
.LBB31_1780:
	s_and_b64 vcc, exec, s[10:11]
	s_cbranch_vccz .LBB31_1785
; %bb.1781:
	s_cmp_eq_u32 s16, 44
	s_mov_b64 s[0:1], -1
	s_cbranch_scc0 .LBB31_1785
; %bb.1782:
	v_and_b32_e32 v6, 0xffff, v1
	v_bfe_u32 v5, v6, 7, 8
	s_movk_i32 s0, 0xff
	v_cmp_ne_u32_e32 vcc, s0, v5
	v_mov_b32_e32 v8, 0xff
	s_and_saveexec_b64 s[6:7], vcc
	s_cbranch_execz .LBB31_1784
; %bb.1783:
	v_lshlrev_b32_e32 v11, 16, v6
	s_mov_b32 s0, 0x3f0000
	v_lshrrev_b32_e32 v8, 7, v6
	v_and_b32_e32 v6, 64, v6
	v_and_or_b32 v5, v11, s0, v5
	v_cmp_ne_u32_e32 vcc, 0, v6
	v_cmp_ne_u32_e64 s[0:1], 0, v5
	s_and_b64 s[0:1], vcc, s[0:1]
	v_cndmask_b32_e64 v5, 0, 1, s[0:1]
	v_add_u32_e32 v8, v8, v5
.LBB31_1784:
	s_or_b64 exec, exec, s[6:7]
	s_mov_b64 s[0:1], 0
	s_mov_b64 s[6:7], -1
	global_store_byte v[3:4], v8, off
.LBB31_1785:
	s_mov_b64 s[10:11], 0
.LBB31_1786:
	s_and_b64 vcc, exec, s[10:11]
	s_cbranch_vccz .LBB31_1789
; %bb.1787:
	s_cmp_eq_u32 s16, 29
	s_mov_b64 s[0:1], -1
	s_cbranch_scc0 .LBB31_1789
; %bb.1788:
	v_lshlrev_b32_e32 v5, 16, v1
	v_trunc_f32_e32 v5, v5
	v_mul_f32_e32 v6, 0x2f800000, v5
	v_floor_f32_e32 v8, v6
	v_fmac_f32_e32 v5, 0xcf800000, v8
	v_cvt_u32_f32_e32 v6, v8
	v_cvt_u32_f32_e32 v5, v5
	s_mov_b64 s[0:1], 0
	s_mov_b64 s[6:7], -1
	global_store_dwordx2 v[3:4], v[5:6], off
.LBB31_1789:
	s_mov_b64 s[10:11], 0
.LBB31_1790:
	s_and_b64 vcc, exec, s[10:11]
	s_cbranch_vccz .LBB31_1806
; %bb.1791:
	s_cmp_lt_i32 s16, 27
	s_mov_b64 s[6:7], -1
	s_cbranch_scc1 .LBB31_1797
; %bb.1792:
	s_cmp_gt_i32 s16, 27
	s_cbranch_scc0 .LBB31_1794
; %bb.1793:
	v_lshlrev_b32_e32 v5, 16, v1
	v_cvt_u32_f32_e32 v5, v5
	s_mov_b64 s[6:7], 0
	global_store_dword v[3:4], v5, off
.LBB31_1794:
	s_andn2_b64 vcc, exec, s[6:7]
	s_cbranch_vccnz .LBB31_1796
; %bb.1795:
	v_lshlrev_b32_e32 v5, 16, v1
	v_cvt_u32_f32_e32 v5, v5
	global_store_short v[3:4], v5, off
.LBB31_1796:
	s_mov_b64 s[6:7], 0
.LBB31_1797:
	s_andn2_b64 vcc, exec, s[6:7]
	s_cbranch_vccnz .LBB31_1805
; %bb.1798:
	v_lshlrev_b32_e32 v8, 16, v1
	v_and_b32_e32 v6, 0x7fffffff, v8
	s_mov_b32 s6, 0x43800000
	v_cmp_gt_u32_e32 vcc, s6, v6
	v_mov_b32_e32 v11, 0x80
	s_and_saveexec_b64 s[6:7], vcc
	s_cbranch_execz .LBB31_1804
; %bb.1799:
	s_mov_b32 s10, 0x3bffffff
	v_and_b32_e32 v5, 0xffff, v1
	v_cmp_lt_u32_e32 vcc, s10, v6
	s_mov_b64 s[10:11], 0
                                        ; implicit-def: $vgpr6
	s_and_saveexec_b64 s[12:13], vcc
	s_xor_b64 s[12:13], exec, s[12:13]
	s_cbranch_execz .LBB31_2139
; %bb.1800:
	v_bfe_u32 v6, v5, 4, 1
	s_mov_b32 s17, 0x487ffff
	v_add3_u32 v6, v8, v6, s17
	s_mov_b64 s[10:11], exec
	v_lshrrev_b32_e32 v6, 20, v6
                                        ; implicit-def: $vgpr8
	s_andn2_saveexec_b64 s[12:13], s[12:13]
	s_cbranch_execnz .LBB31_2140
.LBB31_1801:
	s_or_b64 exec, exec, s[12:13]
	v_mov_b32_e32 v11, 0
	s_and_saveexec_b64 s[12:13], s[10:11]
.LBB31_1802:
	v_lshrrev_b32_e32 v5, 8, v5
	s_movk_i32 s10, 0x80
	v_and_or_b32 v11, v5, s10, v6
.LBB31_1803:
	s_or_b64 exec, exec, s[12:13]
.LBB31_1804:
	s_or_b64 exec, exec, s[6:7]
	global_store_byte v[3:4], v11, off
.LBB31_1805:
	s_mov_b64 s[6:7], -1
.LBB31_1806:
	s_mov_b64 s[10:11], 0
.LBB31_1807:
	s_and_b64 vcc, exec, s[10:11]
	s_cbranch_vccz .LBB31_1847
; %bb.1808:
	s_cmp_gt_i32 s16, 22
	s_mov_b64 s[4:5], -1
	s_cbranch_scc0 .LBB31_1840
; %bb.1809:
	s_cmp_lt_i32 s16, 24
	s_cbranch_scc1 .LBB31_1829
; %bb.1810:
	s_cmp_gt_i32 s16, 24
	s_cbranch_scc0 .LBB31_1818
; %bb.1811:
	v_lshlrev_b32_e32 v8, 16, v1
	v_and_b32_e32 v6, 0x7fffffff, v8
	s_mov_b32 s4, 0x47800000
	v_cmp_gt_u32_e32 vcc, s4, v6
	v_mov_b32_e32 v11, 0x80
	s_and_saveexec_b64 s[4:5], vcc
	s_cbranch_execz .LBB31_1817
; %bb.1812:
	s_mov_b32 s6, 0x37ffffff
	v_and_b32_e32 v5, 0xffff, v1
	v_cmp_lt_u32_e32 vcc, s6, v6
	s_mov_b64 s[6:7], 0
                                        ; implicit-def: $vgpr6
	s_and_saveexec_b64 s[10:11], vcc
	s_xor_b64 s[10:11], exec, s[10:11]
	s_cbranch_execz .LBB31_2142
; %bb.1813:
	v_bfe_u32 v6, v5, 5, 1
	s_mov_b32 s12, 0x88fffff
	v_add3_u32 v6, v8, v6, s12
	s_mov_b64 s[6:7], exec
	v_lshrrev_b32_e32 v6, 21, v6
                                        ; implicit-def: $vgpr8
	s_andn2_saveexec_b64 s[10:11], s[10:11]
	s_cbranch_execnz .LBB31_2143
.LBB31_1814:
	s_or_b64 exec, exec, s[10:11]
	v_mov_b32_e32 v11, 0
	s_and_saveexec_b64 s[10:11], s[6:7]
.LBB31_1815:
	v_lshrrev_b32_e32 v5, 8, v5
	s_movk_i32 s6, 0x80
	v_and_or_b32 v11, v5, s6, v6
.LBB31_1816:
	s_or_b64 exec, exec, s[10:11]
.LBB31_1817:
	s_or_b64 exec, exec, s[4:5]
	s_mov_b64 s[4:5], 0
	global_store_byte v[3:4], v11, off
.LBB31_1818:
	s_and_b64 vcc, exec, s[4:5]
	s_cbranch_vccz .LBB31_1828
; %bb.1819:
	v_lshlrev_b32_e32 v8, 16, v1
	v_and_b32_e32 v11, 0x7fffffff, v8
	s_mov_b32 s4, 0x43f00000
	v_and_b32_e32 v5, 0xffff, v1
	v_cmp_gt_u32_e32 vcc, s4, v11
                                        ; implicit-def: $vgpr6
	s_and_saveexec_b64 s[4:5], vcc
	s_xor_b64 s[4:5], exec, s[4:5]
	s_cbranch_execz .LBB31_1825
; %bb.1820:
	s_mov_b32 s6, 0x3c7fffff
	v_cmp_lt_u32_e32 vcc, s6, v11
                                        ; implicit-def: $vgpr6
	s_and_saveexec_b64 s[6:7], vcc
	s_xor_b64 s[6:7], exec, s[6:7]
; %bb.1821:
	v_bfe_u32 v6, v5, 4, 1
	s_mov_b32 s10, 0x407ffff
	v_add3_u32 v6, v8, v6, s10
	v_lshrrev_b32_e32 v8, 20, v6
	v_and_b32_e32 v6, 0xff00000, v6
	s_mov_b32 s10, 0x7f00000
	v_mov_b32_e32 v11, 0x7e
	v_cmp_ne_u32_e32 vcc, s10, v6
	v_cndmask_b32_e32 v6, v11, v8, vcc
                                        ; implicit-def: $vgpr8
; %bb.1822:
	s_andn2_saveexec_b64 s[6:7], s[6:7]
; %bb.1823:
	s_mov_b32 s10, 0x46800000
	v_add_f32_e64 v6, |v8|, s10
; %bb.1824:
	s_or_b64 exec, exec, s[6:7]
                                        ; implicit-def: $vgpr11
.LBB31_1825:
	s_andn2_saveexec_b64 s[4:5], s[4:5]
; %bb.1826:
	s_mov_b32 s6, 0x7f800000
	v_mov_b32_e32 v6, 0x7e
	v_mov_b32_e32 v8, 0x7f
	v_cmp_lt_u32_e32 vcc, s6, v11
	v_cndmask_b32_e32 v6, v6, v8, vcc
; %bb.1827:
	s_or_b64 exec, exec, s[4:5]
	v_lshrrev_b32_e32 v5, 8, v5
	s_movk_i32 s4, 0x80
	v_and_or_b32 v5, v5, s4, v6
	global_store_byte v[3:4], v5, off
.LBB31_1828:
	s_mov_b64 s[4:5], 0
.LBB31_1829:
	s_andn2_b64 vcc, exec, s[4:5]
	s_cbranch_vccnz .LBB31_1839
; %bb.1830:
	v_lshlrev_b32_e32 v8, 16, v1
	v_and_b32_e32 v11, 0x7fffffff, v8
	s_mov_b32 s4, 0x47800000
	v_and_b32_e32 v5, 0xffff, v1
	v_cmp_gt_u32_e32 vcc, s4, v11
                                        ; implicit-def: $vgpr6
	s_and_saveexec_b64 s[4:5], vcc
	s_xor_b64 s[4:5], exec, s[4:5]
	s_cbranch_execz .LBB31_1836
; %bb.1831:
	s_mov_b32 s6, 0x387fffff
	v_cmp_lt_u32_e32 vcc, s6, v11
                                        ; implicit-def: $vgpr6
	s_and_saveexec_b64 s[6:7], vcc
	s_xor_b64 s[6:7], exec, s[6:7]
; %bb.1832:
	v_bfe_u32 v6, v5, 5, 1
	s_mov_b32 s10, 0x80fffff
	v_add3_u32 v6, v8, v6, s10
	v_lshrrev_b32_e32 v6, 21, v6
                                        ; implicit-def: $vgpr8
; %bb.1833:
	s_andn2_saveexec_b64 s[6:7], s[6:7]
; %bb.1834:
	s_mov_b32 s10, 0x43000000
	v_add_f32_e64 v6, |v8|, s10
; %bb.1835:
	s_or_b64 exec, exec, s[6:7]
                                        ; implicit-def: $vgpr11
.LBB31_1836:
	s_andn2_saveexec_b64 s[4:5], s[4:5]
; %bb.1837:
	s_mov_b32 s6, 0x7f800000
	v_mov_b32_e32 v6, 0x7c
	v_mov_b32_e32 v8, 0x7f
	v_cmp_lt_u32_e32 vcc, s6, v11
	v_cndmask_b32_e32 v6, v6, v8, vcc
; %bb.1838:
	s_or_b64 exec, exec, s[4:5]
	v_lshrrev_b32_e32 v5, 8, v5
	s_movk_i32 s4, 0x80
	v_and_or_b32 v5, v5, s4, v6
	global_store_byte v[3:4], v5, off
.LBB31_1839:
	s_mov_b64 s[4:5], 0
	s_mov_b64 s[6:7], -1
.LBB31_1840:
	s_andn2_b64 vcc, exec, s[4:5]
	s_mov_b64 s[4:5], 0
	s_cbranch_vccnz .LBB31_1847
; %bb.1841:
	s_cmp_gt_i32 s16, 14
	s_mov_b64 s[10:11], -1
	s_cbranch_scc0 .LBB31_1845
; %bb.1842:
	s_cmp_eq_u32 s16, 15
	s_mov_b64 s[0:1], -1
	s_cbranch_scc0 .LBB31_1844
; %bb.1843:
	global_store_short v[3:4], v1, off
	s_mov_b64 s[0:1], 0
	s_mov_b64 s[6:7], -1
.LBB31_1844:
	s_mov_b64 s[10:11], 0
.LBB31_1845:
	s_and_b64 vcc, exec, s[10:11]
	s_cbranch_vccz .LBB31_1847
; %bb.1846:
	s_cmp_lg_u32 s16, 11
	s_mov_b64 s[4:5], -1
	s_cselect_b64 s[0:1], -1, 0
.LBB31_1847:
	s_and_b64 vcc, exec, s[0:1]
	s_cbranch_vccnz .LBB31_2141
; %bb.1848:
	s_andn2_b64 vcc, exec, s[4:5]
	s_cbranch_vccnz .LBB31_1850
.LBB31_1849:
	v_and_b32_e32 v5, 0x7fff, v1
	v_cmp_ne_u16_e32 vcc, 0, v5
	v_cndmask_b32_e64 v5, 0, 1, vcc
	s_mov_b64 s[6:7], -1
	global_store_byte v[3:4], v5, off
.LBB31_1850:
	s_mov_b64 s[0:1], 0
	s_branch .LBB31_1852
.LBB31_1851:
	s_mov_b64 s[0:1], -1
	s_mov_b64 s[6:7], 0
.LBB31_1852:
	s_and_b64 vcc, exec, s[0:1]
	s_cbranch_vccz .LBB31_1891
; %bb.1853:
	s_and_b32 s4, 0xffff, s14
	s_cmp_lt_i32 s4, 5
	s_mov_b64 s[0:1], -1
	s_cbranch_scc1 .LBB31_1874
; %bb.1854:
	s_cmp_lt_i32 s4, 8
	s_cbranch_scc1 .LBB31_1864
; %bb.1855:
	s_cmp_lt_i32 s4, 9
	s_cbranch_scc1 .LBB31_1861
; %bb.1856:
	s_cmp_gt_i32 s4, 9
	s_cbranch_scc0 .LBB31_1858
; %bb.1857:
	v_lshlrev_b32_e32 v5, 16, v1
	v_cvt_f64_f32_e32 v[11:12], v5
	v_mov_b32_e32 v13, 0
	v_mov_b32_e32 v14, v13
	s_mov_b64 s[0:1], 0
	global_store_dwordx4 v[3:4], v[11:14], off
.LBB31_1858:
	s_andn2_b64 vcc, exec, s[0:1]
	s_cbranch_vccnz .LBB31_1860
; %bb.1859:
	v_lshlrev_b32_e32 v5, 16, v1
	v_mov_b32_e32 v6, 0
	global_store_dwordx2 v[3:4], v[5:6], off
.LBB31_1860:
	s_mov_b64 s[0:1], 0
.LBB31_1861:
	s_andn2_b64 vcc, exec, s[0:1]
	s_cbranch_vccnz .LBB31_1863
; %bb.1862:
	v_lshlrev_b32_e32 v5, 16, v1
	v_cvt_f16_f32_e32 v5, v5
	global_store_dword v[3:4], v5, off
.LBB31_1863:
	s_mov_b64 s[0:1], 0
.LBB31_1864:
	s_andn2_b64 vcc, exec, s[0:1]
	s_cbranch_vccnz .LBB31_1873
; %bb.1865:
	s_cmp_lt_i32 s4, 6
	s_mov_b64 s[0:1], -1
	s_cbranch_scc1 .LBB31_1871
; %bb.1866:
	s_cmp_gt_i32 s4, 6
	s_cbranch_scc0 .LBB31_1868
; %bb.1867:
	v_lshlrev_b32_e32 v5, 16, v1
	v_cvt_f64_f32_e32 v[5:6], v5
	s_mov_b64 s[0:1], 0
	global_store_dwordx2 v[3:4], v[5:6], off
.LBB31_1868:
	s_andn2_b64 vcc, exec, s[0:1]
	s_cbranch_vccnz .LBB31_1870
; %bb.1869:
	v_lshlrev_b32_e32 v5, 16, v1
	global_store_dword v[3:4], v5, off
.LBB31_1870:
	s_mov_b64 s[0:1], 0
.LBB31_1871:
	s_andn2_b64 vcc, exec, s[0:1]
	s_cbranch_vccnz .LBB31_1873
; %bb.1872:
	v_lshlrev_b32_e32 v5, 16, v1
	v_cvt_f16_f32_e32 v5, v5
	global_store_short v[3:4], v5, off
.LBB31_1873:
	s_mov_b64 s[0:1], 0
.LBB31_1874:
	s_andn2_b64 vcc, exec, s[0:1]
	s_cbranch_vccnz .LBB31_1890
; %bb.1875:
	s_cmp_lt_i32 s4, 2
	s_mov_b64 s[0:1], -1
	s_cbranch_scc1 .LBB31_1885
; %bb.1876:
	s_cmp_lt_i32 s4, 3
	s_cbranch_scc1 .LBB31_1882
; %bb.1877:
	s_cmp_gt_i32 s4, 3
	s_cbranch_scc0 .LBB31_1879
; %bb.1878:
	v_lshlrev_b32_e32 v5, 16, v1
	v_trunc_f32_e32 v5, v5
	s_mov_b32 s0, 0x2f800000
	v_mul_f32_e64 v6, |v5|, s0
	v_floor_f32_e32 v6, v6
	s_mov_b32 s0, 0xcf800000
	v_cvt_u32_f32_e32 v8, v6
	v_fma_f32 v6, v6, s0, |v5|
	v_cvt_u32_f32_e32 v6, v6
	v_ashrrev_i32_e32 v11, 31, v5
	v_xor_b32_e32 v8, v8, v11
	s_mov_b64 s[0:1], 0
	v_xor_b32_e32 v5, v6, v11
	v_sub_co_u32_e32 v5, vcc, v5, v11
	v_subb_co_u32_e32 v6, vcc, v8, v11, vcc
	global_store_dwordx2 v[3:4], v[5:6], off
.LBB31_1879:
	s_andn2_b64 vcc, exec, s[0:1]
	s_cbranch_vccnz .LBB31_1881
; %bb.1880:
	v_lshlrev_b32_e32 v5, 16, v1
	v_cvt_i32_f32_e32 v5, v5
	global_store_dword v[3:4], v5, off
.LBB31_1881:
	s_mov_b64 s[0:1], 0
.LBB31_1882:
	s_andn2_b64 vcc, exec, s[0:1]
	s_cbranch_vccnz .LBB31_1884
; %bb.1883:
	v_lshlrev_b32_e32 v5, 16, v1
	v_cvt_i32_f32_e32 v5, v5
	global_store_short v[3:4], v5, off
.LBB31_1884:
	s_mov_b64 s[0:1], 0
.LBB31_1885:
	s_andn2_b64 vcc, exec, s[0:1]
	s_cbranch_vccnz .LBB31_1890
; %bb.1886:
	s_mov_b64 s[0:1], -1
	s_cmp_gt_i32 s4, 0
	v_lshlrev_b32_e32 v1, 16, v1
	s_cbranch_scc0 .LBB31_1888
; %bb.1887:
	v_cvt_i32_f32_e32 v5, v1
	s_mov_b64 s[0:1], 0
	global_store_byte v[3:4], v5, off
.LBB31_1888:
	s_andn2_b64 vcc, exec, s[0:1]
	s_cbranch_vccnz .LBB31_1890
; %bb.1889:
	v_trunc_f32_e32 v1, v1
	s_mov_b32 s0, 0x2f800000
	v_mul_f32_e64 v5, |v1|, s0
	v_floor_f32_e32 v5, v5
	s_mov_b32 s0, 0xcf800000
	v_fma_f32 v5, v5, s0, |v1|
	v_cvt_u32_f32_e32 v5, v5
	v_ashrrev_i32_e32 v1, 31, v1
	v_xor_b32_e32 v5, v5, v1
	v_sub_u32_e32 v1, v5, v1
	global_store_byte v[3:4], v1, off
.LBB31_1890:
	s_mov_b64 s[6:7], -1
.LBB31_1891:
	s_andn2_b64 vcc, exec, s[6:7]
	s_cbranch_vccnz .LBB31_2087
; %bb.1892:
	v_lshlrev_b32_e32 v1, 16, v10
	v_cmp_nle_f32_e32 vcc, v7, v1
	v_cmp_nge_f32_e64 s[0:1], s15, v1
	s_or_b64 vcc, s[0:1], vcc
	v_cndmask_b32_e32 v3, 0, v10, vcc
	v_mov_b32_e32 v4, s9
	v_add_co_u32_e32 v1, vcc, s8, v2
	s_cmp_lt_i32 s14, 11
	v_addc_co_u32_e32 v2, vcc, 0, v4, vcc
	s_cbranch_scc1 .LBB31_1970
; %bb.1893:
	s_and_b32 s16, 0xffff, s14
	s_mov_b64 s[10:11], -1
	s_mov_b64 s[4:5], 0
	s_cmp_gt_i32 s16, 25
	s_mov_b64 s[6:7], 0
	s_mov_b64 s[0:1], 0
	s_cbranch_scc0 .LBB31_1926
; %bb.1894:
	s_cmp_gt_i32 s16, 28
	s_cbranch_scc0 .LBB31_1909
; %bb.1895:
	s_cmp_gt_i32 s16, 43
	;; [unrolled: 3-line block ×3, first 2 shown]
	s_cbranch_scc0 .LBB31_1899
; %bb.1897:
	s_mov_b64 s[0:1], -1
	s_mov_b64 s[10:11], 0
	s_cmp_eq_u32 s16, 46
	s_cbranch_scc0 .LBB31_1899
; %bb.1898:
	v_and_b32_e32 v4, 0xffff, v3
	global_store_dword v[1:2], v4, off
	s_mov_b64 s[0:1], 0
	s_mov_b64 s[6:7], -1
.LBB31_1899:
	s_and_b64 vcc, exec, s[10:11]
	s_cbranch_vccz .LBB31_1904
; %bb.1900:
	s_cmp_eq_u32 s16, 44
	s_mov_b64 s[0:1], -1
	s_cbranch_scc0 .LBB31_1904
; %bb.1901:
	v_and_b32_e32 v5, 0xffff, v3
	v_bfe_u32 v4, v5, 7, 8
	s_movk_i32 s0, 0xff
	v_cmp_ne_u32_e32 vcc, s0, v4
	v_mov_b32_e32 v6, 0xff
	s_and_saveexec_b64 s[6:7], vcc
	s_cbranch_execz .LBB31_1903
; %bb.1902:
	v_lshlrev_b32_e32 v8, 16, v5
	s_mov_b32 s0, 0x3f0000
	v_lshrrev_b32_e32 v6, 7, v5
	v_and_b32_e32 v5, 64, v5
	v_and_or_b32 v4, v8, s0, v4
	v_cmp_ne_u32_e32 vcc, 0, v5
	v_cmp_ne_u32_e64 s[0:1], 0, v4
	s_and_b64 s[0:1], vcc, s[0:1]
	v_cndmask_b32_e64 v4, 0, 1, s[0:1]
	v_add_u32_e32 v6, v6, v4
.LBB31_1903:
	s_or_b64 exec, exec, s[6:7]
	s_mov_b64 s[0:1], 0
	s_mov_b64 s[6:7], -1
	global_store_byte v[1:2], v6, off
.LBB31_1904:
	s_mov_b64 s[10:11], 0
.LBB31_1905:
	s_and_b64 vcc, exec, s[10:11]
	s_cbranch_vccz .LBB31_1908
; %bb.1906:
	s_cmp_eq_u32 s16, 29
	s_mov_b64 s[0:1], -1
	s_cbranch_scc0 .LBB31_1908
; %bb.1907:
	v_lshlrev_b32_e32 v4, 16, v3
	v_trunc_f32_e32 v4, v4
	v_mul_f32_e32 v5, 0x2f800000, v4
	v_floor_f32_e32 v6, v5
	v_fmac_f32_e32 v4, 0xcf800000, v6
	v_cvt_u32_f32_e32 v5, v6
	v_cvt_u32_f32_e32 v4, v4
	s_mov_b64 s[0:1], 0
	s_mov_b64 s[6:7], -1
	global_store_dwordx2 v[1:2], v[4:5], off
.LBB31_1908:
	s_mov_b64 s[10:11], 0
.LBB31_1909:
	s_and_b64 vcc, exec, s[10:11]
	s_cbranch_vccz .LBB31_1925
; %bb.1910:
	s_cmp_lt_i32 s16, 27
	s_mov_b64 s[6:7], -1
	s_cbranch_scc1 .LBB31_1916
; %bb.1911:
	s_cmp_gt_i32 s16, 27
	s_cbranch_scc0 .LBB31_1913
; %bb.1912:
	v_lshlrev_b32_e32 v4, 16, v3
	v_cvt_u32_f32_e32 v4, v4
	s_mov_b64 s[6:7], 0
	global_store_dword v[1:2], v4, off
.LBB31_1913:
	s_andn2_b64 vcc, exec, s[6:7]
	s_cbranch_vccnz .LBB31_1915
; %bb.1914:
	v_lshlrev_b32_e32 v4, 16, v3
	v_cvt_u32_f32_e32 v4, v4
	global_store_short v[1:2], v4, off
.LBB31_1915:
	s_mov_b64 s[6:7], 0
.LBB31_1916:
	s_andn2_b64 vcc, exec, s[6:7]
	s_cbranch_vccnz .LBB31_1924
; %bb.1917:
	v_lshlrev_b32_e32 v6, 16, v3
	v_and_b32_e32 v5, 0x7fffffff, v6
	s_mov_b32 s6, 0x43800000
	v_cmp_gt_u32_e32 vcc, s6, v5
	v_mov_b32_e32 v8, 0x80
	s_and_saveexec_b64 s[6:7], vcc
	s_cbranch_execz .LBB31_1923
; %bb.1918:
	s_mov_b32 s10, 0x3bffffff
	v_and_b32_e32 v4, 0xffff, v3
	v_cmp_lt_u32_e32 vcc, s10, v5
	s_mov_b64 s[10:11], 0
                                        ; implicit-def: $vgpr5
	s_and_saveexec_b64 s[12:13], vcc
	s_xor_b64 s[12:13], exec, s[12:13]
	s_cbranch_execz .LBB31_2144
; %bb.1919:
	v_bfe_u32 v5, v4, 4, 1
	s_mov_b32 s17, 0x487ffff
	v_add3_u32 v5, v6, v5, s17
	s_mov_b64 s[10:11], exec
	v_lshrrev_b32_e32 v5, 20, v5
                                        ; implicit-def: $vgpr6
	s_andn2_saveexec_b64 s[12:13], s[12:13]
	s_cbranch_execnz .LBB31_2145
.LBB31_1920:
	s_or_b64 exec, exec, s[12:13]
	v_mov_b32_e32 v8, 0
	s_and_saveexec_b64 s[12:13], s[10:11]
.LBB31_1921:
	v_lshrrev_b32_e32 v4, 8, v4
	s_movk_i32 s10, 0x80
	v_and_or_b32 v8, v4, s10, v5
.LBB31_1922:
	s_or_b64 exec, exec, s[12:13]
.LBB31_1923:
	s_or_b64 exec, exec, s[6:7]
	global_store_byte v[1:2], v8, off
.LBB31_1924:
	s_mov_b64 s[6:7], -1
.LBB31_1925:
	s_mov_b64 s[10:11], 0
.LBB31_1926:
	s_and_b64 vcc, exec, s[10:11]
	s_cbranch_vccz .LBB31_1966
; %bb.1927:
	s_cmp_gt_i32 s16, 22
	s_mov_b64 s[4:5], -1
	s_cbranch_scc0 .LBB31_1959
; %bb.1928:
	s_cmp_lt_i32 s16, 24
	s_cbranch_scc1 .LBB31_1948
; %bb.1929:
	s_cmp_gt_i32 s16, 24
	s_cbranch_scc0 .LBB31_1937
; %bb.1930:
	v_lshlrev_b32_e32 v6, 16, v3
	v_and_b32_e32 v5, 0x7fffffff, v6
	s_mov_b32 s4, 0x47800000
	v_cmp_gt_u32_e32 vcc, s4, v5
	v_mov_b32_e32 v8, 0x80
	s_and_saveexec_b64 s[4:5], vcc
	s_cbranch_execz .LBB31_1936
; %bb.1931:
	s_mov_b32 s6, 0x37ffffff
	v_and_b32_e32 v4, 0xffff, v3
	v_cmp_lt_u32_e32 vcc, s6, v5
	s_mov_b64 s[6:7], 0
                                        ; implicit-def: $vgpr5
	s_and_saveexec_b64 s[10:11], vcc
	s_xor_b64 s[10:11], exec, s[10:11]
	s_cbranch_execz .LBB31_2147
; %bb.1932:
	v_bfe_u32 v5, v4, 5, 1
	s_mov_b32 s12, 0x88fffff
	v_add3_u32 v5, v6, v5, s12
	s_mov_b64 s[6:7], exec
	v_lshrrev_b32_e32 v5, 21, v5
                                        ; implicit-def: $vgpr6
	s_andn2_saveexec_b64 s[10:11], s[10:11]
	s_cbranch_execnz .LBB31_2148
.LBB31_1933:
	s_or_b64 exec, exec, s[10:11]
	v_mov_b32_e32 v8, 0
	s_and_saveexec_b64 s[10:11], s[6:7]
.LBB31_1934:
	v_lshrrev_b32_e32 v4, 8, v4
	s_movk_i32 s6, 0x80
	v_and_or_b32 v8, v4, s6, v5
.LBB31_1935:
	s_or_b64 exec, exec, s[10:11]
.LBB31_1936:
	s_or_b64 exec, exec, s[4:5]
	s_mov_b64 s[4:5], 0
	global_store_byte v[1:2], v8, off
.LBB31_1937:
	s_and_b64 vcc, exec, s[4:5]
	s_cbranch_vccz .LBB31_1947
; %bb.1938:
	v_lshlrev_b32_e32 v6, 16, v3
	v_and_b32_e32 v8, 0x7fffffff, v6
	s_mov_b32 s4, 0x43f00000
	v_and_b32_e32 v4, 0xffff, v3
	v_cmp_gt_u32_e32 vcc, s4, v8
                                        ; implicit-def: $vgpr5
	s_and_saveexec_b64 s[4:5], vcc
	s_xor_b64 s[4:5], exec, s[4:5]
	s_cbranch_execz .LBB31_1944
; %bb.1939:
	s_mov_b32 s6, 0x3c7fffff
	v_cmp_lt_u32_e32 vcc, s6, v8
                                        ; implicit-def: $vgpr5
	s_and_saveexec_b64 s[6:7], vcc
	s_xor_b64 s[6:7], exec, s[6:7]
; %bb.1940:
	v_bfe_u32 v5, v4, 4, 1
	s_mov_b32 s10, 0x407ffff
	v_add3_u32 v5, v6, v5, s10
	v_lshrrev_b32_e32 v6, 20, v5
	v_and_b32_e32 v5, 0xff00000, v5
	s_mov_b32 s10, 0x7f00000
	v_mov_b32_e32 v8, 0x7e
	v_cmp_ne_u32_e32 vcc, s10, v5
	v_cndmask_b32_e32 v5, v8, v6, vcc
                                        ; implicit-def: $vgpr6
; %bb.1941:
	s_andn2_saveexec_b64 s[6:7], s[6:7]
; %bb.1942:
	s_mov_b32 s10, 0x46800000
	v_add_f32_e64 v5, |v6|, s10
; %bb.1943:
	s_or_b64 exec, exec, s[6:7]
                                        ; implicit-def: $vgpr8
.LBB31_1944:
	s_andn2_saveexec_b64 s[4:5], s[4:5]
; %bb.1945:
	s_mov_b32 s6, 0x7f800000
	v_mov_b32_e32 v5, 0x7e
	v_mov_b32_e32 v6, 0x7f
	v_cmp_lt_u32_e32 vcc, s6, v8
	v_cndmask_b32_e32 v5, v5, v6, vcc
; %bb.1946:
	s_or_b64 exec, exec, s[4:5]
	v_lshrrev_b32_e32 v4, 8, v4
	s_movk_i32 s4, 0x80
	v_and_or_b32 v4, v4, s4, v5
	global_store_byte v[1:2], v4, off
.LBB31_1947:
	s_mov_b64 s[4:5], 0
.LBB31_1948:
	s_andn2_b64 vcc, exec, s[4:5]
	s_cbranch_vccnz .LBB31_1958
; %bb.1949:
	v_lshlrev_b32_e32 v6, 16, v3
	v_and_b32_e32 v8, 0x7fffffff, v6
	s_mov_b32 s4, 0x47800000
	v_and_b32_e32 v4, 0xffff, v3
	v_cmp_gt_u32_e32 vcc, s4, v8
                                        ; implicit-def: $vgpr5
	s_and_saveexec_b64 s[4:5], vcc
	s_xor_b64 s[4:5], exec, s[4:5]
	s_cbranch_execz .LBB31_1955
; %bb.1950:
	s_mov_b32 s6, 0x387fffff
	v_cmp_lt_u32_e32 vcc, s6, v8
                                        ; implicit-def: $vgpr5
	s_and_saveexec_b64 s[6:7], vcc
	s_xor_b64 s[6:7], exec, s[6:7]
; %bb.1951:
	v_bfe_u32 v5, v4, 5, 1
	s_mov_b32 s10, 0x80fffff
	v_add3_u32 v5, v6, v5, s10
	v_lshrrev_b32_e32 v5, 21, v5
                                        ; implicit-def: $vgpr6
; %bb.1952:
	s_andn2_saveexec_b64 s[6:7], s[6:7]
; %bb.1953:
	s_mov_b32 s10, 0x43000000
	v_add_f32_e64 v5, |v6|, s10
; %bb.1954:
	s_or_b64 exec, exec, s[6:7]
                                        ; implicit-def: $vgpr8
.LBB31_1955:
	s_andn2_saveexec_b64 s[4:5], s[4:5]
; %bb.1956:
	s_mov_b32 s6, 0x7f800000
	v_mov_b32_e32 v5, 0x7c
	v_mov_b32_e32 v6, 0x7f
	v_cmp_lt_u32_e32 vcc, s6, v8
	v_cndmask_b32_e32 v5, v5, v6, vcc
; %bb.1957:
	s_or_b64 exec, exec, s[4:5]
	v_lshrrev_b32_e32 v4, 8, v4
	s_movk_i32 s4, 0x80
	v_and_or_b32 v4, v4, s4, v5
	global_store_byte v[1:2], v4, off
.LBB31_1958:
	s_mov_b64 s[4:5], 0
	s_mov_b64 s[6:7], -1
.LBB31_1959:
	s_andn2_b64 vcc, exec, s[4:5]
	s_mov_b64 s[4:5], 0
	s_cbranch_vccnz .LBB31_1966
; %bb.1960:
	s_cmp_gt_i32 s16, 14
	s_mov_b64 s[10:11], -1
	s_cbranch_scc0 .LBB31_1964
; %bb.1961:
	s_cmp_eq_u32 s16, 15
	s_mov_b64 s[0:1], -1
	s_cbranch_scc0 .LBB31_1963
; %bb.1962:
	global_store_short v[1:2], v3, off
	s_mov_b64 s[0:1], 0
	s_mov_b64 s[6:7], -1
.LBB31_1963:
	s_mov_b64 s[10:11], 0
.LBB31_1964:
	s_and_b64 vcc, exec, s[10:11]
	s_cbranch_vccz .LBB31_1966
; %bb.1965:
	s_cmp_lg_u32 s16, 11
	s_mov_b64 s[4:5], -1
	s_cselect_b64 s[0:1], -1, 0
.LBB31_1966:
	s_and_b64 vcc, exec, s[0:1]
	s_cbranch_vccnz .LBB31_2146
; %bb.1967:
	s_andn2_b64 vcc, exec, s[4:5]
	s_cbranch_vccnz .LBB31_1969
.LBB31_1968:
	v_and_b32_e32 v4, 0x7fff, v3
	v_cmp_ne_u16_e32 vcc, 0, v4
	v_cndmask_b32_e64 v4, 0, 1, vcc
	s_mov_b64 s[6:7], -1
	global_store_byte v[1:2], v4, off
.LBB31_1969:
	s_mov_b64 s[0:1], 0
	s_branch .LBB31_1971
.LBB31_1970:
	s_mov_b64 s[0:1], -1
	s_mov_b64 s[6:7], 0
.LBB31_1971:
	s_and_b64 vcc, exec, s[0:1]
	s_cbranch_vccz .LBB31_2010
; %bb.1972:
	s_and_b32 s4, 0xffff, s14
	s_cmp_lt_i32 s4, 5
	s_mov_b64 s[0:1], -1
	s_cbranch_scc1 .LBB31_1993
; %bb.1973:
	s_cmp_lt_i32 s4, 8
	s_cbranch_scc1 .LBB31_1983
; %bb.1974:
	s_cmp_lt_i32 s4, 9
	s_cbranch_scc1 .LBB31_1980
; %bb.1975:
	s_cmp_gt_i32 s4, 9
	s_cbranch_scc0 .LBB31_1977
; %bb.1976:
	v_lshlrev_b32_e32 v4, 16, v3
	v_cvt_f64_f32_e32 v[10:11], v4
	v_mov_b32_e32 v12, 0
	v_mov_b32_e32 v13, v12
	s_mov_b64 s[0:1], 0
	global_store_dwordx4 v[1:2], v[10:13], off
.LBB31_1977:
	s_andn2_b64 vcc, exec, s[0:1]
	s_cbranch_vccnz .LBB31_1979
; %bb.1978:
	v_lshlrev_b32_e32 v4, 16, v3
	v_mov_b32_e32 v5, 0
	global_store_dwordx2 v[1:2], v[4:5], off
.LBB31_1979:
	s_mov_b64 s[0:1], 0
.LBB31_1980:
	s_andn2_b64 vcc, exec, s[0:1]
	s_cbranch_vccnz .LBB31_1982
; %bb.1981:
	v_lshlrev_b32_e32 v4, 16, v3
	v_cvt_f16_f32_e32 v4, v4
	global_store_dword v[1:2], v4, off
.LBB31_1982:
	s_mov_b64 s[0:1], 0
.LBB31_1983:
	s_andn2_b64 vcc, exec, s[0:1]
	s_cbranch_vccnz .LBB31_1992
; %bb.1984:
	s_cmp_lt_i32 s4, 6
	s_mov_b64 s[0:1], -1
	s_cbranch_scc1 .LBB31_1990
; %bb.1985:
	s_cmp_gt_i32 s4, 6
	s_cbranch_scc0 .LBB31_1987
; %bb.1986:
	v_lshlrev_b32_e32 v4, 16, v3
	v_cvt_f64_f32_e32 v[4:5], v4
	s_mov_b64 s[0:1], 0
	global_store_dwordx2 v[1:2], v[4:5], off
.LBB31_1987:
	s_andn2_b64 vcc, exec, s[0:1]
	s_cbranch_vccnz .LBB31_1989
; %bb.1988:
	v_lshlrev_b32_e32 v4, 16, v3
	global_store_dword v[1:2], v4, off
.LBB31_1989:
	s_mov_b64 s[0:1], 0
.LBB31_1990:
	s_andn2_b64 vcc, exec, s[0:1]
	s_cbranch_vccnz .LBB31_1992
; %bb.1991:
	v_lshlrev_b32_e32 v4, 16, v3
	v_cvt_f16_f32_e32 v4, v4
	global_store_short v[1:2], v4, off
.LBB31_1992:
	s_mov_b64 s[0:1], 0
.LBB31_1993:
	s_andn2_b64 vcc, exec, s[0:1]
	s_cbranch_vccnz .LBB31_2009
; %bb.1994:
	s_cmp_lt_i32 s4, 2
	s_mov_b64 s[0:1], -1
	s_cbranch_scc1 .LBB31_2004
; %bb.1995:
	s_cmp_lt_i32 s4, 3
	s_cbranch_scc1 .LBB31_2001
; %bb.1996:
	s_cmp_gt_i32 s4, 3
	s_cbranch_scc0 .LBB31_1998
; %bb.1997:
	v_lshlrev_b32_e32 v4, 16, v3
	v_trunc_f32_e32 v4, v4
	s_mov_b32 s0, 0x2f800000
	v_mul_f32_e64 v5, |v4|, s0
	v_floor_f32_e32 v5, v5
	s_mov_b32 s0, 0xcf800000
	v_cvt_u32_f32_e32 v6, v5
	v_fma_f32 v5, v5, s0, |v4|
	v_cvt_u32_f32_e32 v5, v5
	v_ashrrev_i32_e32 v8, 31, v4
	v_xor_b32_e32 v6, v6, v8
	s_mov_b64 s[0:1], 0
	v_xor_b32_e32 v4, v5, v8
	v_sub_co_u32_e32 v4, vcc, v4, v8
	v_subb_co_u32_e32 v5, vcc, v6, v8, vcc
	global_store_dwordx2 v[1:2], v[4:5], off
.LBB31_1998:
	s_andn2_b64 vcc, exec, s[0:1]
	s_cbranch_vccnz .LBB31_2000
; %bb.1999:
	v_lshlrev_b32_e32 v4, 16, v3
	v_cvt_i32_f32_e32 v4, v4
	global_store_dword v[1:2], v4, off
.LBB31_2000:
	s_mov_b64 s[0:1], 0
.LBB31_2001:
	s_andn2_b64 vcc, exec, s[0:1]
	s_cbranch_vccnz .LBB31_2003
; %bb.2002:
	v_lshlrev_b32_e32 v4, 16, v3
	v_cvt_i32_f32_e32 v4, v4
	global_store_short v[1:2], v4, off
.LBB31_2003:
	s_mov_b64 s[0:1], 0
.LBB31_2004:
	s_andn2_b64 vcc, exec, s[0:1]
	s_cbranch_vccnz .LBB31_2009
; %bb.2005:
	s_cmp_gt_i32 s4, 0
	s_mov_b64 s[0:1], -1
	s_cbranch_scc0 .LBB31_2007
; %bb.2006:
	v_lshlrev_b32_e32 v4, 16, v3
	v_cvt_i32_f32_e32 v4, v4
	s_mov_b64 s[0:1], 0
	global_store_byte v[1:2], v4, off
.LBB31_2007:
	s_andn2_b64 vcc, exec, s[0:1]
	s_cbranch_vccnz .LBB31_2009
; %bb.2008:
	v_lshlrev_b32_e32 v3, 16, v3
	v_trunc_f32_e32 v3, v3
	s_mov_b32 s0, 0x2f800000
	v_mul_f32_e64 v4, |v3|, s0
	v_floor_f32_e32 v4, v4
	s_mov_b32 s0, 0xcf800000
	v_fma_f32 v4, v4, s0, |v3|
	v_cvt_u32_f32_e32 v4, v4
	v_ashrrev_i32_e32 v3, 31, v3
	v_xor_b32_e32 v4, v4, v3
	v_sub_u32_e32 v3, v4, v3
	global_store_byte v[1:2], v3, off
.LBB31_2009:
	s_mov_b64 s[6:7], -1
.LBB31_2010:
	s_andn2_b64 vcc, exec, s[6:7]
	s_cbranch_vccnz .LBB31_2087
; %bb.2011:
	v_lshlrev_b32_e32 v1, 16, v9
	v_cmp_nle_f32_e32 vcc, v7, v1
	v_cmp_nge_f32_e64 s[0:1], s15, v1
	s_or_b64 vcc, s[0:1], vcc
	v_cndmask_b32_e32 v2, 0, v9, vcc
	v_mov_b32_e32 v1, s9
	v_add_co_u32_e32 v0, vcc, s8, v0
	s_cmp_lt_i32 s14, 11
	v_addc_co_u32_e32 v1, vcc, 0, v1, vcc
	s_cbranch_scc1 .LBB31_2132
; %bb.2012:
	s_and_b32 s12, 0xffff, s14
	s_mov_b64 s[6:7], -1
	s_mov_b64 s[4:5], 0
	s_cmp_gt_i32 s12, 25
	s_mov_b64 s[0:1], 0
	s_cbranch_scc0 .LBB31_2045
; %bb.2013:
	s_cmp_gt_i32 s12, 28
	s_cbranch_scc0 .LBB31_2029
; %bb.2014:
	s_cmp_gt_i32 s12, 43
	;; [unrolled: 3-line block ×3, first 2 shown]
	s_cbranch_scc0 .LBB31_2019
; %bb.2016:
	s_cmp_eq_u32 s12, 46
	s_mov_b64 s[0:1], -1
	s_cbranch_scc0 .LBB31_2018
; %bb.2017:
	v_and_b32_e32 v3, 0xffff, v2
	global_store_dword v[0:1], v3, off
	s_mov_b64 s[0:1], 0
.LBB31_2018:
	s_mov_b64 s[6:7], 0
.LBB31_2019:
	s_and_b64 vcc, exec, s[6:7]
	s_cbranch_vccz .LBB31_2024
; %bb.2020:
	s_cmp_eq_u32 s12, 44
	s_mov_b64 s[0:1], -1
	s_cbranch_scc0 .LBB31_2024
; %bb.2021:
	v_and_b32_e32 v4, 0xffff, v2
	v_bfe_u32 v3, v4, 7, 8
	s_movk_i32 s0, 0xff
	v_cmp_ne_u32_e32 vcc, s0, v3
	v_mov_b32_e32 v5, 0xff
	s_and_saveexec_b64 s[6:7], vcc
	s_cbranch_execz .LBB31_2023
; %bb.2022:
	v_lshlrev_b32_e32 v6, 16, v4
	s_mov_b32 s0, 0x3f0000
	v_lshrrev_b32_e32 v5, 7, v4
	v_and_b32_e32 v4, 64, v4
	v_and_or_b32 v3, v6, s0, v3
	v_cmp_ne_u32_e32 vcc, 0, v4
	v_cmp_ne_u32_e64 s[0:1], 0, v3
	s_and_b64 s[0:1], vcc, s[0:1]
	v_cndmask_b32_e64 v3, 0, 1, s[0:1]
	v_add_u32_e32 v5, v5, v3
.LBB31_2023:
	s_or_b64 exec, exec, s[6:7]
	s_mov_b64 s[0:1], 0
	global_store_byte v[0:1], v5, off
.LBB31_2024:
	s_mov_b64 s[6:7], 0
.LBB31_2025:
	s_and_b64 vcc, exec, s[6:7]
	s_cbranch_vccz .LBB31_2028
; %bb.2026:
	s_cmp_eq_u32 s12, 29
	s_mov_b64 s[0:1], -1
	s_cbranch_scc0 .LBB31_2028
; %bb.2027:
	v_lshlrev_b32_e32 v3, 16, v2
	v_trunc_f32_e32 v3, v3
	v_mul_f32_e32 v4, 0x2f800000, v3
	v_floor_f32_e32 v5, v4
	v_fmac_f32_e32 v3, 0xcf800000, v5
	v_cvt_u32_f32_e32 v4, v5
	v_cvt_u32_f32_e32 v3, v3
	s_mov_b64 s[0:1], 0
	global_store_dwordx2 v[0:1], v[3:4], off
.LBB31_2028:
	s_mov_b64 s[6:7], 0
.LBB31_2029:
	s_and_b64 vcc, exec, s[6:7]
	s_cbranch_vccz .LBB31_2044
; %bb.2030:
	s_cmp_lt_i32 s12, 27
	s_mov_b64 s[6:7], -1
	s_cbranch_scc1 .LBB31_2036
; %bb.2031:
	s_cmp_gt_i32 s12, 27
	s_cbranch_scc0 .LBB31_2033
; %bb.2032:
	v_lshlrev_b32_e32 v3, 16, v2
	v_cvt_u32_f32_e32 v3, v3
	s_mov_b64 s[6:7], 0
	global_store_dword v[0:1], v3, off
.LBB31_2033:
	s_andn2_b64 vcc, exec, s[6:7]
	s_cbranch_vccnz .LBB31_2035
; %bb.2034:
	v_lshlrev_b32_e32 v3, 16, v2
	v_cvt_u32_f32_e32 v3, v3
	global_store_short v[0:1], v3, off
.LBB31_2035:
	s_mov_b64 s[6:7], 0
.LBB31_2036:
	s_andn2_b64 vcc, exec, s[6:7]
	s_cbranch_vccnz .LBB31_2044
; %bb.2037:
	v_lshlrev_b32_e32 v5, 16, v2
	v_and_b32_e32 v4, 0x7fffffff, v5
	s_mov_b32 s6, 0x43800000
	v_cmp_gt_u32_e32 vcc, s6, v4
	v_mov_b32_e32 v6, 0x80
	s_and_saveexec_b64 s[6:7], vcc
	s_cbranch_execz .LBB31_2043
; %bb.2038:
	s_mov_b32 s8, 0x3bffffff
	v_and_b32_e32 v3, 0xffff, v2
	v_cmp_lt_u32_e32 vcc, s8, v4
	s_mov_b64 s[8:9], 0
                                        ; implicit-def: $vgpr4
	s_and_saveexec_b64 s[10:11], vcc
	s_xor_b64 s[10:11], exec, s[10:11]
	s_cbranch_execz .LBB31_2149
; %bb.2039:
	v_bfe_u32 v4, v3, 4, 1
	s_mov_b32 s13, 0x487ffff
	v_add3_u32 v4, v5, v4, s13
	s_mov_b64 s[8:9], exec
	v_lshrrev_b32_e32 v4, 20, v4
                                        ; implicit-def: $vgpr5
	s_andn2_saveexec_b64 s[10:11], s[10:11]
	s_cbranch_execnz .LBB31_2150
.LBB31_2040:
	s_or_b64 exec, exec, s[10:11]
	v_mov_b32_e32 v6, 0
	s_and_saveexec_b64 s[10:11], s[8:9]
.LBB31_2041:
	v_lshrrev_b32_e32 v3, 8, v3
	s_movk_i32 s8, 0x80
	v_and_or_b32 v6, v3, s8, v4
.LBB31_2042:
	s_or_b64 exec, exec, s[10:11]
.LBB31_2043:
	s_or_b64 exec, exec, s[6:7]
	global_store_byte v[0:1], v6, off
.LBB31_2044:
	s_mov_b64 s[6:7], 0
.LBB31_2045:
	s_and_b64 vcc, exec, s[6:7]
	s_cbranch_vccz .LBB31_2085
; %bb.2046:
	s_cmp_gt_i32 s12, 22
	s_mov_b64 s[4:5], -1
	s_cbranch_scc0 .LBB31_2078
; %bb.2047:
	s_cmp_lt_i32 s12, 24
	s_cbranch_scc1 .LBB31_2067
; %bb.2048:
	s_cmp_gt_i32 s12, 24
	s_cbranch_scc0 .LBB31_2056
; %bb.2049:
	v_lshlrev_b32_e32 v5, 16, v2
	v_and_b32_e32 v4, 0x7fffffff, v5
	s_mov_b32 s4, 0x47800000
	v_cmp_gt_u32_e32 vcc, s4, v4
	v_mov_b32_e32 v6, 0x80
	s_and_saveexec_b64 s[4:5], vcc
	s_cbranch_execz .LBB31_2055
; %bb.2050:
	s_mov_b32 s6, 0x37ffffff
	v_and_b32_e32 v3, 0xffff, v2
	v_cmp_lt_u32_e32 vcc, s6, v4
	s_mov_b64 s[6:7], 0
                                        ; implicit-def: $vgpr4
	s_and_saveexec_b64 s[8:9], vcc
	s_xor_b64 s[8:9], exec, s[8:9]
	s_cbranch_execz .LBB31_2152
; %bb.2051:
	v_bfe_u32 v4, v3, 5, 1
	s_mov_b32 s10, 0x88fffff
	v_add3_u32 v4, v5, v4, s10
	s_mov_b64 s[6:7], exec
	v_lshrrev_b32_e32 v4, 21, v4
                                        ; implicit-def: $vgpr5
	s_andn2_saveexec_b64 s[8:9], s[8:9]
	s_cbranch_execnz .LBB31_2153
.LBB31_2052:
	s_or_b64 exec, exec, s[8:9]
	v_mov_b32_e32 v6, 0
	s_and_saveexec_b64 s[8:9], s[6:7]
.LBB31_2053:
	v_lshrrev_b32_e32 v3, 8, v3
	s_movk_i32 s6, 0x80
	v_and_or_b32 v6, v3, s6, v4
.LBB31_2054:
	s_or_b64 exec, exec, s[8:9]
.LBB31_2055:
	s_or_b64 exec, exec, s[4:5]
	s_mov_b64 s[4:5], 0
	global_store_byte v[0:1], v6, off
.LBB31_2056:
	s_and_b64 vcc, exec, s[4:5]
	s_cbranch_vccz .LBB31_2066
; %bb.2057:
	v_lshlrev_b32_e32 v5, 16, v2
	v_and_b32_e32 v6, 0x7fffffff, v5
	s_mov_b32 s4, 0x43f00000
	v_and_b32_e32 v3, 0xffff, v2
	v_cmp_gt_u32_e32 vcc, s4, v6
                                        ; implicit-def: $vgpr4
	s_and_saveexec_b64 s[4:5], vcc
	s_xor_b64 s[4:5], exec, s[4:5]
	s_cbranch_execz .LBB31_2063
; %bb.2058:
	s_mov_b32 s6, 0x3c7fffff
	v_cmp_lt_u32_e32 vcc, s6, v6
                                        ; implicit-def: $vgpr4
	s_and_saveexec_b64 s[6:7], vcc
	s_xor_b64 s[6:7], exec, s[6:7]
; %bb.2059:
	v_bfe_u32 v4, v3, 4, 1
	s_mov_b32 s8, 0x407ffff
	v_add3_u32 v4, v5, v4, s8
	v_lshrrev_b32_e32 v5, 20, v4
	v_and_b32_e32 v4, 0xff00000, v4
	s_mov_b32 s8, 0x7f00000
	v_mov_b32_e32 v6, 0x7e
	v_cmp_ne_u32_e32 vcc, s8, v4
	v_cndmask_b32_e32 v4, v6, v5, vcc
                                        ; implicit-def: $vgpr5
; %bb.2060:
	s_andn2_saveexec_b64 s[6:7], s[6:7]
; %bb.2061:
	s_mov_b32 s8, 0x46800000
	v_add_f32_e64 v4, |v5|, s8
; %bb.2062:
	s_or_b64 exec, exec, s[6:7]
                                        ; implicit-def: $vgpr6
.LBB31_2063:
	s_andn2_saveexec_b64 s[4:5], s[4:5]
; %bb.2064:
	s_mov_b32 s6, 0x7f800000
	v_mov_b32_e32 v4, 0x7e
	v_mov_b32_e32 v5, 0x7f
	v_cmp_lt_u32_e32 vcc, s6, v6
	v_cndmask_b32_e32 v4, v4, v5, vcc
; %bb.2065:
	s_or_b64 exec, exec, s[4:5]
	v_lshrrev_b32_e32 v3, 8, v3
	s_movk_i32 s4, 0x80
	v_and_or_b32 v3, v3, s4, v4
	global_store_byte v[0:1], v3, off
.LBB31_2066:
	s_mov_b64 s[4:5], 0
.LBB31_2067:
	s_andn2_b64 vcc, exec, s[4:5]
	s_cbranch_vccnz .LBB31_2077
; %bb.2068:
	v_lshlrev_b32_e32 v5, 16, v2
	v_and_b32_e32 v6, 0x7fffffff, v5
	s_mov_b32 s4, 0x47800000
	v_and_b32_e32 v3, 0xffff, v2
	v_cmp_gt_u32_e32 vcc, s4, v6
                                        ; implicit-def: $vgpr4
	s_and_saveexec_b64 s[4:5], vcc
	s_xor_b64 s[4:5], exec, s[4:5]
	s_cbranch_execz .LBB31_2074
; %bb.2069:
	s_mov_b32 s6, 0x387fffff
	v_cmp_lt_u32_e32 vcc, s6, v6
                                        ; implicit-def: $vgpr4
	s_and_saveexec_b64 s[6:7], vcc
	s_xor_b64 s[6:7], exec, s[6:7]
; %bb.2070:
	v_bfe_u32 v4, v3, 5, 1
	s_mov_b32 s8, 0x80fffff
	v_add3_u32 v4, v5, v4, s8
	v_lshrrev_b32_e32 v4, 21, v4
                                        ; implicit-def: $vgpr5
; %bb.2071:
	s_andn2_saveexec_b64 s[6:7], s[6:7]
; %bb.2072:
	s_mov_b32 s8, 0x43000000
	v_add_f32_e64 v4, |v5|, s8
; %bb.2073:
	s_or_b64 exec, exec, s[6:7]
                                        ; implicit-def: $vgpr6
.LBB31_2074:
	s_andn2_saveexec_b64 s[4:5], s[4:5]
; %bb.2075:
	s_mov_b32 s6, 0x7f800000
	v_mov_b32_e32 v4, 0x7c
	v_mov_b32_e32 v5, 0x7f
	v_cmp_lt_u32_e32 vcc, s6, v6
	v_cndmask_b32_e32 v4, v4, v5, vcc
; %bb.2076:
	s_or_b64 exec, exec, s[4:5]
	v_lshrrev_b32_e32 v3, 8, v3
	s_movk_i32 s4, 0x80
	v_and_or_b32 v3, v3, s4, v4
	global_store_byte v[0:1], v3, off
.LBB31_2077:
	s_mov_b64 s[4:5], 0
.LBB31_2078:
	s_andn2_b64 vcc, exec, s[4:5]
	s_mov_b64 s[4:5], 0
	s_cbranch_vccnz .LBB31_2085
; %bb.2079:
	s_cmp_gt_i32 s12, 14
	s_mov_b64 s[6:7], -1
	s_cbranch_scc0 .LBB31_2083
; %bb.2080:
	s_cmp_eq_u32 s12, 15
	s_mov_b64 s[0:1], -1
	s_cbranch_scc0 .LBB31_2082
; %bb.2081:
	global_store_short v[0:1], v2, off
	s_mov_b64 s[0:1], 0
.LBB31_2082:
	s_mov_b64 s[6:7], 0
.LBB31_2083:
	s_and_b64 vcc, exec, s[6:7]
	s_cbranch_vccz .LBB31_2085
; %bb.2084:
	s_cmp_lg_u32 s12, 11
	s_mov_b64 s[4:5], -1
	s_cselect_b64 s[0:1], -1, 0
.LBB31_2085:
	s_and_b64 vcc, exec, s[0:1]
	s_cbranch_vccnz .LBB31_2151
.LBB31_2086:
	s_mov_b64 s[0:1], 0
	s_branch .LBB31_2088
.LBB31_2087:
	s_mov_b64 s[0:1], 0
	s_mov_b64 s[4:5], 0
                                        ; implicit-def: $vgpr0_vgpr1
                                        ; implicit-def: $sgpr14
                                        ; implicit-def: $vgpr2
.LBB31_2088:
	s_and_b64 s[6:7], s[4:5], exec
	s_andn2_b64 s[4:5], s[28:29], exec
	s_and_b64 s[2:3], s[2:3], exec
	s_and_b64 s[0:1], s[0:1], exec
	s_or_b64 s[28:29], s[4:5], s[2:3]
.LBB31_2089:
	s_or_b64 exec, exec, s[30:31]
	s_and_saveexec_b64 s[2:3], s[28:29]
	s_cbranch_execz .LBB31_2092
; %bb.2090:
	; divergent unreachable
	s_or_b64 exec, exec, s[2:3]
	s_and_saveexec_b64 s[2:3], s[6:7]
	s_xor_b64 s[2:3], exec, s[2:3]
	s_cbranch_execnz .LBB31_2093
.LBB31_2091:
	s_or_b64 exec, exec, s[2:3]
	s_and_saveexec_b64 s[2:3], s[0:1]
	s_cbranch_execnz .LBB31_2094
	s_branch .LBB31_2131
.LBB31_2092:
	s_or_b64 exec, exec, s[2:3]
	s_and_saveexec_b64 s[2:3], s[6:7]
	s_xor_b64 s[2:3], exec, s[2:3]
	s_cbranch_execz .LBB31_2091
.LBB31_2093:
	s_waitcnt vmcnt(0)
	v_and_b32_e32 v3, 0x7fff, v2
	v_cmp_ne_u16_e32 vcc, 0, v3
	v_cndmask_b32_e64 v3, 0, 1, vcc
	global_store_byte v[0:1], v3, off
	s_or_b64 exec, exec, s[2:3]
	s_and_saveexec_b64 s[2:3], s[0:1]
	s_cbranch_execz .LBB31_2131
.LBB31_2094:
	s_sext_i32_i16 s2, s14
	s_cmp_lt_i32 s2, 5
	s_mov_b64 s[0:1], -1
	s_cbranch_scc1 .LBB31_2115
; %bb.2095:
	s_cmp_lt_i32 s2, 8
	s_cbranch_scc1 .LBB31_2105
; %bb.2096:
	s_cmp_lt_i32 s2, 9
	s_cbranch_scc1 .LBB31_2102
; %bb.2097:
	s_cmp_gt_i32 s2, 9
	s_cbranch_scc0 .LBB31_2099
; %bb.2098:
	s_waitcnt vmcnt(0)
	v_lshlrev_b32_e32 v3, 16, v2
	v_cvt_f64_f32_e32 v[3:4], v3
	v_mov_b32_e32 v5, 0
	v_mov_b32_e32 v6, v5
	s_mov_b64 s[0:1], 0
	global_store_dwordx4 v[0:1], v[3:6], off
.LBB31_2099:
	s_andn2_b64 vcc, exec, s[0:1]
	s_cbranch_vccnz .LBB31_2101
; %bb.2100:
	s_waitcnt vmcnt(0)
	v_lshlrev_b32_e32 v3, 16, v2
	v_mov_b32_e32 v4, 0
	global_store_dwordx2 v[0:1], v[3:4], off
.LBB31_2101:
	s_mov_b64 s[0:1], 0
.LBB31_2102:
	s_andn2_b64 vcc, exec, s[0:1]
	s_cbranch_vccnz .LBB31_2104
; %bb.2103:
	s_waitcnt vmcnt(0)
	v_lshlrev_b32_e32 v3, 16, v2
	v_cvt_f16_f32_e32 v3, v3
	global_store_dword v[0:1], v3, off
.LBB31_2104:
	s_mov_b64 s[0:1], 0
.LBB31_2105:
	s_andn2_b64 vcc, exec, s[0:1]
	s_cbranch_vccnz .LBB31_2114
; %bb.2106:
	s_sext_i32_i16 s2, s14
	s_cmp_lt_i32 s2, 6
	s_mov_b64 s[0:1], -1
	s_cbranch_scc1 .LBB31_2112
; %bb.2107:
	s_cmp_gt_i32 s2, 6
	s_cbranch_scc0 .LBB31_2109
; %bb.2108:
	s_waitcnt vmcnt(0)
	v_lshlrev_b32_e32 v3, 16, v2
	v_cvt_f64_f32_e32 v[3:4], v3
	s_mov_b64 s[0:1], 0
	global_store_dwordx2 v[0:1], v[3:4], off
.LBB31_2109:
	s_andn2_b64 vcc, exec, s[0:1]
	s_cbranch_vccnz .LBB31_2111
; %bb.2110:
	s_waitcnt vmcnt(0)
	v_lshlrev_b32_e32 v3, 16, v2
	global_store_dword v[0:1], v3, off
.LBB31_2111:
	s_mov_b64 s[0:1], 0
.LBB31_2112:
	s_andn2_b64 vcc, exec, s[0:1]
	s_cbranch_vccnz .LBB31_2114
; %bb.2113:
	s_waitcnt vmcnt(0)
	v_lshlrev_b32_e32 v3, 16, v2
	v_cvt_f16_f32_e32 v3, v3
	global_store_short v[0:1], v3, off
.LBB31_2114:
	s_mov_b64 s[0:1], 0
.LBB31_2115:
	s_andn2_b64 vcc, exec, s[0:1]
	s_cbranch_vccnz .LBB31_2131
; %bb.2116:
	s_sext_i32_i16 s2, s14
	s_cmp_lt_i32 s2, 2
	s_mov_b64 s[0:1], -1
	s_cbranch_scc1 .LBB31_2126
; %bb.2117:
	s_cmp_lt_i32 s2, 3
	s_cbranch_scc1 .LBB31_2123
; %bb.2118:
	s_cmp_gt_i32 s2, 3
	s_cbranch_scc0 .LBB31_2120
; %bb.2119:
	s_waitcnt vmcnt(0)
	v_lshlrev_b32_e32 v3, 16, v2
	v_trunc_f32_e32 v3, v3
	s_mov_b32 s0, 0x2f800000
	v_mul_f32_e64 v4, |v3|, s0
	v_floor_f32_e32 v4, v4
	s_mov_b32 s0, 0xcf800000
	v_cvt_u32_f32_e32 v5, v4
	v_fma_f32 v4, v4, s0, |v3|
	v_cvt_u32_f32_e32 v4, v4
	v_ashrrev_i32_e32 v6, 31, v3
	v_xor_b32_e32 v5, v5, v6
	s_mov_b64 s[0:1], 0
	v_xor_b32_e32 v3, v4, v6
	v_sub_co_u32_e32 v3, vcc, v3, v6
	v_subb_co_u32_e32 v4, vcc, v5, v6, vcc
	global_store_dwordx2 v[0:1], v[3:4], off
.LBB31_2120:
	s_andn2_b64 vcc, exec, s[0:1]
	s_cbranch_vccnz .LBB31_2122
; %bb.2121:
	s_waitcnt vmcnt(0)
	v_lshlrev_b32_e32 v3, 16, v2
	v_cvt_i32_f32_e32 v3, v3
	global_store_dword v[0:1], v3, off
.LBB31_2122:
	s_mov_b64 s[0:1], 0
.LBB31_2123:
	s_andn2_b64 vcc, exec, s[0:1]
	s_cbranch_vccnz .LBB31_2125
; %bb.2124:
	s_waitcnt vmcnt(0)
	v_lshlrev_b32_e32 v3, 16, v2
	v_cvt_i32_f32_e32 v3, v3
	global_store_short v[0:1], v3, off
.LBB31_2125:
	s_mov_b64 s[0:1], 0
.LBB31_2126:
	s_andn2_b64 vcc, exec, s[0:1]
	s_cbranch_vccnz .LBB31_2131
; %bb.2127:
	s_sext_i32_i16 s0, s14
	s_cmp_gt_i32 s0, 0
	s_mov_b64 s[0:1], -1
	s_cbranch_scc0 .LBB31_2129
; %bb.2128:
	s_waitcnt vmcnt(0)
	v_lshlrev_b32_e32 v3, 16, v2
	v_cvt_i32_f32_e32 v3, v3
	s_mov_b64 s[0:1], 0
	global_store_byte v[0:1], v3, off
.LBB31_2129:
	s_andn2_b64 vcc, exec, s[0:1]
	s_cbranch_vccnz .LBB31_2131
; %bb.2130:
	v_lshlrev_b32_e32 v2, 16, v2
	v_trunc_f32_e32 v2, v2
	s_mov_b32 s0, 0x2f800000
	s_waitcnt vmcnt(0)
	v_mul_f32_e64 v3, |v2|, s0
	v_floor_f32_e32 v3, v3
	s_mov_b32 s0, 0xcf800000
	v_fma_f32 v3, v3, s0, |v2|
	v_cvt_u32_f32_e32 v3, v3
	v_ashrrev_i32_e32 v2, 31, v2
	v_xor_b32_e32 v3, v3, v2
	v_sub_u32_e32 v2, v3, v2
	global_store_byte v[0:1], v2, off
	s_endpgm
.LBB31_2131:
	s_endpgm
.LBB31_2132:
	s_mov_b64 s[4:5], 0
	s_mov_b64 s[0:1], -1
	s_branch .LBB31_2088
.LBB31_2133:
	s_trap 2
	s_or_b64 s[2:3], s[2:3], exec
	s_cbranch_execz .LBB31_1602
	s_branch .LBB31_1603
.LBB31_2134:
	s_andn2_saveexec_b64 s[12:13], s[12:13]
	s_cbranch_execz .LBB31_1682
.LBB31_2135:
	s_mov_b32 s18, 0x46000000
	v_add_f32_e64 v11, |v12|, s18
	v_and_b32_e32 v11, 0xff, v11
	v_cmp_ne_u32_e32 vcc, 0, v11
	s_andn2_b64 s[10:11], s[10:11], exec
	s_and_b64 s[18:19], vcc, exec
	s_or_b64 s[10:11], s[10:11], s[18:19]
	s_or_b64 exec, exec, s[12:13]
	v_mov_b32_e32 v13, 0
	s_and_saveexec_b64 s[12:13], s[10:11]
	s_cbranch_execnz .LBB31_1683
	s_branch .LBB31_1684
.LBB31_2136:
	s_trap 2
	s_or_b64 s[2:3], s[2:3], exec
	s_cbranch_execz .LBB31_1730
	s_branch .LBB31_1731
.LBB31_2137:
	s_andn2_saveexec_b64 s[10:11], s[10:11]
	s_cbranch_execz .LBB31_1695
.LBB31_2138:
	s_mov_b32 s12, 0x42800000
	v_add_f32_e64 v11, |v12|, s12
	v_and_b32_e32 v11, 0xff, v11
	v_cmp_ne_u32_e32 vcc, 0, v11
	s_andn2_b64 s[6:7], s[6:7], exec
	s_and_b64 s[12:13], vcc, exec
	s_or_b64 s[6:7], s[6:7], s[12:13]
	s_or_b64 exec, exec, s[10:11]
	v_mov_b32_e32 v13, 0
	s_and_saveexec_b64 s[10:11], s[6:7]
	s_cbranch_execnz .LBB31_1696
	s_branch .LBB31_1697
.LBB31_2139:
	s_andn2_saveexec_b64 s[12:13], s[12:13]
	s_cbranch_execz .LBB31_1801
.LBB31_2140:
	s_mov_b32 s17, 0x46000000
	v_add_f32_e64 v6, |v8|, s17
	v_and_b32_e32 v6, 0xff, v6
	v_cmp_ne_u32_e32 vcc, 0, v6
	s_andn2_b64 s[10:11], s[10:11], exec
	s_and_b64 s[18:19], vcc, exec
	s_or_b64 s[10:11], s[10:11], s[18:19]
	s_or_b64 exec, exec, s[12:13]
	v_mov_b32_e32 v11, 0
	s_and_saveexec_b64 s[12:13], s[10:11]
	s_cbranch_execnz .LBB31_1802
	s_branch .LBB31_1803
.LBB31_2141:
	s_trap 2
	s_or_b64 s[2:3], s[2:3], exec
	s_cbranch_execz .LBB31_1849
	s_branch .LBB31_1850
.LBB31_2142:
	s_andn2_saveexec_b64 s[10:11], s[10:11]
	s_cbranch_execz .LBB31_1814
.LBB31_2143:
	s_mov_b32 s12, 0x42800000
	v_add_f32_e64 v6, |v8|, s12
	v_and_b32_e32 v6, 0xff, v6
	v_cmp_ne_u32_e32 vcc, 0, v6
	s_andn2_b64 s[6:7], s[6:7], exec
	s_and_b64 s[12:13], vcc, exec
	s_or_b64 s[6:7], s[6:7], s[12:13]
	s_or_b64 exec, exec, s[10:11]
	v_mov_b32_e32 v11, 0
	s_and_saveexec_b64 s[10:11], s[6:7]
	s_cbranch_execnz .LBB31_1815
	s_branch .LBB31_1816
.LBB31_2144:
	s_andn2_saveexec_b64 s[12:13], s[12:13]
	s_cbranch_execz .LBB31_1920
.LBB31_2145:
	s_mov_b32 s17, 0x46000000
	v_add_f32_e64 v5, |v6|, s17
	v_and_b32_e32 v5, 0xff, v5
	v_cmp_ne_u32_e32 vcc, 0, v5
	s_andn2_b64 s[10:11], s[10:11], exec
	s_and_b64 s[18:19], vcc, exec
	s_or_b64 s[10:11], s[10:11], s[18:19]
	s_or_b64 exec, exec, s[12:13]
	v_mov_b32_e32 v8, 0
	s_and_saveexec_b64 s[12:13], s[10:11]
	s_cbranch_execnz .LBB31_1921
	s_branch .LBB31_1922
.LBB31_2146:
	s_trap 2
	s_or_b64 s[2:3], s[2:3], exec
	s_cbranch_execz .LBB31_1968
	s_branch .LBB31_1969
.LBB31_2147:
	s_andn2_saveexec_b64 s[10:11], s[10:11]
	s_cbranch_execz .LBB31_1933
.LBB31_2148:
	s_mov_b32 s12, 0x42800000
	v_add_f32_e64 v5, |v6|, s12
	v_and_b32_e32 v5, 0xff, v5
	v_cmp_ne_u32_e32 vcc, 0, v5
	s_andn2_b64 s[6:7], s[6:7], exec
	s_and_b64 s[12:13], vcc, exec
	s_or_b64 s[6:7], s[6:7], s[12:13]
	s_or_b64 exec, exec, s[10:11]
	v_mov_b32_e32 v8, 0
	s_and_saveexec_b64 s[10:11], s[6:7]
	s_cbranch_execnz .LBB31_1934
	s_branch .LBB31_1935
.LBB31_2149:
	s_andn2_saveexec_b64 s[10:11], s[10:11]
	s_cbranch_execz .LBB31_2040
.LBB31_2150:
	s_mov_b32 s13, 0x46000000
	v_add_f32_e64 v4, |v5|, s13
	v_and_b32_e32 v4, 0xff, v4
	v_cmp_ne_u32_e32 vcc, 0, v4
	s_andn2_b64 s[8:9], s[8:9], exec
	s_and_b64 s[16:17], vcc, exec
	s_or_b64 s[8:9], s[8:9], s[16:17]
	s_or_b64 exec, exec, s[10:11]
	v_mov_b32_e32 v6, 0
	s_and_saveexec_b64 s[10:11], s[8:9]
	s_cbranch_execnz .LBB31_2041
	s_branch .LBB31_2042
.LBB31_2151:
	s_mov_b64 s[4:5], 0
	s_or_b64 s[2:3], s[2:3], exec
	s_trap 2
	s_branch .LBB31_2086
.LBB31_2152:
	s_andn2_saveexec_b64 s[8:9], s[8:9]
	s_cbranch_execz .LBB31_2052
.LBB31_2153:
	s_mov_b32 s10, 0x42800000
	v_add_f32_e64 v4, |v5|, s10
	v_and_b32_e32 v4, 0xff, v4
	v_cmp_ne_u32_e32 vcc, 0, v4
	s_andn2_b64 s[6:7], s[6:7], exec
	s_and_b64 s[10:11], vcc, exec
	s_or_b64 s[6:7], s[6:7], s[10:11]
	s_or_b64 exec, exec, s[8:9]
	v_mov_b32_e32 v6, 0
	s_and_saveexec_b64 s[8:9], s[6:7]
	s_cbranch_execnz .LBB31_2053
	s_branch .LBB31_2054
	.section	.rodata,"a",@progbits
	.p2align	6, 0x0
	.amdhsa_kernel _ZN2at6native32elementwise_kernel_manual_unrollILi128ELi4EZNS0_15gpu_kernel_implIZZZNS0_12_GLOBAL__N_117hardshrink_kernelERNS_18TensorIteratorBaseERKN3c106ScalarEENKUlvE_clEvENKUlvE2_clEvEUlNS6_8BFloat16EE_EEvS5_RKT_EUlibE0_EEviT1_
		.amdhsa_group_segment_fixed_size 0
		.amdhsa_private_segment_fixed_size 0
		.amdhsa_kernarg_size 360
		.amdhsa_user_sgpr_count 6
		.amdhsa_user_sgpr_private_segment_buffer 1
		.amdhsa_user_sgpr_dispatch_ptr 0
		.amdhsa_user_sgpr_queue_ptr 0
		.amdhsa_user_sgpr_kernarg_segment_ptr 1
		.amdhsa_user_sgpr_dispatch_id 0
		.amdhsa_user_sgpr_flat_scratch_init 0
		.amdhsa_user_sgpr_private_segment_size 0
		.amdhsa_uses_dynamic_stack 0
		.amdhsa_system_sgpr_private_segment_wavefront_offset 0
		.amdhsa_system_sgpr_workgroup_id_x 1
		.amdhsa_system_sgpr_workgroup_id_y 0
		.amdhsa_system_sgpr_workgroup_id_z 0
		.amdhsa_system_sgpr_workgroup_info 0
		.amdhsa_system_vgpr_workitem_id 0
		.amdhsa_next_free_vgpr 18
		.amdhsa_next_free_sgpr 79
		.amdhsa_reserve_vcc 1
		.amdhsa_reserve_flat_scratch 0
		.amdhsa_float_round_mode_32 0
		.amdhsa_float_round_mode_16_64 0
		.amdhsa_float_denorm_mode_32 3
		.amdhsa_float_denorm_mode_16_64 3
		.amdhsa_dx10_clamp 1
		.amdhsa_ieee_mode 1
		.amdhsa_fp16_overflow 0
		.amdhsa_exception_fp_ieee_invalid_op 0
		.amdhsa_exception_fp_denorm_src 0
		.amdhsa_exception_fp_ieee_div_zero 0
		.amdhsa_exception_fp_ieee_overflow 0
		.amdhsa_exception_fp_ieee_underflow 0
		.amdhsa_exception_fp_ieee_inexact 0
		.amdhsa_exception_int_div_zero 0
	.end_amdhsa_kernel
	.section	.text._ZN2at6native32elementwise_kernel_manual_unrollILi128ELi4EZNS0_15gpu_kernel_implIZZZNS0_12_GLOBAL__N_117hardshrink_kernelERNS_18TensorIteratorBaseERKN3c106ScalarEENKUlvE_clEvENKUlvE2_clEvEUlNS6_8BFloat16EE_EEvS5_RKT_EUlibE0_EEviT1_,"axG",@progbits,_ZN2at6native32elementwise_kernel_manual_unrollILi128ELi4EZNS0_15gpu_kernel_implIZZZNS0_12_GLOBAL__N_117hardshrink_kernelERNS_18TensorIteratorBaseERKN3c106ScalarEENKUlvE_clEvENKUlvE2_clEvEUlNS6_8BFloat16EE_EEvS5_RKT_EUlibE0_EEviT1_,comdat
.Lfunc_end31:
	.size	_ZN2at6native32elementwise_kernel_manual_unrollILi128ELi4EZNS0_15gpu_kernel_implIZZZNS0_12_GLOBAL__N_117hardshrink_kernelERNS_18TensorIteratorBaseERKN3c106ScalarEENKUlvE_clEvENKUlvE2_clEvEUlNS6_8BFloat16EE_EEvS5_RKT_EUlibE0_EEviT1_, .Lfunc_end31-_ZN2at6native32elementwise_kernel_manual_unrollILi128ELi4EZNS0_15gpu_kernel_implIZZZNS0_12_GLOBAL__N_117hardshrink_kernelERNS_18TensorIteratorBaseERKN3c106ScalarEENKUlvE_clEvENKUlvE2_clEvEUlNS6_8BFloat16EE_EEvS5_RKT_EUlibE0_EEviT1_
                                        ; -- End function
	.set _ZN2at6native32elementwise_kernel_manual_unrollILi128ELi4EZNS0_15gpu_kernel_implIZZZNS0_12_GLOBAL__N_117hardshrink_kernelERNS_18TensorIteratorBaseERKN3c106ScalarEENKUlvE_clEvENKUlvE2_clEvEUlNS6_8BFloat16EE_EEvS5_RKT_EUlibE0_EEviT1_.num_vgpr, 18
	.set _ZN2at6native32elementwise_kernel_manual_unrollILi128ELi4EZNS0_15gpu_kernel_implIZZZNS0_12_GLOBAL__N_117hardshrink_kernelERNS_18TensorIteratorBaseERKN3c106ScalarEENKUlvE_clEvENKUlvE2_clEvEUlNS6_8BFloat16EE_EEvS5_RKT_EUlibE0_EEviT1_.num_agpr, 0
	.set _ZN2at6native32elementwise_kernel_manual_unrollILi128ELi4EZNS0_15gpu_kernel_implIZZZNS0_12_GLOBAL__N_117hardshrink_kernelERNS_18TensorIteratorBaseERKN3c106ScalarEENKUlvE_clEvENKUlvE2_clEvEUlNS6_8BFloat16EE_EEvS5_RKT_EUlibE0_EEviT1_.numbered_sgpr, 79
	.set _ZN2at6native32elementwise_kernel_manual_unrollILi128ELi4EZNS0_15gpu_kernel_implIZZZNS0_12_GLOBAL__N_117hardshrink_kernelERNS_18TensorIteratorBaseERKN3c106ScalarEENKUlvE_clEvENKUlvE2_clEvEUlNS6_8BFloat16EE_EEvS5_RKT_EUlibE0_EEviT1_.num_named_barrier, 0
	.set _ZN2at6native32elementwise_kernel_manual_unrollILi128ELi4EZNS0_15gpu_kernel_implIZZZNS0_12_GLOBAL__N_117hardshrink_kernelERNS_18TensorIteratorBaseERKN3c106ScalarEENKUlvE_clEvENKUlvE2_clEvEUlNS6_8BFloat16EE_EEvS5_RKT_EUlibE0_EEviT1_.private_seg_size, 0
	.set _ZN2at6native32elementwise_kernel_manual_unrollILi128ELi4EZNS0_15gpu_kernel_implIZZZNS0_12_GLOBAL__N_117hardshrink_kernelERNS_18TensorIteratorBaseERKN3c106ScalarEENKUlvE_clEvENKUlvE2_clEvEUlNS6_8BFloat16EE_EEvS5_RKT_EUlibE0_EEviT1_.uses_vcc, 1
	.set _ZN2at6native32elementwise_kernel_manual_unrollILi128ELi4EZNS0_15gpu_kernel_implIZZZNS0_12_GLOBAL__N_117hardshrink_kernelERNS_18TensorIteratorBaseERKN3c106ScalarEENKUlvE_clEvENKUlvE2_clEvEUlNS6_8BFloat16EE_EEvS5_RKT_EUlibE0_EEviT1_.uses_flat_scratch, 0
	.set _ZN2at6native32elementwise_kernel_manual_unrollILi128ELi4EZNS0_15gpu_kernel_implIZZZNS0_12_GLOBAL__N_117hardshrink_kernelERNS_18TensorIteratorBaseERKN3c106ScalarEENKUlvE_clEvENKUlvE2_clEvEUlNS6_8BFloat16EE_EEvS5_RKT_EUlibE0_EEviT1_.has_dyn_sized_stack, 0
	.set _ZN2at6native32elementwise_kernel_manual_unrollILi128ELi4EZNS0_15gpu_kernel_implIZZZNS0_12_GLOBAL__N_117hardshrink_kernelERNS_18TensorIteratorBaseERKN3c106ScalarEENKUlvE_clEvENKUlvE2_clEvEUlNS6_8BFloat16EE_EEvS5_RKT_EUlibE0_EEviT1_.has_recursion, 0
	.set _ZN2at6native32elementwise_kernel_manual_unrollILi128ELi4EZNS0_15gpu_kernel_implIZZZNS0_12_GLOBAL__N_117hardshrink_kernelERNS_18TensorIteratorBaseERKN3c106ScalarEENKUlvE_clEvENKUlvE2_clEvEUlNS6_8BFloat16EE_EEvS5_RKT_EUlibE0_EEviT1_.has_indirect_call, 0
	.section	.AMDGPU.csdata,"",@progbits
; Kernel info:
; codeLenInByte = 43184
; TotalNumSgprs: 83
; NumVgprs: 18
; ScratchSize: 0
; MemoryBound: 0
; FloatMode: 240
; IeeeMode: 1
; LDSByteSize: 0 bytes/workgroup (compile time only)
; SGPRBlocks: 10
; VGPRBlocks: 4
; NumSGPRsForWavesPerEU: 83
; NumVGPRsForWavesPerEU: 18
; Occupancy: 9
; WaveLimiterHint : 1
; COMPUTE_PGM_RSRC2:SCRATCH_EN: 0
; COMPUTE_PGM_RSRC2:USER_SGPR: 6
; COMPUTE_PGM_RSRC2:TRAP_HANDLER: 0
; COMPUTE_PGM_RSRC2:TGID_X_EN: 1
; COMPUTE_PGM_RSRC2:TGID_Y_EN: 0
; COMPUTE_PGM_RSRC2:TGID_Z_EN: 0
; COMPUTE_PGM_RSRC2:TIDIG_COMP_CNT: 0
	.section	.AMDGPU.gpr_maximums,"",@progbits
	.set amdgpu.max_num_vgpr, 0
	.set amdgpu.max_num_agpr, 0
	.set amdgpu.max_num_sgpr, 0
	.section	.AMDGPU.csdata,"",@progbits
	.type	__hip_cuid_c3c315da6c2ea215,@object ; @__hip_cuid_c3c315da6c2ea215
	.section	.bss,"aw",@nobits
	.globl	__hip_cuid_c3c315da6c2ea215
__hip_cuid_c3c315da6c2ea215:
	.byte	0                               ; 0x0
	.size	__hip_cuid_c3c315da6c2ea215, 1

	.ident	"AMD clang version 22.0.0git (https://github.com/RadeonOpenCompute/llvm-project roc-7.2.4 26084 f58b06dce1f9c15707c5f808fd002e18c2accf7e)"
	.section	".note.GNU-stack","",@progbits
	.addrsig
	.addrsig_sym __hip_cuid_c3c315da6c2ea215
	.amdgpu_metadata
---
amdhsa.kernels:
  - .args:
      - .offset:         0
        .size:           4
        .value_kind:     by_value
      - .offset:         8
        .size:           8
        .value_kind:     by_value
      - .offset:         16
        .size:           16
        .value_kind:     by_value
    .group_segment_fixed_size: 0
    .kernarg_segment_align: 8
    .kernarg_segment_size: 32
    .language:       OpenCL C
    .language_version:
      - 2
      - 0
    .max_flat_workgroup_size: 256
    .name:           _ZN2at6native29vectorized_elementwise_kernelILi16EZZZNS0_12_GLOBAL__N_117hardshrink_kernelERNS_18TensorIteratorBaseERKN3c106ScalarEENKUlvE_clEvENKUlvE_clEvEUldE_St5arrayIPcLm2EEEEviT0_T1_
    .private_segment_fixed_size: 0
    .sgpr_count:     30
    .sgpr_spill_count: 0
    .symbol:         _ZN2at6native29vectorized_elementwise_kernelILi16EZZZNS0_12_GLOBAL__N_117hardshrink_kernelERNS_18TensorIteratorBaseERKN3c106ScalarEENKUlvE_clEvENKUlvE_clEvEUldE_St5arrayIPcLm2EEEEviT0_T1_.kd
    .uniform_work_group_size: 1
    .uses_dynamic_stack: false
    .vgpr_count:     16
    .vgpr_spill_count: 0
    .wavefront_size: 64
  - .args:
      - .offset:         0
        .size:           4
        .value_kind:     by_value
      - .offset:         8
        .size:           8
        .value_kind:     by_value
      - .offset:         16
        .size:           16
        .value_kind:     by_value
    .group_segment_fixed_size: 0
    .kernarg_segment_align: 8
    .kernarg_segment_size: 32
    .language:       OpenCL C
    .language_version:
      - 2
      - 0
    .max_flat_workgroup_size: 256
    .name:           _ZN2at6native29vectorized_elementwise_kernelILi8EZZZNS0_12_GLOBAL__N_117hardshrink_kernelERNS_18TensorIteratorBaseERKN3c106ScalarEENKUlvE_clEvENKUlvE_clEvEUldE_St5arrayIPcLm2EEEEviT0_T1_
    .private_segment_fixed_size: 0
    .sgpr_count:     30
    .sgpr_spill_count: 0
    .symbol:         _ZN2at6native29vectorized_elementwise_kernelILi8EZZZNS0_12_GLOBAL__N_117hardshrink_kernelERNS_18TensorIteratorBaseERKN3c106ScalarEENKUlvE_clEvENKUlvE_clEvEUldE_St5arrayIPcLm2EEEEviT0_T1_.kd
    .uniform_work_group_size: 1
    .uses_dynamic_stack: false
    .vgpr_count:     16
    .vgpr_spill_count: 0
    .wavefront_size: 64
  - .args:
      - .offset:         0
        .size:           4
        .value_kind:     by_value
      - .offset:         8
        .size:           8
        .value_kind:     by_value
      - .offset:         16
        .size:           16
        .value_kind:     by_value
    .group_segment_fixed_size: 0
    .kernarg_segment_align: 8
    .kernarg_segment_size: 32
    .language:       OpenCL C
    .language_version:
      - 2
      - 0
    .max_flat_workgroup_size: 256
    .name:           _ZN2at6native29vectorized_elementwise_kernelILi4EZZZNS0_12_GLOBAL__N_117hardshrink_kernelERNS_18TensorIteratorBaseERKN3c106ScalarEENKUlvE_clEvENKUlvE_clEvEUldE_St5arrayIPcLm2EEEEviT0_T1_
    .private_segment_fixed_size: 0
    .sgpr_count:     30
    .sgpr_spill_count: 0
    .symbol:         _ZN2at6native29vectorized_elementwise_kernelILi4EZZZNS0_12_GLOBAL__N_117hardshrink_kernelERNS_18TensorIteratorBaseERKN3c106ScalarEENKUlvE_clEvENKUlvE_clEvEUldE_St5arrayIPcLm2EEEEviT0_T1_.kd
    .uniform_work_group_size: 1
    .uses_dynamic_stack: false
    .vgpr_count:     16
    .vgpr_spill_count: 0
    .wavefront_size: 64
  - .args:
      - .offset:         0
        .size:           4
        .value_kind:     by_value
      - .offset:         8
        .size:           8
        .value_kind:     by_value
      - .offset:         16
        .size:           16
        .value_kind:     by_value
    .group_segment_fixed_size: 0
    .kernarg_segment_align: 8
    .kernarg_segment_size: 32
    .language:       OpenCL C
    .language_version:
      - 2
      - 0
    .max_flat_workgroup_size: 256
    .name:           _ZN2at6native29vectorized_elementwise_kernelILi2EZZZNS0_12_GLOBAL__N_117hardshrink_kernelERNS_18TensorIteratorBaseERKN3c106ScalarEENKUlvE_clEvENKUlvE_clEvEUldE_St5arrayIPcLm2EEEEviT0_T1_
    .private_segment_fixed_size: 0
    .sgpr_count:     30
    .sgpr_spill_count: 0
    .symbol:         _ZN2at6native29vectorized_elementwise_kernelILi2EZZZNS0_12_GLOBAL__N_117hardshrink_kernelERNS_18TensorIteratorBaseERKN3c106ScalarEENKUlvE_clEvENKUlvE_clEvEUldE_St5arrayIPcLm2EEEEviT0_T1_.kd
    .uniform_work_group_size: 1
    .uses_dynamic_stack: false
    .vgpr_count:     16
    .vgpr_spill_count: 0
    .wavefront_size: 64
  - .args:
      - .offset:         0
        .size:           4
        .value_kind:     by_value
      - .offset:         8
        .size:           8
        .value_kind:     by_value
      - .offset:         16
        .size:           16
        .value_kind:     by_value
      - .offset:         32
        .size:           1
        .value_kind:     by_value
      - .offset:         33
        .size:           1
        .value_kind:     by_value
      - .offset:         34
        .size:           1
        .value_kind:     by_value
      - .offset:         35
        .size:           1
        .value_kind:     by_value
    .group_segment_fixed_size: 0
    .kernarg_segment_align: 8
    .kernarg_segment_size: 36
    .language:       OpenCL C
    .language_version:
      - 2
      - 0
    .max_flat_workgroup_size: 256
    .name:           _ZN2at6native27unrolled_elementwise_kernelIZZZNS0_12_GLOBAL__N_117hardshrink_kernelERNS_18TensorIteratorBaseERKN3c106ScalarEENKUlvE_clEvENKUlvE_clEvEUldE_St5arrayIPcLm2EELi4E23TrivialOffsetCalculatorILi1EjESG_NS0_6memory15LoadWithoutCastENSH_16StoreWithoutCastEEEviT_T0_T2_T3_T4_T5_
    .private_segment_fixed_size: 0
    .sgpr_count:     20
    .sgpr_spill_count: 0
    .symbol:         _ZN2at6native27unrolled_elementwise_kernelIZZZNS0_12_GLOBAL__N_117hardshrink_kernelERNS_18TensorIteratorBaseERKN3c106ScalarEENKUlvE_clEvENKUlvE_clEvEUldE_St5arrayIPcLm2EELi4E23TrivialOffsetCalculatorILi1EjESG_NS0_6memory15LoadWithoutCastENSH_16StoreWithoutCastEEEviT_T0_T2_T3_T4_T5_.kd
    .uniform_work_group_size: 1
    .uses_dynamic_stack: false
    .vgpr_count:     16
    .vgpr_spill_count: 0
    .wavefront_size: 64
  - .args:
      - .offset:         0
        .size:           4
        .value_kind:     by_value
      - .offset:         8
        .size:           352
        .value_kind:     by_value
    .group_segment_fixed_size: 0
    .kernarg_segment_align: 8
    .kernarg_segment_size: 360
    .language:       OpenCL C
    .language_version:
      - 2
      - 0
    .max_flat_workgroup_size: 128
    .name:           _ZN2at6native32elementwise_kernel_manual_unrollILi128ELi4EZNS0_22gpu_kernel_impl_nocastIZZZNS0_12_GLOBAL__N_117hardshrink_kernelERNS_18TensorIteratorBaseERKN3c106ScalarEENKUlvE_clEvENKUlvE_clEvEUldE_EEvS5_RKT_EUlibE_EEviT1_
    .private_segment_fixed_size: 0
    .sgpr_count:     66
    .sgpr_spill_count: 0
    .symbol:         _ZN2at6native32elementwise_kernel_manual_unrollILi128ELi4EZNS0_22gpu_kernel_impl_nocastIZZZNS0_12_GLOBAL__N_117hardshrink_kernelERNS_18TensorIteratorBaseERKN3c106ScalarEENKUlvE_clEvENKUlvE_clEvEUldE_EEvS5_RKT_EUlibE_EEviT1_.kd
    .uniform_work_group_size: 1
    .uses_dynamic_stack: false
    .vgpr_count:     20
    .vgpr_spill_count: 0
    .wavefront_size: 64
  - .args:
      - .offset:         0
        .size:           4
        .value_kind:     by_value
      - .offset:         8
        .size:           40
        .value_kind:     by_value
    .group_segment_fixed_size: 0
    .kernarg_segment_align: 8
    .kernarg_segment_size: 48
    .language:       OpenCL C
    .language_version:
      - 2
      - 0
    .max_flat_workgroup_size: 128
    .name:           _ZN2at6native32elementwise_kernel_manual_unrollILi128ELi4EZNS0_15gpu_kernel_implIZZZNS0_12_GLOBAL__N_117hardshrink_kernelERNS_18TensorIteratorBaseERKN3c106ScalarEENKUlvE_clEvENKUlvE_clEvEUldE_EEvS5_RKT_EUlibE_EEviT1_
    .private_segment_fixed_size: 0
    .sgpr_count:     50
    .sgpr_spill_count: 0
    .symbol:         _ZN2at6native32elementwise_kernel_manual_unrollILi128ELi4EZNS0_15gpu_kernel_implIZZZNS0_12_GLOBAL__N_117hardshrink_kernelERNS_18TensorIteratorBaseERKN3c106ScalarEENKUlvE_clEvENKUlvE_clEvEUldE_EEvS5_RKT_EUlibE_EEviT1_.kd
    .uniform_work_group_size: 1
    .uses_dynamic_stack: false
    .vgpr_count:     16
    .vgpr_spill_count: 0
    .wavefront_size: 64
  - .args:
      - .offset:         0
        .size:           4
        .value_kind:     by_value
      - .offset:         8
        .size:           360
        .value_kind:     by_value
    .group_segment_fixed_size: 0
    .kernarg_segment_align: 8
    .kernarg_segment_size: 368
    .language:       OpenCL C
    .language_version:
      - 2
      - 0
    .max_flat_workgroup_size: 128
    .name:           _ZN2at6native32elementwise_kernel_manual_unrollILi128ELi4EZNS0_15gpu_kernel_implIZZZNS0_12_GLOBAL__N_117hardshrink_kernelERNS_18TensorIteratorBaseERKN3c106ScalarEENKUlvE_clEvENKUlvE_clEvEUldE_EEvS5_RKT_EUlibE0_EEviT1_
    .private_segment_fixed_size: 0
    .sgpr_count:     84
    .sgpr_spill_count: 0
    .symbol:         _ZN2at6native32elementwise_kernel_manual_unrollILi128ELi4EZNS0_15gpu_kernel_implIZZZNS0_12_GLOBAL__N_117hardshrink_kernelERNS_18TensorIteratorBaseERKN3c106ScalarEENKUlvE_clEvENKUlvE_clEvEUldE_EEvS5_RKT_EUlibE0_EEviT1_.kd
    .uniform_work_group_size: 1
    .uses_dynamic_stack: false
    .vgpr_count:     19
    .vgpr_spill_count: 0
    .wavefront_size: 64
  - .args:
      - .offset:         0
        .size:           4
        .value_kind:     by_value
      - .offset:         4
        .size:           4
        .value_kind:     by_value
      - .offset:         8
        .size:           16
        .value_kind:     by_value
    .group_segment_fixed_size: 0
    .kernarg_segment_align: 8
    .kernarg_segment_size: 24
    .language:       OpenCL C
    .language_version:
      - 2
      - 0
    .max_flat_workgroup_size: 256
    .name:           _ZN2at6native29vectorized_elementwise_kernelILi16EZZZNS0_12_GLOBAL__N_117hardshrink_kernelERNS_18TensorIteratorBaseERKN3c106ScalarEENKUlvE_clEvENKUlvE0_clEvEUlfE_St5arrayIPcLm2EEEEviT0_T1_
    .private_segment_fixed_size: 0
    .sgpr_count:     28
    .sgpr_spill_count: 0
    .symbol:         _ZN2at6native29vectorized_elementwise_kernelILi16EZZZNS0_12_GLOBAL__N_117hardshrink_kernelERNS_18TensorIteratorBaseERKN3c106ScalarEENKUlvE_clEvENKUlvE0_clEvEUlfE_St5arrayIPcLm2EEEEviT0_T1_.kd
    .uniform_work_group_size: 1
    .uses_dynamic_stack: false
    .vgpr_count:     10
    .vgpr_spill_count: 0
    .wavefront_size: 64
  - .args:
      - .offset:         0
        .size:           4
        .value_kind:     by_value
      - .offset:         4
        .size:           4
        .value_kind:     by_value
      - .offset:         8
        .size:           16
        .value_kind:     by_value
    .group_segment_fixed_size: 0
    .kernarg_segment_align: 8
    .kernarg_segment_size: 24
    .language:       OpenCL C
    .language_version:
      - 2
      - 0
    .max_flat_workgroup_size: 256
    .name:           _ZN2at6native29vectorized_elementwise_kernelILi8EZZZNS0_12_GLOBAL__N_117hardshrink_kernelERNS_18TensorIteratorBaseERKN3c106ScalarEENKUlvE_clEvENKUlvE0_clEvEUlfE_St5arrayIPcLm2EEEEviT0_T1_
    .private_segment_fixed_size: 0
    .sgpr_count:     28
    .sgpr_spill_count: 0
    .symbol:         _ZN2at6native29vectorized_elementwise_kernelILi8EZZZNS0_12_GLOBAL__N_117hardshrink_kernelERNS_18TensorIteratorBaseERKN3c106ScalarEENKUlvE_clEvENKUlvE0_clEvEUlfE_St5arrayIPcLm2EEEEviT0_T1_.kd
    .uniform_work_group_size: 1
    .uses_dynamic_stack: false
    .vgpr_count:     10
    .vgpr_spill_count: 0
    .wavefront_size: 64
  - .args:
      - .offset:         0
        .size:           4
        .value_kind:     by_value
      - .offset:         4
        .size:           4
        .value_kind:     by_value
      - .offset:         8
        .size:           16
        .value_kind:     by_value
    .group_segment_fixed_size: 0
    .kernarg_segment_align: 8
    .kernarg_segment_size: 24
    .language:       OpenCL C
    .language_version:
      - 2
      - 0
    .max_flat_workgroup_size: 256
    .name:           _ZN2at6native29vectorized_elementwise_kernelILi4EZZZNS0_12_GLOBAL__N_117hardshrink_kernelERNS_18TensorIteratorBaseERKN3c106ScalarEENKUlvE_clEvENKUlvE0_clEvEUlfE_St5arrayIPcLm2EEEEviT0_T1_
    .private_segment_fixed_size: 0
    .sgpr_count:     28
    .sgpr_spill_count: 0
    .symbol:         _ZN2at6native29vectorized_elementwise_kernelILi4EZZZNS0_12_GLOBAL__N_117hardshrink_kernelERNS_18TensorIteratorBaseERKN3c106ScalarEENKUlvE_clEvENKUlvE0_clEvEUlfE_St5arrayIPcLm2EEEEviT0_T1_.kd
    .uniform_work_group_size: 1
    .uses_dynamic_stack: false
    .vgpr_count:     10
    .vgpr_spill_count: 0
    .wavefront_size: 64
  - .args:
      - .offset:         0
        .size:           4
        .value_kind:     by_value
      - .offset:         4
        .size:           4
        .value_kind:     by_value
      - .offset:         8
        .size:           16
        .value_kind:     by_value
    .group_segment_fixed_size: 0
    .kernarg_segment_align: 8
    .kernarg_segment_size: 24
    .language:       OpenCL C
    .language_version:
      - 2
      - 0
    .max_flat_workgroup_size: 256
    .name:           _ZN2at6native29vectorized_elementwise_kernelILi2EZZZNS0_12_GLOBAL__N_117hardshrink_kernelERNS_18TensorIteratorBaseERKN3c106ScalarEENKUlvE_clEvENKUlvE0_clEvEUlfE_St5arrayIPcLm2EEEEviT0_T1_
    .private_segment_fixed_size: 0
    .sgpr_count:     28
    .sgpr_spill_count: 0
    .symbol:         _ZN2at6native29vectorized_elementwise_kernelILi2EZZZNS0_12_GLOBAL__N_117hardshrink_kernelERNS_18TensorIteratorBaseERKN3c106ScalarEENKUlvE_clEvENKUlvE0_clEvEUlfE_St5arrayIPcLm2EEEEviT0_T1_.kd
    .uniform_work_group_size: 1
    .uses_dynamic_stack: false
    .vgpr_count:     10
    .vgpr_spill_count: 0
    .wavefront_size: 64
  - .args:
      - .offset:         0
        .size:           4
        .value_kind:     by_value
      - .offset:         4
        .size:           4
        .value_kind:     by_value
      - .offset:         8
        .size:           16
        .value_kind:     by_value
      - .offset:         24
        .size:           1
        .value_kind:     by_value
      - .offset:         25
        .size:           1
        .value_kind:     by_value
      - .offset:         26
        .size:           1
        .value_kind:     by_value
      - .offset:         27
        .size:           1
        .value_kind:     by_value
    .group_segment_fixed_size: 0
    .kernarg_segment_align: 8
    .kernarg_segment_size: 28
    .language:       OpenCL C
    .language_version:
      - 2
      - 0
    .max_flat_workgroup_size: 256
    .name:           _ZN2at6native27unrolled_elementwise_kernelIZZZNS0_12_GLOBAL__N_117hardshrink_kernelERNS_18TensorIteratorBaseERKN3c106ScalarEENKUlvE_clEvENKUlvE0_clEvEUlfE_St5arrayIPcLm2EELi4E23TrivialOffsetCalculatorILi1EjESG_NS0_6memory15LoadWithoutCastENSH_16StoreWithoutCastEEEviT_T0_T2_T3_T4_T5_
    .private_segment_fixed_size: 0
    .sgpr_count:     16
    .sgpr_spill_count: 0
    .symbol:         _ZN2at6native27unrolled_elementwise_kernelIZZZNS0_12_GLOBAL__N_117hardshrink_kernelERNS_18TensorIteratorBaseERKN3c106ScalarEENKUlvE_clEvENKUlvE0_clEvEUlfE_St5arrayIPcLm2EELi4E23TrivialOffsetCalculatorILi1EjESG_NS0_6memory15LoadWithoutCastENSH_16StoreWithoutCastEEEviT_T0_T2_T3_T4_T5_.kd
    .uniform_work_group_size: 1
    .uses_dynamic_stack: false
    .vgpr_count:     10
    .vgpr_spill_count: 0
    .wavefront_size: 64
  - .args:
      - .offset:         0
        .size:           4
        .value_kind:     by_value
      - .offset:         8
        .size:           352
        .value_kind:     by_value
    .group_segment_fixed_size: 0
    .kernarg_segment_align: 8
    .kernarg_segment_size: 360
    .language:       OpenCL C
    .language_version:
      - 2
      - 0
    .max_flat_workgroup_size: 128
    .name:           _ZN2at6native32elementwise_kernel_manual_unrollILi128ELi4EZNS0_22gpu_kernel_impl_nocastIZZZNS0_12_GLOBAL__N_117hardshrink_kernelERNS_18TensorIteratorBaseERKN3c106ScalarEENKUlvE_clEvENKUlvE0_clEvEUlfE_EEvS5_RKT_EUlibE_EEviT1_
    .private_segment_fixed_size: 0
    .sgpr_count:     65
    .sgpr_spill_count: 0
    .symbol:         _ZN2at6native32elementwise_kernel_manual_unrollILi128ELi4EZNS0_22gpu_kernel_impl_nocastIZZZNS0_12_GLOBAL__N_117hardshrink_kernelERNS_18TensorIteratorBaseERKN3c106ScalarEENKUlvE_clEvENKUlvE0_clEvEUlfE_EEvS5_RKT_EUlibE_EEviT1_.kd
    .uniform_work_group_size: 1
    .uses_dynamic_stack: false
    .vgpr_count:     18
    .vgpr_spill_count: 0
    .wavefront_size: 64
  - .args:
      - .offset:         0
        .size:           4
        .value_kind:     by_value
      - .offset:         8
        .size:           32
        .value_kind:     by_value
    .group_segment_fixed_size: 0
    .kernarg_segment_align: 8
    .kernarg_segment_size: 40
    .language:       OpenCL C
    .language_version:
      - 2
      - 0
    .max_flat_workgroup_size: 128
    .name:           _ZN2at6native32elementwise_kernel_manual_unrollILi128ELi4EZNS0_15gpu_kernel_implIZZZNS0_12_GLOBAL__N_117hardshrink_kernelERNS_18TensorIteratorBaseERKN3c106ScalarEENKUlvE_clEvENKUlvE0_clEvEUlfE_EEvS5_RKT_EUlibE_EEviT1_
    .private_segment_fixed_size: 0
    .sgpr_count:     49
    .sgpr_spill_count: 0
    .symbol:         _ZN2at6native32elementwise_kernel_manual_unrollILi128ELi4EZNS0_15gpu_kernel_implIZZZNS0_12_GLOBAL__N_117hardshrink_kernelERNS_18TensorIteratorBaseERKN3c106ScalarEENKUlvE_clEvENKUlvE0_clEvEUlfE_EEvS5_RKT_EUlibE_EEviT1_.kd
    .uniform_work_group_size: 1
    .uses_dynamic_stack: false
    .vgpr_count:     12
    .vgpr_spill_count: 0
    .wavefront_size: 64
  - .args:
      - .offset:         0
        .size:           4
        .value_kind:     by_value
      - .offset:         8
        .size:           352
        .value_kind:     by_value
    .group_segment_fixed_size: 0
    .kernarg_segment_align: 8
    .kernarg_segment_size: 360
    .language:       OpenCL C
    .language_version:
      - 2
      - 0
    .max_flat_workgroup_size: 128
    .name:           _ZN2at6native32elementwise_kernel_manual_unrollILi128ELi4EZNS0_15gpu_kernel_implIZZZNS0_12_GLOBAL__N_117hardshrink_kernelERNS_18TensorIteratorBaseERKN3c106ScalarEENKUlvE_clEvENKUlvE0_clEvEUlfE_EEvS5_RKT_EUlibE0_EEviT1_
    .private_segment_fixed_size: 0
    .sgpr_count:     83
    .sgpr_spill_count: 0
    .symbol:         _ZN2at6native32elementwise_kernel_manual_unrollILi128ELi4EZNS0_15gpu_kernel_implIZZZNS0_12_GLOBAL__N_117hardshrink_kernelERNS_18TensorIteratorBaseERKN3c106ScalarEENKUlvE_clEvENKUlvE0_clEvEUlfE_EEvS5_RKT_EUlibE0_EEviT1_.kd
    .uniform_work_group_size: 1
    .uses_dynamic_stack: false
    .vgpr_count:     18
    .vgpr_spill_count: 0
    .wavefront_size: 64
  - .args:
      - .offset:         0
        .size:           4
        .value_kind:     by_value
      - .offset:         4
        .size:           2
        .value_kind:     by_value
      - .offset:         8
        .size:           16
        .value_kind:     by_value
    .group_segment_fixed_size: 0
    .kernarg_segment_align: 8
    .kernarg_segment_size: 24
    .language:       OpenCL C
    .language_version:
      - 2
      - 0
    .max_flat_workgroup_size: 256
    .name:           _ZN2at6native29vectorized_elementwise_kernelILi16EZZZNS0_12_GLOBAL__N_117hardshrink_kernelERNS_18TensorIteratorBaseERKN3c106ScalarEENKUlvE_clEvENKUlvE1_clEvEUlNS5_4HalfEE_St5arrayIPcLm2EEEEviT0_T1_
    .private_segment_fixed_size: 0
    .sgpr_count:     32
    .sgpr_spill_count: 0
    .symbol:         _ZN2at6native29vectorized_elementwise_kernelILi16EZZZNS0_12_GLOBAL__N_117hardshrink_kernelERNS_18TensorIteratorBaseERKN3c106ScalarEENKUlvE_clEvENKUlvE1_clEvEUlNS5_4HalfEE_St5arrayIPcLm2EEEEviT0_T1_.kd
    .uniform_work_group_size: 1
    .uses_dynamic_stack: false
    .vgpr_count:     13
    .vgpr_spill_count: 0
    .wavefront_size: 64
  - .args:
      - .offset:         0
        .size:           4
        .value_kind:     by_value
      - .offset:         4
        .size:           2
        .value_kind:     by_value
      - .offset:         8
        .size:           16
        .value_kind:     by_value
    .group_segment_fixed_size: 0
    .kernarg_segment_align: 8
    .kernarg_segment_size: 24
    .language:       OpenCL C
    .language_version:
      - 2
      - 0
    .max_flat_workgroup_size: 256
    .name:           _ZN2at6native29vectorized_elementwise_kernelILi8EZZZNS0_12_GLOBAL__N_117hardshrink_kernelERNS_18TensorIteratorBaseERKN3c106ScalarEENKUlvE_clEvENKUlvE1_clEvEUlNS5_4HalfEE_St5arrayIPcLm2EEEEviT0_T1_
    .private_segment_fixed_size: 0
    .sgpr_count:     32
    .sgpr_spill_count: 0
    .symbol:         _ZN2at6native29vectorized_elementwise_kernelILi8EZZZNS0_12_GLOBAL__N_117hardshrink_kernelERNS_18TensorIteratorBaseERKN3c106ScalarEENKUlvE_clEvENKUlvE1_clEvEUlNS5_4HalfEE_St5arrayIPcLm2EEEEviT0_T1_.kd
    .uniform_work_group_size: 1
    .uses_dynamic_stack: false
    .vgpr_count:     13
    .vgpr_spill_count: 0
    .wavefront_size: 64
  - .args:
      - .offset:         0
        .size:           4
        .value_kind:     by_value
      - .offset:         4
        .size:           2
        .value_kind:     by_value
      - .offset:         8
        .size:           16
        .value_kind:     by_value
    .group_segment_fixed_size: 0
    .kernarg_segment_align: 8
    .kernarg_segment_size: 24
    .language:       OpenCL C
    .language_version:
      - 2
      - 0
    .max_flat_workgroup_size: 256
    .name:           _ZN2at6native29vectorized_elementwise_kernelILi4EZZZNS0_12_GLOBAL__N_117hardshrink_kernelERNS_18TensorIteratorBaseERKN3c106ScalarEENKUlvE_clEvENKUlvE1_clEvEUlNS5_4HalfEE_St5arrayIPcLm2EEEEviT0_T1_
    .private_segment_fixed_size: 0
    .sgpr_count:     46
    .sgpr_spill_count: 0
    .symbol:         _ZN2at6native29vectorized_elementwise_kernelILi4EZZZNS0_12_GLOBAL__N_117hardshrink_kernelERNS_18TensorIteratorBaseERKN3c106ScalarEENKUlvE_clEvENKUlvE1_clEvEUlNS5_4HalfEE_St5arrayIPcLm2EEEEviT0_T1_.kd
    .uniform_work_group_size: 1
    .uses_dynamic_stack: false
    .vgpr_count:     13
    .vgpr_spill_count: 0
    .wavefront_size: 64
  - .args:
      - .offset:         0
        .size:           4
        .value_kind:     by_value
      - .offset:         4
        .size:           2
        .value_kind:     by_value
      - .offset:         8
        .size:           16
        .value_kind:     by_value
    .group_segment_fixed_size: 0
    .kernarg_segment_align: 8
    .kernarg_segment_size: 24
    .language:       OpenCL C
    .language_version:
      - 2
      - 0
    .max_flat_workgroup_size: 256
    .name:           _ZN2at6native29vectorized_elementwise_kernelILi2EZZZNS0_12_GLOBAL__N_117hardshrink_kernelERNS_18TensorIteratorBaseERKN3c106ScalarEENKUlvE_clEvENKUlvE1_clEvEUlNS5_4HalfEE_St5arrayIPcLm2EEEEviT0_T1_
    .private_segment_fixed_size: 0
    .sgpr_count:     46
    .sgpr_spill_count: 0
    .symbol:         _ZN2at6native29vectorized_elementwise_kernelILi2EZZZNS0_12_GLOBAL__N_117hardshrink_kernelERNS_18TensorIteratorBaseERKN3c106ScalarEENKUlvE_clEvENKUlvE1_clEvEUlNS5_4HalfEE_St5arrayIPcLm2EEEEviT0_T1_.kd
    .uniform_work_group_size: 1
    .uses_dynamic_stack: false
    .vgpr_count:     13
    .vgpr_spill_count: 0
    .wavefront_size: 64
  - .args:
      - .offset:         0
        .size:           4
        .value_kind:     by_value
      - .offset:         4
        .size:           2
        .value_kind:     by_value
      - .offset:         8
        .size:           16
        .value_kind:     by_value
      - .offset:         24
        .size:           1
        .value_kind:     by_value
      - .offset:         25
        .size:           1
        .value_kind:     by_value
      - .offset:         26
        .size:           1
        .value_kind:     by_value
      - .offset:         27
        .size:           1
        .value_kind:     by_value
    .group_segment_fixed_size: 0
    .kernarg_segment_align: 8
    .kernarg_segment_size: 28
    .language:       OpenCL C
    .language_version:
      - 2
      - 0
    .max_flat_workgroup_size: 256
    .name:           _ZN2at6native27unrolled_elementwise_kernelIZZZNS0_12_GLOBAL__N_117hardshrink_kernelERNS_18TensorIteratorBaseERKN3c106ScalarEENKUlvE_clEvENKUlvE1_clEvEUlNS5_4HalfEE_St5arrayIPcLm2EELi4E23TrivialOffsetCalculatorILi1EjESH_NS0_6memory15LoadWithoutCastENSI_16StoreWithoutCastEEEviT_T0_T2_T3_T4_T5_
    .private_segment_fixed_size: 0
    .sgpr_count:     16
    .sgpr_spill_count: 0
    .symbol:         _ZN2at6native27unrolled_elementwise_kernelIZZZNS0_12_GLOBAL__N_117hardshrink_kernelERNS_18TensorIteratorBaseERKN3c106ScalarEENKUlvE_clEvENKUlvE1_clEvEUlNS5_4HalfEE_St5arrayIPcLm2EELi4E23TrivialOffsetCalculatorILi1EjESH_NS0_6memory15LoadWithoutCastENSI_16StoreWithoutCastEEEviT_T0_T2_T3_T4_T5_.kd
    .uniform_work_group_size: 1
    .uses_dynamic_stack: false
    .vgpr_count:     9
    .vgpr_spill_count: 0
    .wavefront_size: 64
  - .args:
      - .offset:         0
        .size:           4
        .value_kind:     by_value
      - .offset:         8
        .size:           352
        .value_kind:     by_value
    .group_segment_fixed_size: 0
    .kernarg_segment_align: 8
    .kernarg_segment_size: 360
    .language:       OpenCL C
    .language_version:
      - 2
      - 0
    .max_flat_workgroup_size: 128
    .name:           _ZN2at6native32elementwise_kernel_manual_unrollILi128ELi8EZNS0_22gpu_kernel_impl_nocastIZZZNS0_12_GLOBAL__N_117hardshrink_kernelERNS_18TensorIteratorBaseERKN3c106ScalarEENKUlvE_clEvENKUlvE1_clEvEUlNS6_4HalfEE_EEvS5_RKT_EUlibE_EEviT1_
    .private_segment_fixed_size: 0
    .sgpr_count:     65
    .sgpr_spill_count: 0
    .symbol:         _ZN2at6native32elementwise_kernel_manual_unrollILi128ELi8EZNS0_22gpu_kernel_impl_nocastIZZZNS0_12_GLOBAL__N_117hardshrink_kernelERNS_18TensorIteratorBaseERKN3c106ScalarEENKUlvE_clEvENKUlvE1_clEvEUlNS6_4HalfEE_EEvS5_RKT_EUlibE_EEviT1_.kd
    .uniform_work_group_size: 1
    .uses_dynamic_stack: false
    .vgpr_count:     26
    .vgpr_spill_count: 0
    .wavefront_size: 64
  - .args:
      - .offset:         0
        .size:           4
        .value_kind:     by_value
      - .offset:         8
        .size:           32
        .value_kind:     by_value
    .group_segment_fixed_size: 0
    .kernarg_segment_align: 8
    .kernarg_segment_size: 40
    .language:       OpenCL C
    .language_version:
      - 2
      - 0
    .max_flat_workgroup_size: 128
    .name:           _ZN2at6native32elementwise_kernel_manual_unrollILi128ELi4EZNS0_15gpu_kernel_implIZZZNS0_12_GLOBAL__N_117hardshrink_kernelERNS_18TensorIteratorBaseERKN3c106ScalarEENKUlvE_clEvENKUlvE1_clEvEUlNS6_4HalfEE_EEvS5_RKT_EUlibE_EEviT1_
    .private_segment_fixed_size: 0
    .sgpr_count:     49
    .sgpr_spill_count: 0
    .symbol:         _ZN2at6native32elementwise_kernel_manual_unrollILi128ELi4EZNS0_15gpu_kernel_implIZZZNS0_12_GLOBAL__N_117hardshrink_kernelERNS_18TensorIteratorBaseERKN3c106ScalarEENKUlvE_clEvENKUlvE1_clEvEUlNS6_4HalfEE_EEvS5_RKT_EUlibE_EEviT1_.kd
    .uniform_work_group_size: 1
    .uses_dynamic_stack: false
    .vgpr_count:     14
    .vgpr_spill_count: 0
    .wavefront_size: 64
  - .args:
      - .offset:         0
        .size:           4
        .value_kind:     by_value
      - .offset:         8
        .size:           352
        .value_kind:     by_value
    .group_segment_fixed_size: 0
    .kernarg_segment_align: 8
    .kernarg_segment_size: 360
    .language:       OpenCL C
    .language_version:
      - 2
      - 0
    .max_flat_workgroup_size: 128
    .name:           _ZN2at6native32elementwise_kernel_manual_unrollILi128ELi4EZNS0_15gpu_kernel_implIZZZNS0_12_GLOBAL__N_117hardshrink_kernelERNS_18TensorIteratorBaseERKN3c106ScalarEENKUlvE_clEvENKUlvE1_clEvEUlNS6_4HalfEE_EEvS5_RKT_EUlibE0_EEviT1_
    .private_segment_fixed_size: 0
    .sgpr_count:     83
    .sgpr_spill_count: 0
    .symbol:         _ZN2at6native32elementwise_kernel_manual_unrollILi128ELi4EZNS0_15gpu_kernel_implIZZZNS0_12_GLOBAL__N_117hardshrink_kernelERNS_18TensorIteratorBaseERKN3c106ScalarEENKUlvE_clEvENKUlvE1_clEvEUlNS6_4HalfEE_EEvS5_RKT_EUlibE0_EEviT1_.kd
    .uniform_work_group_size: 1
    .uses_dynamic_stack: false
    .vgpr_count:     18
    .vgpr_spill_count: 0
    .wavefront_size: 64
  - .args:
      - .offset:         0
        .size:           4
        .value_kind:     by_value
      - .offset:         4
        .size:           2
        .value_kind:     by_value
      - .offset:         8
        .size:           16
        .value_kind:     by_value
    .group_segment_fixed_size: 0
    .kernarg_segment_align: 8
    .kernarg_segment_size: 24
    .language:       OpenCL C
    .language_version:
      - 2
      - 0
    .max_flat_workgroup_size: 256
    .name:           _ZN2at6native29vectorized_elementwise_kernelILi16EZZZNS0_12_GLOBAL__N_117hardshrink_kernelERNS_18TensorIteratorBaseERKN3c106ScalarEENKUlvE_clEvENKUlvE2_clEvEUlNS5_8BFloat16EE_St5arrayIPcLm2EEEEviT0_T1_
    .private_segment_fixed_size: 0
    .sgpr_count:     46
    .sgpr_spill_count: 0
    .symbol:         _ZN2at6native29vectorized_elementwise_kernelILi16EZZZNS0_12_GLOBAL__N_117hardshrink_kernelERNS_18TensorIteratorBaseERKN3c106ScalarEENKUlvE_clEvENKUlvE2_clEvEUlNS5_8BFloat16EE_St5arrayIPcLm2EEEEviT0_T1_.kd
    .uniform_work_group_size: 1
    .uses_dynamic_stack: false
    .vgpr_count:     19
    .vgpr_spill_count: 0
    .wavefront_size: 64
  - .args:
      - .offset:         0
        .size:           4
        .value_kind:     by_value
      - .offset:         4
        .size:           2
        .value_kind:     by_value
      - .offset:         8
        .size:           16
        .value_kind:     by_value
    .group_segment_fixed_size: 0
    .kernarg_segment_align: 8
    .kernarg_segment_size: 24
    .language:       OpenCL C
    .language_version:
      - 2
      - 0
    .max_flat_workgroup_size: 256
    .name:           _ZN2at6native29vectorized_elementwise_kernelILi8EZZZNS0_12_GLOBAL__N_117hardshrink_kernelERNS_18TensorIteratorBaseERKN3c106ScalarEENKUlvE_clEvENKUlvE2_clEvEUlNS5_8BFloat16EE_St5arrayIPcLm2EEEEviT0_T1_
    .private_segment_fixed_size: 0
    .sgpr_count:     46
    .sgpr_spill_count: 0
    .symbol:         _ZN2at6native29vectorized_elementwise_kernelILi8EZZZNS0_12_GLOBAL__N_117hardshrink_kernelERNS_18TensorIteratorBaseERKN3c106ScalarEENKUlvE_clEvENKUlvE2_clEvEUlNS5_8BFloat16EE_St5arrayIPcLm2EEEEviT0_T1_.kd
    .uniform_work_group_size: 1
    .uses_dynamic_stack: false
    .vgpr_count:     19
    .vgpr_spill_count: 0
    .wavefront_size: 64
  - .args:
      - .offset:         0
        .size:           4
        .value_kind:     by_value
      - .offset:         4
        .size:           2
        .value_kind:     by_value
      - .offset:         8
        .size:           16
        .value_kind:     by_value
    .group_segment_fixed_size: 0
    .kernarg_segment_align: 8
    .kernarg_segment_size: 24
    .language:       OpenCL C
    .language_version:
      - 2
      - 0
    .max_flat_workgroup_size: 256
    .name:           _ZN2at6native29vectorized_elementwise_kernelILi4EZZZNS0_12_GLOBAL__N_117hardshrink_kernelERNS_18TensorIteratorBaseERKN3c106ScalarEENKUlvE_clEvENKUlvE2_clEvEUlNS5_8BFloat16EE_St5arrayIPcLm2EEEEviT0_T1_
    .private_segment_fixed_size: 0
    .sgpr_count:     46
    .sgpr_spill_count: 0
    .symbol:         _ZN2at6native29vectorized_elementwise_kernelILi4EZZZNS0_12_GLOBAL__N_117hardshrink_kernelERNS_18TensorIteratorBaseERKN3c106ScalarEENKUlvE_clEvENKUlvE2_clEvEUlNS5_8BFloat16EE_St5arrayIPcLm2EEEEviT0_T1_.kd
    .uniform_work_group_size: 1
    .uses_dynamic_stack: false
    .vgpr_count:     15
    .vgpr_spill_count: 0
    .wavefront_size: 64
  - .args:
      - .offset:         0
        .size:           4
        .value_kind:     by_value
      - .offset:         4
        .size:           2
        .value_kind:     by_value
      - .offset:         8
        .size:           16
        .value_kind:     by_value
    .group_segment_fixed_size: 0
    .kernarg_segment_align: 8
    .kernarg_segment_size: 24
    .language:       OpenCL C
    .language_version:
      - 2
      - 0
    .max_flat_workgroup_size: 256
    .name:           _ZN2at6native29vectorized_elementwise_kernelILi2EZZZNS0_12_GLOBAL__N_117hardshrink_kernelERNS_18TensorIteratorBaseERKN3c106ScalarEENKUlvE_clEvENKUlvE2_clEvEUlNS5_8BFloat16EE_St5arrayIPcLm2EEEEviT0_T1_
    .private_segment_fixed_size: 0
    .sgpr_count:     46
    .sgpr_spill_count: 0
    .symbol:         _ZN2at6native29vectorized_elementwise_kernelILi2EZZZNS0_12_GLOBAL__N_117hardshrink_kernelERNS_18TensorIteratorBaseERKN3c106ScalarEENKUlvE_clEvENKUlvE2_clEvEUlNS5_8BFloat16EE_St5arrayIPcLm2EEEEviT0_T1_.kd
    .uniform_work_group_size: 1
    .uses_dynamic_stack: false
    .vgpr_count:     15
    .vgpr_spill_count: 0
    .wavefront_size: 64
  - .args:
      - .offset:         0
        .size:           4
        .value_kind:     by_value
      - .offset:         4
        .size:           2
        .value_kind:     by_value
      - .offset:         8
        .size:           16
        .value_kind:     by_value
      - .offset:         24
        .size:           1
        .value_kind:     by_value
      - .offset:         25
        .size:           1
        .value_kind:     by_value
      - .offset:         26
        .size:           1
        .value_kind:     by_value
      - .offset:         27
        .size:           1
        .value_kind:     by_value
    .group_segment_fixed_size: 0
    .kernarg_segment_align: 8
    .kernarg_segment_size: 28
    .language:       OpenCL C
    .language_version:
      - 2
      - 0
    .max_flat_workgroup_size: 256
    .name:           _ZN2at6native27unrolled_elementwise_kernelIZZZNS0_12_GLOBAL__N_117hardshrink_kernelERNS_18TensorIteratorBaseERKN3c106ScalarEENKUlvE_clEvENKUlvE2_clEvEUlNS5_8BFloat16EE_St5arrayIPcLm2EELi4E23TrivialOffsetCalculatorILi1EjESH_NS0_6memory15LoadWithoutCastENSI_16StoreWithoutCastEEEviT_T0_T2_T3_T4_T5_
    .private_segment_fixed_size: 0
    .sgpr_count:     16
    .sgpr_spill_count: 0
    .symbol:         _ZN2at6native27unrolled_elementwise_kernelIZZZNS0_12_GLOBAL__N_117hardshrink_kernelERNS_18TensorIteratorBaseERKN3c106ScalarEENKUlvE_clEvENKUlvE2_clEvEUlNS5_8BFloat16EE_St5arrayIPcLm2EELi4E23TrivialOffsetCalculatorILi1EjESH_NS0_6memory15LoadWithoutCastENSI_16StoreWithoutCastEEEviT_T0_T2_T3_T4_T5_.kd
    .uniform_work_group_size: 1
    .uses_dynamic_stack: false
    .vgpr_count:     10
    .vgpr_spill_count: 0
    .wavefront_size: 64
  - .args:
      - .offset:         0
        .size:           4
        .value_kind:     by_value
      - .offset:         8
        .size:           352
        .value_kind:     by_value
    .group_segment_fixed_size: 0
    .kernarg_segment_align: 8
    .kernarg_segment_size: 360
    .language:       OpenCL C
    .language_version:
      - 2
      - 0
    .max_flat_workgroup_size: 128
    .name:           _ZN2at6native32elementwise_kernel_manual_unrollILi128ELi8EZNS0_22gpu_kernel_impl_nocastIZZZNS0_12_GLOBAL__N_117hardshrink_kernelERNS_18TensorIteratorBaseERKN3c106ScalarEENKUlvE_clEvENKUlvE2_clEvEUlNS6_8BFloat16EE_EEvS5_RKT_EUlibE_EEviT1_
    .private_segment_fixed_size: 0
    .sgpr_count:     65
    .sgpr_spill_count: 0
    .symbol:         _ZN2at6native32elementwise_kernel_manual_unrollILi128ELi8EZNS0_22gpu_kernel_impl_nocastIZZZNS0_12_GLOBAL__N_117hardshrink_kernelERNS_18TensorIteratorBaseERKN3c106ScalarEENKUlvE_clEvENKUlvE2_clEvEUlNS6_8BFloat16EE_EEvS5_RKT_EUlibE_EEviT1_.kd
    .uniform_work_group_size: 1
    .uses_dynamic_stack: false
    .vgpr_count:     26
    .vgpr_spill_count: 0
    .wavefront_size: 64
  - .args:
      - .offset:         0
        .size:           4
        .value_kind:     by_value
      - .offset:         8
        .size:           32
        .value_kind:     by_value
    .group_segment_fixed_size: 0
    .kernarg_segment_align: 8
    .kernarg_segment_size: 40
    .language:       OpenCL C
    .language_version:
      - 2
      - 0
    .max_flat_workgroup_size: 128
    .name:           _ZN2at6native32elementwise_kernel_manual_unrollILi128ELi4EZNS0_15gpu_kernel_implIZZZNS0_12_GLOBAL__N_117hardshrink_kernelERNS_18TensorIteratorBaseERKN3c106ScalarEENKUlvE_clEvENKUlvE2_clEvEUlNS6_8BFloat16EE_EEvS5_RKT_EUlibE_EEviT1_
    .private_segment_fixed_size: 0
    .sgpr_count:     50
    .sgpr_spill_count: 0
    .symbol:         _ZN2at6native32elementwise_kernel_manual_unrollILi128ELi4EZNS0_15gpu_kernel_implIZZZNS0_12_GLOBAL__N_117hardshrink_kernelERNS_18TensorIteratorBaseERKN3c106ScalarEENKUlvE_clEvENKUlvE2_clEvEUlNS6_8BFloat16EE_EEvS5_RKT_EUlibE_EEviT1_.kd
    .uniform_work_group_size: 1
    .uses_dynamic_stack: false
    .vgpr_count:     12
    .vgpr_spill_count: 0
    .wavefront_size: 64
  - .args:
      - .offset:         0
        .size:           4
        .value_kind:     by_value
      - .offset:         8
        .size:           352
        .value_kind:     by_value
    .group_segment_fixed_size: 0
    .kernarg_segment_align: 8
    .kernarg_segment_size: 360
    .language:       OpenCL C
    .language_version:
      - 2
      - 0
    .max_flat_workgroup_size: 128
    .name:           _ZN2at6native32elementwise_kernel_manual_unrollILi128ELi4EZNS0_15gpu_kernel_implIZZZNS0_12_GLOBAL__N_117hardshrink_kernelERNS_18TensorIteratorBaseERKN3c106ScalarEENKUlvE_clEvENKUlvE2_clEvEUlNS6_8BFloat16EE_EEvS5_RKT_EUlibE0_EEviT1_
    .private_segment_fixed_size: 0
    .sgpr_count:     83
    .sgpr_spill_count: 0
    .symbol:         _ZN2at6native32elementwise_kernel_manual_unrollILi128ELi4EZNS0_15gpu_kernel_implIZZZNS0_12_GLOBAL__N_117hardshrink_kernelERNS_18TensorIteratorBaseERKN3c106ScalarEENKUlvE_clEvENKUlvE2_clEvEUlNS6_8BFloat16EE_EEvS5_RKT_EUlibE0_EEviT1_.kd
    .uniform_work_group_size: 1
    .uses_dynamic_stack: false
    .vgpr_count:     18
    .vgpr_spill_count: 0
    .wavefront_size: 64
amdhsa.target:   amdgcn-amd-amdhsa--gfx906
amdhsa.version:
  - 1
  - 2
...

	.end_amdgpu_metadata
